;; amdgpu-corpus repo=ggml-org/llama.cpp kind=compiled arch=gfx1201 opt=O3
	.amdgcn_target "amdgcn-amd-amdhsa--gfx1201"
	.amdhsa_code_object_version 6
	.section	.text._ZL15flash_attn_tileILi256ELi256ELi4ELi8ELb0EEvPKcS1_S1_S1_S1_PKiPfP15HIP_vector_typeIfLj2EEffffjfiS5_IjLj3EEiiiiiiiiiiiliiliiiiil,"axG",@progbits,_ZL15flash_attn_tileILi256ELi256ELi4ELi8ELb0EEvPKcS1_S1_S1_S1_PKiPfP15HIP_vector_typeIfLj2EEffffjfiS5_IjLj3EEiiiiiiiiiiiliiliiiiil,comdat
	.globl	_ZL15flash_attn_tileILi256ELi256ELi4ELi8ELb0EEvPKcS1_S1_S1_S1_PKiPfP15HIP_vector_typeIfLj2EEffffjfiS5_IjLj3EEiiiiiiiiiiiliiliiiiil ; -- Begin function _ZL15flash_attn_tileILi256ELi256ELi4ELi8ELb0EEvPKcS1_S1_S1_S1_PKiPfP15HIP_vector_typeIfLj2EEffffjfiS5_IjLj3EEiiiiiiiiiiiliiliiiiil
	.p2align	8
	.type	_ZL15flash_attn_tileILi256ELi256ELi4ELi8ELb0EEvPKcS1_S1_S1_S1_PKiPfP15HIP_vector_typeIfLj2EEffffjfiS5_IjLj3EEiiiiiiiiiiiliiliiiiil,@function
_ZL15flash_attn_tileILi256ELi256ELi4ELi8ELb0EEvPKcS1_S1_S1_S1_PKiPfP15HIP_vector_typeIfLj2EEffffjfiS5_IjLj3EEiiiiiiiiiiiliiliiiiil: ; @_ZL15flash_attn_tileILi256ELi256ELi4ELi8ELb0EEvPKcS1_S1_S1_S1_PKiPfP15HIP_vector_typeIfLj2EEffffjfiS5_IjLj3EEiiiiiiiiiiiliiliiiiil
; %bb.0:
	s_clause 0x1
	s_load_b128 s[24:27], s[0:1], 0x5c
	s_load_b64 s[34:35], s[0:1], 0x80
	s_lshr_b32 s5, ttmp7, 16
	s_clause 0x1
	s_load_b512 s[36:51], s[0:1], 0x0
	s_load_b64 s[8:9], s[0:1], 0xb8
	s_mov_b64 s[52:53], 0
	s_wait_kmcnt 0x0
	s_ashr_i32 s2, s27, 31
	s_delay_alu instid0(SALU_CYCLE_1) | instskip(NEXT) | instid1(SALU_CYCLE_1)
	s_lshr_b32 s2, s2, 29
	s_add_co_i32 s2, s27, s2
	s_delay_alu instid0(SALU_CYCLE_1) | instskip(NEXT) | instid1(SALU_CYCLE_1)
	s_ashr_i32 s2, s2, 3
	s_cvt_f32_u32 s3, s2
	s_sub_co_i32 s4, 0, s2
	s_delay_alu instid0(SALU_CYCLE_2) | instskip(NEXT) | instid1(TRANS32_DEP_1)
	v_rcp_iflag_f32_e32 v1, s3
	v_readfirstlane_b32 s3, v1
	s_mul_f32 s3, s3, 0x4f7ffffe
	s_wait_alu 0xfffe
	s_delay_alu instid0(SALU_CYCLE_2) | instskip(SKIP_1) | instid1(SALU_CYCLE_2)
	s_cvt_u32_f32 s3, s3
	s_wait_alu 0xfffe
	s_mul_i32 s4, s4, s3
	s_delay_alu instid0(SALU_CYCLE_1) | instskip(NEXT) | instid1(SALU_CYCLE_1)
	s_mul_hi_u32 s4, s3, s4
	s_add_co_i32 s3, s3, s4
	s_wait_alu 0xfffe
	s_mul_hi_u32 s3, s5, s3
	s_wait_alu 0xfffe
	s_mul_i32 s4, s3, s2
	s_add_co_i32 s6, s3, 1
	s_sub_co_i32 s4, s5, s4
	s_delay_alu instid0(SALU_CYCLE_1)
	s_sub_co_i32 s7, s4, s2
	s_cmp_ge_u32 s4, s2
	s_cselect_b32 s3, s6, s3
	s_cselect_b32 s4, s7, s4
	s_wait_alu 0xfffe
	s_add_co_i32 s6, s3, 1
	s_cmp_ge_u32 s4, s2
	s_cselect_b32 s28, s6, s3
	s_abs_i32 s2, s35
	s_abs_i32 s7, s27
	s_wait_alu 0xfffe
	s_cvt_f32_u32 s3, s2
	s_sub_co_i32 s4, 0, s2
	s_lshl_b32 s5, s5, 3
	s_mul_i32 s6, s28, s27
	s_wait_alu 0xfffe
	v_rcp_iflag_f32_e32 v1, s3
	s_sub_co_i32 s31, s5, s6
	s_delay_alu instid0(TRANS32_DEP_1) | instskip(SKIP_2) | instid1(SALU_CYCLE_2)
	v_readfirstlane_b32 s3, v1
	s_mul_f32 s3, s3, 0x4f7ffffe
	s_wait_alu 0xfffe
	s_cvt_u32_f32 s3, s3
	s_wait_alu 0xfffe
	s_delay_alu instid0(SALU_CYCLE_2) | instskip(NEXT) | instid1(SALU_CYCLE_1)
	s_mul_i32 s4, s4, s3
	s_mul_hi_u32 s4, s3, s4
	s_delay_alu instid0(SALU_CYCLE_1)
	s_add_co_i32 s3, s3, s4
	s_xor_b32 s4, s27, s35
	s_wait_alu 0xfffe
	s_mul_hi_u32 s3, s7, s3
	s_ashr_i32 s4, s4, 31
	s_wait_alu 0xfffe
	s_mul_i32 s5, s3, s2
	s_add_co_i32 s6, s3, 1
	s_sub_co_i32 s5, s7, s5
	s_delay_alu instid0(SALU_CYCLE_1)
	s_sub_co_i32 s7, s5, s2
	s_cmp_ge_u32 s5, s2
	s_cselect_b32 s3, s6, s3
	s_cselect_b32 s5, s7, s5
	s_wait_alu 0xfffe
	s_add_co_i32 s6, s3, 1
	s_cmp_ge_u32 s5, s2
	s_cselect_b32 s2, s6, s3
	s_mov_b32 s3, 0
	s_wait_alu 0xfffe
	s_xor_b32 s2, s2, s4
	s_wait_alu 0xfffe
	s_sub_co_i32 s11, s2, s4
	s_delay_alu instid0(SALU_CYCLE_1) | instskip(SKIP_3) | instid1(SALU_CYCLE_2)
	s_abs_i32 s10, s11
	s_cmp_eq_u64 s[42:43], 0
	s_cvt_f32_u32 s2, s10
	s_wait_alu 0xfffe
	v_rcp_iflag_f32_e32 v1, s2
	s_delay_alu instid0(TRANS32_DEP_1)
	v_readfirstlane_b32 s2, v1
	s_cbranch_scc1 .LBB0_2
; %bb.1:
	s_abs_i32 s6, s8
	s_delay_alu instid0(SALU_CYCLE_1) | instskip(NEXT) | instid1(SALU_CYCLE_3)
	s_cvt_f32_u32 s4, s6
	v_rcp_iflag_f32_e32 v1, s4
	s_delay_alu instid0(TRANS32_DEP_1) | instskip(SKIP_2) | instid1(SALU_CYCLE_2)
	v_readfirstlane_b32 s4, v1
	s_mul_f32 s4, s4, 0x4f7ffffe
	s_wait_alu 0xfffe
	s_cvt_u32_f32 s7, s4
	s_sub_co_i32 s4, 0, s6
	s_wait_alu 0xfffe
	s_delay_alu instid0(SALU_CYCLE_1) | instskip(SKIP_4) | instid1(SALU_CYCLE_1)
	s_mul_i32 s4, s4, s7
	s_wait_alu 0xfffe
	s_mul_hi_u32 s8, s7, s4
	s_load_b64 s[4:5], s[0:1], 0xc8
	s_add_co_i32 s7, s7, s8
	s_mul_hi_u32 s7, s28, s7
	s_delay_alu instid0(SALU_CYCLE_1) | instskip(NEXT) | instid1(SALU_CYCLE_1)
	s_mul_i32 s7, s7, s6
	s_sub_co_i32 s7, s28, s7
	s_delay_alu instid0(SALU_CYCLE_1) | instskip(SKIP_2) | instid1(SALU_CYCLE_1)
	s_sub_co_i32 s8, s7, s6
	s_cmp_ge_u32 s7, s6
	s_cselect_b32 s7, s8, s7
	s_sub_co_i32 s8, s7, s6
	s_cmp_ge_u32 s7, s6
	s_cselect_b32 s6, s8, s7
	s_delay_alu instid0(SALU_CYCLE_1)
	s_ashr_i32 s7, s6, 31
	s_wait_kmcnt 0x0
	s_mul_u64 s[4:5], s[4:5], s[6:7]
	s_wait_alu 0xfffe
	s_add_nc_u64 s[52:53], s[42:43], s[4:5]
.LBB0_2:
	v_lshrrev_b32_e32 v1, 10, v0
	s_load_b96 s[4:6], s[0:1], 0x70
	v_and_b32_e32 v141, 0x3ff, v0
	s_delay_alu instid0(VALU_DEP_2) | instskip(NEXT) | instid1(VALU_DEP_1)
	v_bfe_u32 v1, v1, 1, 9
	v_lshl_add_u32 v140, ttmp9, 2, v1
	v_bfe_u32 v1, v0, 10, 10
	s_delay_alu instid0(VALU_DEP_2) | instskip(NEXT) | instid1(VALU_DEP_2)
	v_mul_hi_u32 v2, s24, v140
	v_lshlrev_b32_e32 v0, 2, v1
	s_delay_alu instid0(VALU_DEP_1) | instskip(SKIP_1) | instid1(VALU_DEP_4)
	v_or_b32_e32 v35, 1, v0
	v_and_b32_e32 v160, 4, v0
	v_add_nc_u32_e32 v2, v140, v2
	v_or_b32_e32 v36, 2, v0
	v_or_b32_e32 v37, 3, v0
	s_wait_kmcnt 0x0
	s_mul_i32 s12, s31, s5
	s_ashr_i32 s15, s5, 31
	v_lshrrev_b32_e32 v2, s25, v2
	s_mov_b32 s14, s5
	s_ashr_i32 s5, s4, 31
	v_and_b32_e32 v17, 7, v37
	s_wait_alu 0xfffe
	s_lshr_b64 s[16:17], s[4:5], 2
	v_mul_lo_u32 v2, v2, s26
	s_lshr_b32 s4, s5, 2
	v_and_b32_e32 v14, 6, v36
	s_lshr_b32 s8, s15, 2
	s_mul_i32 s6, s28, s6
	v_mul_lo_u32 v12, s8, v160
	s_ashr_i32 s7, s6, 31
	s_ashr_i32 s13, s12, 31
	v_sub_nc_u32_e32 v0, v140, v2
	s_delay_alu instid0(VALU_DEP_1)
	v_mad_co_u64_u32 v[2:3], null, s16, v0, 0
	s_lshr_b64 s[16:17], s[14:15], 2
	s_cmp_eq_u64 s[46:47], 0
	s_wait_alu 0xfffe
	v_mad_co_u64_u32 v[4:5], null, s16, v160, 0
	v_mad_co_u64_u32 v[15:16], null, s16, v17, 0
	v_and_b32_e32 v11, 5, v35
	v_mad_co_u64_u32 v[9:10], null, s16, v14, 0
	s_delay_alu instid0(VALU_DEP_4) | instskip(NEXT) | instid1(VALU_DEP_3)
	v_mad_co_u64_u32 v[6:7], null, s4, v0, v[3:4]
	v_mad_co_u64_u32 v[7:8], null, s16, v11, 0
	s_add_nc_u64 s[4:5], s[36:37], s[6:7]
	v_or_b32_e32 v5, v5, v12
	s_wait_alu 0xfffe
	s_add_nc_u64 s[4:5], s[4:5], s[12:13]
	v_dual_mov_b32 v3, v6 :: v_dual_mov_b32 v6, v8
	v_dual_mov_b32 v8, v10 :: v_dual_lshlrev_b32 v13, 4, v141
	s_delay_alu instid0(VALU_DEP_2) | instskip(SKIP_1) | instid1(VALU_DEP_4)
	v_lshlrev_b64_e32 v[2:3], 2, v[2:3]
	v_mov_b32_e32 v10, v16
	v_mad_co_u64_u32 v[11:12], null, s8, v11, v[6:7]
	v_lshlrev_b64_e32 v[4:5], 2, v[4:5]
	v_lshlrev_b32_e32 v161, 3, v141
	s_wait_alu 0xfffe
	v_add_co_u32 v6, vcc_lo, s4, v2
	s_delay_alu instid0(VALU_DEP_1) | instskip(SKIP_1) | instid1(VALU_DEP_3)
	v_add_co_ci_u32_e64 v12, null, s5, v3, vcc_lo
	v_mad_co_u64_u32 v[2:3], null, s8, v14, v[8:9]
	v_add_co_u32 v27, vcc_lo, v6, v13
	s_wait_alu 0xfffd
	s_delay_alu instid0(VALU_DEP_3) | instskip(SKIP_1) | instid1(VALU_DEP_3)
	v_add_co_ci_u32_e64 v28, null, 0, v12, vcc_lo
	v_mov_b32_e32 v8, v11
	v_add_co_u32 v11, vcc_lo, v27, v4
	s_wait_alu 0xfffd
	s_delay_alu instid0(VALU_DEP_3) | instskip(NEXT) | instid1(VALU_DEP_3)
	v_add_co_ci_u32_e64 v12, null, v28, v5, vcc_lo
	v_lshlrev_b64_e32 v[7:8], 2, v[7:8]
	s_delay_alu instid0(VALU_DEP_3) | instskip(SKIP_4) | instid1(VALU_DEP_4)
	v_mad_co_u64_u32 v[13:14], null, s8, v17, v[10:11]
	v_mov_b32_e32 v10, v2
	v_lshlrev_b32_e32 v2, 11, v1
	v_add_nc_u32_e32 v38, 0x4400, v161
	v_add_co_u32 v17, vcc_lo, v27, v7
	v_lshlrev_b64_e32 v[19:20], 2, v[9:10]
	s_delay_alu instid0(VALU_DEP_3)
	v_dual_mov_b32 v16, v13 :: v_dual_add_nc_u32 v39, v38, v2
	s_wait_alu 0xfffd
	v_add_co_ci_u32_e64 v18, null, v28, v8, vcc_lo
	s_clause 0x1
	global_load_b128 v[3:6], v[11:12], off
	global_load_b128 v[7:10], v[11:12], off offset:512
	v_lshlrev_b64_e32 v[25:26], 2, v[15:16]
	v_add_co_u32 v23, vcc_lo, v27, v19
	s_wait_alu 0xfffd
	v_add_co_ci_u32_e64 v24, null, v28, v20, vcc_lo
	global_load_b128 v[11:14], v[17:18], off
	v_add_co_u32 v31, vcc_lo, v27, v25
	s_wait_alu 0xfffd
	v_add_co_ci_u32_e64 v32, null, v28, v26, vcc_lo
	s_clause 0x4
	global_load_b128 v[15:18], v[17:18], off offset:512
	global_load_b128 v[19:22], v[23:24], off
	global_load_b128 v[23:26], v[23:24], off offset:512
	global_load_b128 v[27:30], v[31:32], off
	global_load_b128 v[31:34], v[31:32], off offset:512
	s_load_b32 s4, s[0:1], 0x40
	v_lshl_add_u32 v35, v35, 9, v38
	v_lshl_add_u32 v36, v36, 9, v38
	;; [unrolled: 1-line block ×3, first 2 shown]
	s_wait_loadcnt 0x7
	s_wait_kmcnt 0x0
	v_fma_mixlo_f16 v3, s4, v3, 0
	v_fma_mixlo_f16 v4, s4, v4, 0
	;; [unrolled: 1-line block ×4, first 2 shown]
	s_wait_loadcnt 0x6
	v_fma_mixlo_f16 v7, s4, v7, 0
	v_fma_mixlo_f16 v8, s4, v8, 0
	v_fma_mixlo_f16 v9, s4, v9, 0
	v_fma_mixlo_f16 v10, s4, v10, 0
	s_wait_loadcnt 0x5
	v_fma_mixlo_f16 v11, s4, v11, 0
	v_fma_mixlo_f16 v12, s4, v12, 0
	;; [unrolled: 1-line block ×3, first 2 shown]
	s_wait_loadcnt 0x4
	v_fma_mixlo_f16 v15, s4, v15, 0
	v_fma_mixlo_f16 v16, s4, v16, 0
	;; [unrolled: 1-line block ×3, first 2 shown]
	s_wait_loadcnt 0x3
	v_fma_mixlo_f16 v19, s4, v19, 0
	v_fma_mixlo_f16 v20, s4, v20, 0
	s_wait_loadcnt 0x2
	v_fma_mixlo_f16 v23, s4, v23, 0
	v_fma_mixlo_f16 v24, s4, v24, 0
	;; [unrolled: 1-line block ×4, first 2 shown]
	s_wait_loadcnt 0x1
	v_fma_mixlo_f16 v27, s4, v27, 0
	v_fma_mixlo_f16 v28, s4, v28, 0
	s_wait_loadcnt 0x0
	v_fma_mixlo_f16 v31, s4, v31, 0
	v_fma_mixlo_f16 v32, s4, v32, 0
	v_lshlrev_b32_e32 v4, 16, v4
	v_and_b32_e32 v3, 0xffff, v3
	v_lshlrev_b32_e32 v6, 16, v6
	v_and_b32_e32 v5, 0xffff, v5
	;; [unrolled: 2-line block ×6, first 2 shown]
	v_fma_mixlo_f16 v21, s4, v21, 0
	v_fma_mixlo_f16 v22, s4, v22, 0
	;; [unrolled: 1-line block ×4, first 2 shown]
	v_lshlrev_b32_e32 v14, 16, v14
	v_and_b32_e32 v13, 0xffff, v13
	v_lshlrev_b32_e32 v20, 16, v20
	v_and_b32_e32 v19, 0xffff, v19
	;; [unrolled: 2-line block ×3, first 2 shown]
	v_fma_mixlo_f16 v29, s4, v29, 0
	v_fma_mixlo_f16 v30, s4, v30, 0
	;; [unrolled: 1-line block ×4, first 2 shown]
	v_lshlrev_b32_e32 v18, 16, v18
	v_and_b32_e32 v17, 0xffff, v17
	v_lshlrev_b32_e32 v28, 16, v28
	v_and_b32_e32 v27, 0xffff, v27
	;; [unrolled: 2-line block ×3, first 2 shown]
	v_or_b32_e32 v3, v4, v3
	v_or3_b32 v4, v6, v5, 0
	v_or_b32_e32 v5, v8, v7
	v_or3_b32 v6, v10, v9, 0
	v_or_b32_e32 v7, v12, v11
	v_or_b32_e32 v9, v16, v15
	v_lshlrev_b32_e32 v22, 16, v22
	v_and_b32_e32 v21, 0xffff, v21
	v_lshlrev_b32_e32 v26, 16, v26
	v_and_b32_e32 v25, 0xffff, v25
	v_or3_b32 v8, v14, v13, 0
	v_or_b32_e32 v11, v20, v19
	v_or_b32_e32 v13, v24, v23
	v_lshlrev_b32_e32 v30, 16, v30
	v_and_b32_e32 v29, 0xffff, v29
	v_lshlrev_b32_e32 v34, 16, v34
	v_and_b32_e32 v33, 0xffff, v33
	v_or3_b32 v10, v18, v17, 0
	v_or_b32_e32 v15, v28, v27
	v_or_b32_e32 v17, v32, v31
	v_or3_b32 v3, 0, 0, v3
	v_or3_b32 v5, 0, 0, v5
	;; [unrolled: 1-line block ×12, first 2 shown]
	ds_store_2addr_b64 v39, v[3:4], v[5:6] offset1:32
	ds_store_2addr_b64 v35, v[7:8], v[9:10] offset1:32
	;; [unrolled: 1-line block ×4, first 2 shown]
	s_wait_dscnt 0x0
	s_barrier_signal -1
	s_barrier_wait -1
	global_inv scope:SCOPE_SE
	s_cbranch_scc1 .LBB0_4
; %bb.3:
	s_load_b32 s4, s[0:1], 0xd0
	s_mov_b32 s5, 0
	s_wait_kmcnt 0x0
	s_mul_i32 s4, s4, s28
	s_wait_alu 0xfffe
	s_add_co_i32 s4, s4, ttmp9
	s_wait_alu 0xfffe
	s_lshl_b64 s[4:5], s[4:5], 2
	s_wait_alu 0xfffe
	s_add_nc_u64 s[4:5], s[46:47], s[4:5]
	s_load_b32 s34, s[4:5], 0x0
.LBB0_4:
	s_and_b32 s30, ttmp7, 0xffff
	v_lshlrev_b32_e32 v159, 2, v141
	v_mbcnt_lo_u32_b32 v162, -1, 0
	s_lshl_b32 s36, s30, 6
	s_wait_kmcnt 0x0
	s_cmp_lt_i32 s36, s34
	s_cbranch_scc1 .LBB0_7
; %bb.5:
	v_mbcnt_lo_u32_b32 v5, -1, 0
	v_mov_b32_e32 v4, 32
	s_delay_alu instid0(VALU_DEP_2)
	v_xor_b32_e32 v167, 16, v5
	v_xor_b32_e32 v166, 8, v5
	;; [unrolled: 1-line block ×5, first 2 shown]
	s_mov_b32 s29, 0
	s_cbranch_execz .LBB0_8
; %bb.6:
	v_dual_mov_b32 v44, 0 :: v_dual_mov_b32 v189, 0
	v_dual_mov_b32 v3, 0xfeffffff :: v_dual_mov_b32 v2, 0xfeffffff
	;; [unrolled: 1-line block ×11, first 2 shown]
	v_mov_b32_e32 v26, 0
	v_mov_b32_e32 v24, 0
	s_branch .LBB0_11
.LBB0_7:
                                        ; implicit-def: $vgpr5
                                        ; implicit-def: $vgpr4
                                        ; implicit-def: $vgpr167
                                        ; implicit-def: $vgpr166
                                        ; implicit-def: $vgpr165
                                        ; implicit-def: $vgpr164
                                        ; implicit-def: $vgpr163
	s_mov_b32 s29, 0
.LBB0_8:
	s_mul_f32 s2, s2, 0x4f7ffffe
	s_clause 0x1
	s_load_b128 s[4:7], s[0:1], 0x98
	s_load_b64 s[12:13], s[0:1], 0x8c
	s_sub_co_i32 s14, 0, s10
	s_mov_b32 s15, s3
	s_cvt_u32_f32 s8, s2
	s_abs_i32 s2, s31
	s_ashr_i32 s18, s31, 31
	s_ashr_i32 s11, s11, 31
	s_wait_alu 0xfffe
	s_mul_i32 s14, s14, s8
	s_load_b64 s[16:17], s[0:1], 0xa8
	s_mul_hi_u32 s14, s8, s14
	v_lshrrev_b32_e32 v3, 4, v141
	s_add_co_i32 s14, s8, s14
	s_xor_b32 s8, s18, s11
	s_mul_u64 s[14:15], s[2:3], s[14:15]
	s_ashr_i32 s14, s9, 1
	s_mul_i32 s3, s15, s10
	s_add_co_i32 s9, s15, 1
	s_wait_alu 0xfffe
	s_sub_co_i32 s2, s2, s3
	v_lshl_add_u32 v4, v1, 1, v3
	s_wait_kmcnt 0x0
	s_ashr_i32 s42, s6, 2
	s_ashr_i32 s46, s12, 2
	s_wait_alu 0xfffe
	s_sub_co_i32 s3, s2, s10
	s_cmp_ge_u32 s2, s10
	v_mul_lo_u32 v3, s46, v4
	s_cselect_b32 s6, s9, s15
	s_wait_alu 0xfffe
	s_cselect_b32 s2, s3, s2
	s_add_co_i32 s3, s6, 1
	s_wait_alu 0xfffe
	s_cmp_ge_u32 s2, s10
	v_mul_lo_u32 v9, s42, v1
	s_cselect_b32 s6, s3, s6
	s_mul_u64 s[2:3], s[4:5], s[28:29]
	s_xor_b32 s6, s6, s8
	s_wait_alu 0xfffe
	s_add_nc_u64 s[2:3], s[38:39], s[2:3]
	s_sub_co_i32 s6, s6, s8
	s_mul_u64 s[4:5], s[16:17], s[28:29]
	s_mul_i32 s8, s6, s13
	s_wait_alu 0xfffe
	s_add_nc_u64 s[4:5], s[40:41], s[4:5]
	s_ashr_i32 s9, s8, 31
	v_dual_mov_b32 v29, 0 :: v_dual_lshlrev_b32 v10, 9, v1
	s_wait_alu 0xfffe
	s_add_nc_u64 s[38:39], s[2:3], s[8:9]
	s_mul_i32 s2, s6, s7
	s_lshl_b32 s6, s46, 4
	s_wait_alu 0xfffe
	s_ashr_i32 s3, s2, 31
	v_add_nc_u32_e32 v5, s6, v3
	s_wait_alu 0xfffe
	s_add_nc_u64 s[40:41], s[4:5], s[2:3]
	s_lshl_b32 s2, s42, 3
	v_dual_mov_b32 v24, 0 :: v_dual_and_b32 v17, 60, v159
	s_wait_alu 0xfffe
	v_dual_mov_b32 v34, 0 :: v_dual_add_nc_u32 v1, s2, v9
	v_mad_co_u64_u32 v[142:143], null, v0, s14, v[141:142]
	v_dual_mov_b32 v0, 0xfeffffff :: v_dual_add_nc_u32 v7, s6, v5
	s_delay_alu instid0(VALU_DEP_3) | instskip(SKIP_2) | instid1(VALU_DEP_4)
	v_dual_mov_b32 v26, 0 :: v_dual_add_nc_u32 v13, s2, v1
	v_mov_b32_e32 v36, 0
	v_dual_mov_b32 v25, 0 :: v_dual_lshlrev_b32 v6, 2, v17
	v_dual_mov_b32 v30, 0 :: v_dual_add_nc_u32 v11, s6, v7
	s_delay_alu instid0(VALU_DEP_4) | instskip(NEXT) | instid1(VALU_DEP_3)
	v_dual_mov_b32 v44, 0 :: v_dual_add_nc_u32 v15, s2, v13
	v_mad_u32_u24 v168, 0x110, v4, v6
	v_ashrrev_i32_e32 v4, 31, v3
	v_ashrrev_i32_e32 v6, 31, v5
	;; [unrolled: 1-line block ×4, first 2 shown]
	v_dual_mov_b32 v33, 0 :: v_dual_add_nc_u32 v172, 0x4400, v2
	v_lshl_add_u32 v174, v159, 2, v10
	v_dual_mov_b32 v38, 0 :: v_dual_add_nc_u32 v175, 0x8400, v10
	v_ashrrev_i32_e32 v10, 31, v9
	v_ashrrev_i32_e32 v2, 31, v1
	;; [unrolled: 1-line block ×4, first 2 shown]
	v_lshlrev_b64_e32 v[143:144], 2, v[3:4]
	v_lshlrev_b64_e32 v[145:146], 2, v[5:6]
	v_lshlrev_b64_e32 v[147:148], 2, v[7:8]
	v_lshlrev_b64_e32 v[149:150], 2, v[11:12]
	v_lshlrev_b64_e32 v[151:152], 2, v[9:10]
	v_lshlrev_b64_e32 v[153:154], 2, v[1:2]
	v_lshlrev_b64_e32 v[155:156], 2, v[13:14]
	v_lshlrev_b64_e32 v[157:158], 2, v[15:16]
	v_dual_mov_b32 v28, 0 :: v_dual_add_nc_u32 v169, 0x1100, v168
	v_dual_mov_b32 v27, 0 :: v_dual_add_nc_u32 v170, 0x2200, v168
	;; [unrolled: 1-line block ×3, first 2 shown]
	v_mul_u32_u24_e32 v173, 0x110, v141
	v_dual_mov_b32 v35, 0 :: v_dual_add_nc_u32 v176, 0x1000, v174
	v_dual_mov_b32 v190, 0 :: v_dual_add_nc_u32 v177, 0x2000, v174
	v_dual_mov_b32 v31, 0 :: v_dual_add_nc_u32 v178, 0x3000, v174
	v_dual_mov_b32 v2, 0xfeffffff :: v_dual_lshlrev_b32 v179, 2, v17
	v_xor_b32_e32 v167, 16, v162
	v_xor_b32_e32 v166, 8, v162
	;; [unrolled: 1-line block ×5, first 2 shown]
	v_dual_mov_b32 v37, 0 :: v_dual_add_nc_u32 v180, v175, v161
	v_dual_mov_b32 v192, 0 :: v_dual_lshlrev_b32 v181, 2, v159
	v_dual_mov_b32 v191, 0 :: v_dual_add_nc_u32 v182, 0x800, v161
	v_add_nc_u32_e32 v183, 0x1000, v161
	v_dual_mov_b32 v189, 0 :: v_dual_add_nc_u32 v184, 0x1800, v161
	v_add_nc_u32_e32 v185, 0x2000, v161
	v_add_nc_u32_e32 v186, 0x2800, v161
	;; [unrolled: 1-line block ×4, first 2 shown]
	v_mov_b32_e32 v1, 0xfeffffff
	v_mov_b32_e32 v3, 0xfeffffff
	s_ashr_i32 s47, s46, 31
	s_ashr_i32 s43, s42, 31
	s_add_nc_u64 s[54:55], s[0:1], 0xd0
.LBB0_9:                                ; =>This Inner Loop Header: Depth=1
	v_cmp_gt_i32_e32 vcc_lo, 32, v167
	v_cmp_gt_i32_e64 s2, 32, v166
	v_cmp_gt_i32_e64 s3, 32, v165
	s_ashr_i32 s37, s36, 31
	v_cmp_gt_i32_e64 s4, 32, v164
	v_cmp_gt_i32_e64 s5, 32, v163
	s_or_b32 s6, s36, 32
	v_dual_mov_b32 v39, v0 :: v_dual_mov_b32 v40, 0
	v_dual_mov_b32 v47, 0 :: v_dual_add_nc_u32 v0, s36, v142
	s_wait_alu 0xfffe
	s_mul_u64 s[8:9], s[36:37], s[46:47]
	v_dual_mov_b32 v22, v2 :: v_dual_mov_b32 v23, v1
	s_wait_alu 0xfffd
	v_dual_mov_b32 v49, v189 :: v_dual_cndmask_b32 v2, v162, v167
	s_ashr_i32 s7, s6, 31
	v_dual_mov_b32 v20, v190 :: v_dual_mov_b32 v21, v3
	s_mul_u64 s[10:11], s[36:37], s[42:43]
	v_cndmask_b32_e64 v3, v162, v166, s2
	v_cndmask_b32_e64 v4, v162, v165, s3
	s_wait_alu 0xfffe
	s_lshl_b64 s[2:3], s[8:9], 2
	s_mul_u64 s[6:7], s[6:7], s[42:43]
	v_cndmask_b32_e64 v5, v162, v164, s4
	v_cndmask_b32_e64 v6, v162, v163, s5
	s_lshl_b64 s[4:5], s[10:11], 2
	s_wait_alu 0xfffe
	s_add_nc_u64 s[8:9], s[38:39], s[2:3]
	v_ashrrev_i32_e32 v1, 31, v0
	s_lshl_b64 s[12:13], s[6:7], 2
	s_add_nc_u64 s[10:11], s[40:41], s[4:5]
	v_lshlrev_b32_e32 v54, 2, v2
	s_wait_alu 0xfffe
	v_add_co_u32 v2, vcc_lo, s8, v143
	v_lshlrev_b32_e32 v53, 2, v3
	v_add_co_u32 v3, s2, s8, v145
	s_add_nc_u64 s[12:13], s[40:41], s[12:13]
	v_lshlrev_b32_e32 v52, 2, v4
	v_lshlrev_b32_e32 v51, 2, v5
	v_add_co_u32 v4, s3, s8, v147
	v_add_co_u32 v5, s4, s8, v149
	v_add_co_u32 v8, s6, s10, v153
	v_add_co_u32 v11, s8, s10, v157
	s_wait_alu 0xfffd
	v_add_co_ci_u32_e64 v13, null, s9, v144, vcc_lo
	v_add_co_ci_u32_e64 v15, null, s9, v146, s2
	s_wait_alu 0xfffe
	v_add_co_u32 v60, vcc_lo, s12, v151
	v_lshlrev_b64_e32 v[0:1], 1, v[0:1]
	s_wait_alu 0xf1ff
	v_add_co_ci_u32_e64 v17, null, s9, v148, s3
	v_add_co_u32 v61, s2, s12, v153
	v_add_co_u32 v7, s5, s10, v151
	;; [unrolled: 1-line block ×3, first 2 shown]
	v_add_co_ci_u32_e64 v55, null, s9, v150, s4
	v_add_co_u32 v62, s3, s12, v155
	v_add_co_u32 v63, s4, s12, v157
	s_wait_alu 0xfffd
	v_add_co_ci_u32_e64 v64, null, s13, v152, vcc_lo
	v_add_co_u32 v10, vcc_lo, v2, v179
	s_wait_alu 0xf1ff
	v_add_co_ci_u32_e64 v65, null, s13, v154, s2
	v_add_co_u32 v12, s2, v3, v179
	v_add_co_ci_u32_e64 v56, null, s11, v152, s5
	v_add_co_ci_u32_e64 v57, null, s11, v154, s6
	;; [unrolled: 1-line block ×6, first 2 shown]
	v_add_co_u32 v14, s3, v4, v179
	v_add_co_u32 v2, s7, v8, v181
	;; [unrolled: 1-line block ×3, first 2 shown]
	s_wait_alu 0xfffd
	v_add_co_ci_u32_e64 v11, null, 0, v13, vcc_lo
	v_add_co_u32 v16, s4, v5, v179
	s_wait_alu 0xf1ff
	v_add_co_ci_u32_e64 v13, null, 0, v15, s2
	v_add_co_ci_u32_e64 v15, null, 0, v17, s3
	v_lshlrev_b32_e32 v50, 2, v6
	v_add_co_u32 v6, s5, s52, v0
	v_add_co_u32 v0, s6, v7, v181
	;; [unrolled: 1-line block ×3, first 2 shown]
	v_add_co_ci_u32_e64 v17, null, 0, v55, s4
	v_add_co_u32 v118, vcc_lo, v60, v181
	v_add_co_u32 v116, s2, v61, v181
	v_add_co_u32 v114, s3, v62, v181
	;; [unrolled: 1-line block ×3, first 2 shown]
	s_wait_alu 0xf1ff
	v_add_co_ci_u32_e64 v7, null, s53, v1, s5
	v_add_co_ci_u32_e64 v1, null, 0, v56, s6
	;; [unrolled: 1-line block ×5, first 2 shown]
	s_wait_alu 0xfffd
	v_add_co_ci_u32_e64 v119, null, 0, v64, vcc_lo
	v_add_co_ci_u32_e64 v117, null, 0, v65, s2
	v_add_co_ci_u32_e64 v115, null, 0, v66, s3
	;; [unrolled: 1-line block ×3, first 2 shown]
	s_clause 0x3
	global_load_b128 v[55:58], v[10:11], off
	global_load_b128 v[59:62], v[12:13], off
	;; [unrolled: 1-line block ×4, first 2 shown]
	v_dual_mov_b32 v41, 0 :: v_dual_mov_b32 v42, 0
	v_dual_mov_b32 v43, 0 :: v_dual_mov_b32 v46, 0
	;; [unrolled: 1-line block ×4, first 2 shown]
	s_wait_loadcnt 0x3
	ds_store_b128 v168, v[55:58]
	s_wait_loadcnt 0x2
	ds_store_b128 v169, v[59:62]
	;; [unrolled: 2-line block ×4, first 2 shown]
	s_wait_dscnt 0x0
	s_barrier_signal -1
	s_barrier_wait -1
	global_inv scope:SCOPE_SE
	ds_load_b128 v[55:58], v173
	ds_load_b128 v[59:62], v172
	ds_load_b128 v[63:66], v172 offset:512
	ds_load_b128 v[67:70], v172 offset:1024
	;; [unrolled: 1-line block ×4, first 2 shown]
	s_wait_dscnt 0x4
	;;#ASMSTART
	v_dot2_f32_f16 v40, v55, v59, v40
	;;#ASMEND
	;;#ASMSTART
	v_dot2_f32_f16 v40, v56, v60, v40
	;;#ASMEND
	;;#ASMSTART
	v_dot2_f32_f16 v40, v57, v61, v40
	;;#ASMEND
	;;#ASMSTART
	v_dot2_f32_f16 v40, v58, v62, v40
	;;#ASMEND
	s_wait_dscnt 0x3
	;;#ASMSTART
	v_dot2_f32_f16 v41, v55, v63, v41
	;;#ASMEND
	;;#ASMSTART
	v_dot2_f32_f16 v41, v56, v64, v41
	;;#ASMEND
	;;#ASMSTART
	v_dot2_f32_f16 v41, v57, v65, v41
	;;#ASMEND
	;;#ASMSTART
	v_dot2_f32_f16 v41, v58, v66, v41
	;;#ASMEND
	;; [unrolled: 13-line block ×5, first 2 shown]
	;;#ASMSTART
	v_dot2_f32_f16 v46, v75, v63, v46
	;;#ASMEND
	;;#ASMSTART
	v_dot2_f32_f16 v46, v76, v64, v46
	;;#ASMEND
	;; [unrolled: 3-line block ×12, first 2 shown]
	ds_load_b128 v[55:58], v173 offset:16
	ds_load_b128 v[59:62], v172 offset:16
	;; [unrolled: 1-line block ×6, first 2 shown]
	s_wait_dscnt 0x4
	;;#ASMSTART
	v_dot2_f32_f16 v40, v55, v59, v40
	;;#ASMEND
	;;#ASMSTART
	v_dot2_f32_f16 v40, v56, v60, v40
	;;#ASMEND
	;;#ASMSTART
	v_dot2_f32_f16 v40, v57, v61, v40
	;;#ASMEND
	;;#ASMSTART
	v_dot2_f32_f16 v40, v58, v62, v40
	;;#ASMEND
	s_wait_dscnt 0x3
	;;#ASMSTART
	v_dot2_f32_f16 v41, v55, v63, v41
	;;#ASMEND
	;;#ASMSTART
	v_dot2_f32_f16 v41, v56, v64, v41
	;;#ASMEND
	;;#ASMSTART
	v_dot2_f32_f16 v41, v57, v65, v41
	;;#ASMEND
	;;#ASMSTART
	v_dot2_f32_f16 v41, v58, v66, v41
	;;#ASMEND
	;; [unrolled: 13-line block ×5, first 2 shown]
	;;#ASMSTART
	v_dot2_f32_f16 v46, v75, v63, v46
	;;#ASMEND
	;;#ASMSTART
	v_dot2_f32_f16 v46, v76, v64, v46
	;;#ASMEND
	;; [unrolled: 3-line block ×12, first 2 shown]
	ds_load_b128 v[55:58], v173 offset:32
	ds_load_b128 v[59:62], v172 offset:32
	;; [unrolled: 1-line block ×6, first 2 shown]
	s_wait_dscnt 0x4
	;;#ASMSTART
	v_dot2_f32_f16 v40, v55, v59, v40
	;;#ASMEND
	;;#ASMSTART
	v_dot2_f32_f16 v40, v56, v60, v40
	;;#ASMEND
	;;#ASMSTART
	v_dot2_f32_f16 v40, v57, v61, v40
	;;#ASMEND
	;;#ASMSTART
	v_dot2_f32_f16 v40, v58, v62, v40
	;;#ASMEND
	s_wait_dscnt 0x3
	;;#ASMSTART
	v_dot2_f32_f16 v41, v55, v63, v41
	;;#ASMEND
	;;#ASMSTART
	v_dot2_f32_f16 v41, v56, v64, v41
	;;#ASMEND
	;;#ASMSTART
	v_dot2_f32_f16 v41, v57, v65, v41
	;;#ASMEND
	;;#ASMSTART
	v_dot2_f32_f16 v41, v58, v66, v41
	;;#ASMEND
	;; [unrolled: 13-line block ×5, first 2 shown]
	;;#ASMSTART
	v_dot2_f32_f16 v46, v75, v63, v46
	;;#ASMEND
	;;#ASMSTART
	v_dot2_f32_f16 v46, v76, v64, v46
	;;#ASMEND
	;;#ASMSTART
	v_dot2_f32_f16 v46, v77, v65, v46
	;;#ASMEND
	;;#ASMSTART
	v_dot2_f32_f16 v46, v78, v66, v46
	;;#ASMEND
	;;#ASMSTART
	v_dot2_f32_f16 v47, v75, v67, v47
	;;#ASMEND
	;;#ASMSTART
	v_dot2_f32_f16 v47, v76, v68, v47
	;;#ASMEND
	;;#ASMSTART
	v_dot2_f32_f16 v47, v77, v69, v47
	;;#ASMEND
	;;#ASMSTART
	v_dot2_f32_f16 v47, v78, v70, v47
	;;#ASMEND
	;;#ASMSTART
	v_dot2_f32_f16 v48, v75, v71, v48
	;;#ASMEND
	;;#ASMSTART
	v_dot2_f32_f16 v48, v76, v72, v48
	;;#ASMEND
	;;#ASMSTART
	v_dot2_f32_f16 v48, v77, v73, v48
	;;#ASMEND
	;;#ASMSTART
	v_dot2_f32_f16 v48, v78, v74, v48
	;;#ASMEND
	ds_load_b128 v[55:58], v173 offset:48
	ds_load_b128 v[59:62], v172 offset:48
	ds_load_b128 v[63:66], v172 offset:560
	ds_load_b128 v[67:70], v172 offset:1072
	ds_load_b128 v[71:74], v172 offset:1584
	ds_load_b128 v[75:78], v173 offset:8752
	s_wait_dscnt 0x4
	;;#ASMSTART
	v_dot2_f32_f16 v40, v55, v59, v40
	;;#ASMEND
	;;#ASMSTART
	v_dot2_f32_f16 v40, v56, v60, v40
	;;#ASMEND
	;;#ASMSTART
	v_dot2_f32_f16 v40, v57, v61, v40
	;;#ASMEND
	;;#ASMSTART
	v_dot2_f32_f16 v40, v58, v62, v40
	;;#ASMEND
	s_wait_dscnt 0x3
	;;#ASMSTART
	v_dot2_f32_f16 v41, v55, v63, v41
	;;#ASMEND
	;;#ASMSTART
	v_dot2_f32_f16 v41, v56, v64, v41
	;;#ASMEND
	;;#ASMSTART
	v_dot2_f32_f16 v41, v57, v65, v41
	;;#ASMEND
	;;#ASMSTART
	v_dot2_f32_f16 v41, v58, v66, v41
	;;#ASMEND
	;; [unrolled: 13-line block ×5, first 2 shown]
	;;#ASMSTART
	v_dot2_f32_f16 v46, v75, v63, v46
	;;#ASMEND
	;;#ASMSTART
	v_dot2_f32_f16 v46, v76, v64, v46
	;;#ASMEND
	;; [unrolled: 3-line block ×12, first 2 shown]
	ds_load_b128 v[55:58], v173 offset:64
	ds_load_b128 v[59:62], v172 offset:64
	ds_load_b128 v[63:66], v172 offset:576
	ds_load_b128 v[67:70], v172 offset:1088
	ds_load_b128 v[71:74], v172 offset:1600
	ds_load_b128 v[75:78], v173 offset:8768
	s_wait_dscnt 0x4
	;;#ASMSTART
	v_dot2_f32_f16 v40, v55, v59, v40
	;;#ASMEND
	;;#ASMSTART
	v_dot2_f32_f16 v40, v56, v60, v40
	;;#ASMEND
	;;#ASMSTART
	v_dot2_f32_f16 v40, v57, v61, v40
	;;#ASMEND
	;;#ASMSTART
	v_dot2_f32_f16 v40, v58, v62, v40
	;;#ASMEND
	s_wait_dscnt 0x3
	;;#ASMSTART
	v_dot2_f32_f16 v41, v55, v63, v41
	;;#ASMEND
	;;#ASMSTART
	v_dot2_f32_f16 v41, v56, v64, v41
	;;#ASMEND
	;;#ASMSTART
	v_dot2_f32_f16 v41, v57, v65, v41
	;;#ASMEND
	;;#ASMSTART
	v_dot2_f32_f16 v41, v58, v66, v41
	;;#ASMEND
	;; [unrolled: 13-line block ×5, first 2 shown]
	;;#ASMSTART
	v_dot2_f32_f16 v46, v75, v63, v46
	;;#ASMEND
	;;#ASMSTART
	v_dot2_f32_f16 v46, v76, v64, v46
	;;#ASMEND
	;; [unrolled: 3-line block ×12, first 2 shown]
	ds_load_b128 v[55:58], v173 offset:80
	ds_load_b128 v[59:62], v172 offset:80
	;; [unrolled: 1-line block ×6, first 2 shown]
	s_wait_dscnt 0x4
	;;#ASMSTART
	v_dot2_f32_f16 v40, v55, v59, v40
	;;#ASMEND
	;;#ASMSTART
	v_dot2_f32_f16 v40, v56, v60, v40
	;;#ASMEND
	;;#ASMSTART
	v_dot2_f32_f16 v40, v57, v61, v40
	;;#ASMEND
	;;#ASMSTART
	v_dot2_f32_f16 v40, v58, v62, v40
	;;#ASMEND
	s_wait_dscnt 0x3
	;;#ASMSTART
	v_dot2_f32_f16 v41, v55, v63, v41
	;;#ASMEND
	;;#ASMSTART
	v_dot2_f32_f16 v41, v56, v64, v41
	;;#ASMEND
	;;#ASMSTART
	v_dot2_f32_f16 v41, v57, v65, v41
	;;#ASMEND
	;;#ASMSTART
	v_dot2_f32_f16 v41, v58, v66, v41
	;;#ASMEND
	;; [unrolled: 13-line block ×5, first 2 shown]
	;;#ASMSTART
	v_dot2_f32_f16 v46, v75, v63, v46
	;;#ASMEND
	;;#ASMSTART
	v_dot2_f32_f16 v46, v76, v64, v46
	;;#ASMEND
	;; [unrolled: 3-line block ×12, first 2 shown]
	ds_load_b128 v[55:58], v173 offset:96
	ds_load_b128 v[59:62], v172 offset:96
	;; [unrolled: 1-line block ×6, first 2 shown]
	s_wait_dscnt 0x4
	;;#ASMSTART
	v_dot2_f32_f16 v40, v55, v59, v40
	;;#ASMEND
	;;#ASMSTART
	v_dot2_f32_f16 v40, v56, v60, v40
	;;#ASMEND
	;;#ASMSTART
	v_dot2_f32_f16 v40, v57, v61, v40
	;;#ASMEND
	;;#ASMSTART
	v_dot2_f32_f16 v40, v58, v62, v40
	;;#ASMEND
	s_wait_dscnt 0x3
	;;#ASMSTART
	v_dot2_f32_f16 v41, v55, v63, v41
	;;#ASMEND
	;;#ASMSTART
	v_dot2_f32_f16 v41, v56, v64, v41
	;;#ASMEND
	;;#ASMSTART
	v_dot2_f32_f16 v41, v57, v65, v41
	;;#ASMEND
	;;#ASMSTART
	v_dot2_f32_f16 v41, v58, v66, v41
	;;#ASMEND
	;; [unrolled: 13-line block ×5, first 2 shown]
	;;#ASMSTART
	v_dot2_f32_f16 v46, v75, v63, v46
	;;#ASMEND
	;;#ASMSTART
	v_dot2_f32_f16 v46, v76, v64, v46
	;;#ASMEND
	;; [unrolled: 3-line block ×12, first 2 shown]
	ds_load_b128 v[55:58], v173 offset:112
	ds_load_b128 v[59:62], v172 offset:112
	ds_load_b128 v[63:66], v172 offset:624
	ds_load_b128 v[67:70], v172 offset:1136
	ds_load_b128 v[71:74], v172 offset:1648
	ds_load_b128 v[75:78], v173 offset:8816
	s_wait_dscnt 0x4
	;;#ASMSTART
	v_dot2_f32_f16 v40, v55, v59, v40
	;;#ASMEND
	;;#ASMSTART
	v_dot2_f32_f16 v40, v56, v60, v40
	;;#ASMEND
	;;#ASMSTART
	v_dot2_f32_f16 v40, v57, v61, v40
	;;#ASMEND
	;;#ASMSTART
	v_dot2_f32_f16 v40, v58, v62, v40
	;;#ASMEND
	s_wait_dscnt 0x3
	;;#ASMSTART
	v_dot2_f32_f16 v41, v55, v63, v41
	;;#ASMEND
	;;#ASMSTART
	v_dot2_f32_f16 v41, v56, v64, v41
	;;#ASMEND
	;;#ASMSTART
	v_dot2_f32_f16 v41, v57, v65, v41
	;;#ASMEND
	;;#ASMSTART
	v_dot2_f32_f16 v41, v58, v66, v41
	;;#ASMEND
	;; [unrolled: 13-line block ×5, first 2 shown]
	;;#ASMSTART
	v_dot2_f32_f16 v46, v75, v63, v46
	;;#ASMEND
	;;#ASMSTART
	v_dot2_f32_f16 v46, v76, v64, v46
	;;#ASMEND
	;; [unrolled: 3-line block ×12, first 2 shown]
	ds_load_b128 v[55:58], v173 offset:128
	ds_load_b128 v[59:62], v172 offset:128
	;; [unrolled: 1-line block ×6, first 2 shown]
	s_wait_dscnt 0x4
	;;#ASMSTART
	v_dot2_f32_f16 v40, v55, v59, v40
	;;#ASMEND
	;;#ASMSTART
	v_dot2_f32_f16 v40, v56, v60, v40
	;;#ASMEND
	;;#ASMSTART
	v_dot2_f32_f16 v40, v57, v61, v40
	;;#ASMEND
	;;#ASMSTART
	v_dot2_f32_f16 v40, v58, v62, v40
	;;#ASMEND
	s_wait_dscnt 0x3
	;;#ASMSTART
	v_dot2_f32_f16 v41, v55, v63, v41
	;;#ASMEND
	;;#ASMSTART
	v_dot2_f32_f16 v41, v56, v64, v41
	;;#ASMEND
	;;#ASMSTART
	v_dot2_f32_f16 v41, v57, v65, v41
	;;#ASMEND
	;;#ASMSTART
	v_dot2_f32_f16 v41, v58, v66, v41
	;;#ASMEND
	;; [unrolled: 13-line block ×5, first 2 shown]
	;;#ASMSTART
	v_dot2_f32_f16 v46, v75, v63, v46
	;;#ASMEND
	;;#ASMSTART
	v_dot2_f32_f16 v46, v76, v64, v46
	;;#ASMEND
	;; [unrolled: 3-line block ×12, first 2 shown]
	ds_load_b128 v[55:58], v173 offset:144
	ds_load_b128 v[59:62], v172 offset:144
	;; [unrolled: 1-line block ×6, first 2 shown]
	s_wait_dscnt 0x4
	;;#ASMSTART
	v_dot2_f32_f16 v40, v55, v59, v40
	;;#ASMEND
	;;#ASMSTART
	v_dot2_f32_f16 v40, v56, v60, v40
	;;#ASMEND
	;;#ASMSTART
	v_dot2_f32_f16 v40, v57, v61, v40
	;;#ASMEND
	;;#ASMSTART
	v_dot2_f32_f16 v40, v58, v62, v40
	;;#ASMEND
	s_wait_dscnt 0x3
	;;#ASMSTART
	v_dot2_f32_f16 v41, v55, v63, v41
	;;#ASMEND
	;;#ASMSTART
	v_dot2_f32_f16 v41, v56, v64, v41
	;;#ASMEND
	;;#ASMSTART
	v_dot2_f32_f16 v41, v57, v65, v41
	;;#ASMEND
	;;#ASMSTART
	v_dot2_f32_f16 v41, v58, v66, v41
	;;#ASMEND
	s_wait_dscnt 0x2
	;;#ASMSTART
	v_dot2_f32_f16 v42, v55, v67, v42
	;;#ASMEND
	;;#ASMSTART
	v_dot2_f32_f16 v42, v56, v68, v42
	;;#ASMEND
	;;#ASMSTART
	v_dot2_f32_f16 v42, v57, v69, v42
	;;#ASMEND
	;;#ASMSTART
	v_dot2_f32_f16 v42, v58, v70, v42
	;;#ASMEND
	s_wait_dscnt 0x1
	;;#ASMSTART
	v_dot2_f32_f16 v43, v55, v71, v43
	;;#ASMEND
	;;#ASMSTART
	v_dot2_f32_f16 v43, v56, v72, v43
	;;#ASMEND
	;;#ASMSTART
	v_dot2_f32_f16 v43, v57, v73, v43
	;;#ASMEND
	;;#ASMSTART
	v_dot2_f32_f16 v43, v58, v74, v43
	;;#ASMEND
	s_wait_dscnt 0x0
	;;#ASMSTART
	v_dot2_f32_f16 v45, v75, v59, v45
	;;#ASMEND
	;;#ASMSTART
	v_dot2_f32_f16 v45, v76, v60, v45
	;;#ASMEND
	;;#ASMSTART
	v_dot2_f32_f16 v45, v77, v61, v45
	;;#ASMEND
	;;#ASMSTART
	v_dot2_f32_f16 v45, v78, v62, v45
	;;#ASMEND
	;;#ASMSTART
	v_dot2_f32_f16 v46, v75, v63, v46
	;;#ASMEND
	;;#ASMSTART
	v_dot2_f32_f16 v46, v76, v64, v46
	;;#ASMEND
	;; [unrolled: 3-line block ×12, first 2 shown]
	ds_load_b128 v[55:58], v173 offset:160
	ds_load_b128 v[59:62], v172 offset:160
	;; [unrolled: 1-line block ×6, first 2 shown]
	s_wait_dscnt 0x4
	;;#ASMSTART
	v_dot2_f32_f16 v40, v55, v59, v40
	;;#ASMEND
	;;#ASMSTART
	v_dot2_f32_f16 v40, v56, v60, v40
	;;#ASMEND
	;;#ASMSTART
	v_dot2_f32_f16 v40, v57, v61, v40
	;;#ASMEND
	;;#ASMSTART
	v_dot2_f32_f16 v40, v58, v62, v40
	;;#ASMEND
	s_wait_dscnt 0x3
	;;#ASMSTART
	v_dot2_f32_f16 v41, v55, v63, v41
	;;#ASMEND
	;;#ASMSTART
	v_dot2_f32_f16 v41, v56, v64, v41
	;;#ASMEND
	;;#ASMSTART
	v_dot2_f32_f16 v41, v57, v65, v41
	;;#ASMEND
	;;#ASMSTART
	v_dot2_f32_f16 v41, v58, v66, v41
	;;#ASMEND
	;; [unrolled: 13-line block ×5, first 2 shown]
	;;#ASMSTART
	v_dot2_f32_f16 v46, v75, v63, v46
	;;#ASMEND
	;;#ASMSTART
	v_dot2_f32_f16 v46, v76, v64, v46
	;;#ASMEND
	;; [unrolled: 3-line block ×12, first 2 shown]
	ds_load_b128 v[55:58], v173 offset:176
	ds_load_b128 v[59:62], v172 offset:176
	;; [unrolled: 1-line block ×6, first 2 shown]
	s_wait_dscnt 0x4
	;;#ASMSTART
	v_dot2_f32_f16 v40, v55, v59, v40
	;;#ASMEND
	;;#ASMSTART
	v_dot2_f32_f16 v40, v56, v60, v40
	;;#ASMEND
	;;#ASMSTART
	v_dot2_f32_f16 v40, v57, v61, v40
	;;#ASMEND
	;;#ASMSTART
	v_dot2_f32_f16 v40, v58, v62, v40
	;;#ASMEND
	s_wait_dscnt 0x3
	;;#ASMSTART
	v_dot2_f32_f16 v41, v55, v63, v41
	;;#ASMEND
	;;#ASMSTART
	v_dot2_f32_f16 v41, v56, v64, v41
	;;#ASMEND
	;;#ASMSTART
	v_dot2_f32_f16 v41, v57, v65, v41
	;;#ASMEND
	;;#ASMSTART
	v_dot2_f32_f16 v41, v58, v66, v41
	;;#ASMEND
	;; [unrolled: 13-line block ×5, first 2 shown]
	;;#ASMSTART
	v_dot2_f32_f16 v46, v75, v63, v46
	;;#ASMEND
	;;#ASMSTART
	v_dot2_f32_f16 v46, v76, v64, v46
	;;#ASMEND
	;; [unrolled: 3-line block ×12, first 2 shown]
	ds_load_b128 v[55:58], v173 offset:192
	ds_load_b128 v[59:62], v172 offset:192
	;; [unrolled: 1-line block ×6, first 2 shown]
	s_wait_dscnt 0x4
	;;#ASMSTART
	v_dot2_f32_f16 v40, v55, v59, v40
	;;#ASMEND
	;;#ASMSTART
	v_dot2_f32_f16 v40, v56, v60, v40
	;;#ASMEND
	;;#ASMSTART
	v_dot2_f32_f16 v40, v57, v61, v40
	;;#ASMEND
	;;#ASMSTART
	v_dot2_f32_f16 v40, v58, v62, v40
	;;#ASMEND
	s_wait_dscnt 0x3
	;;#ASMSTART
	v_dot2_f32_f16 v41, v55, v63, v41
	;;#ASMEND
	;;#ASMSTART
	v_dot2_f32_f16 v41, v56, v64, v41
	;;#ASMEND
	;;#ASMSTART
	v_dot2_f32_f16 v41, v57, v65, v41
	;;#ASMEND
	;;#ASMSTART
	v_dot2_f32_f16 v41, v58, v66, v41
	;;#ASMEND
	;; [unrolled: 13-line block ×5, first 2 shown]
	;;#ASMSTART
	v_dot2_f32_f16 v46, v75, v63, v46
	;;#ASMEND
	;;#ASMSTART
	v_dot2_f32_f16 v46, v76, v64, v46
	;;#ASMEND
	;; [unrolled: 3-line block ×12, first 2 shown]
	ds_load_b128 v[55:58], v173 offset:208
	ds_load_b128 v[59:62], v172 offset:208
	;; [unrolled: 1-line block ×6, first 2 shown]
	s_wait_dscnt 0x4
	;;#ASMSTART
	v_dot2_f32_f16 v40, v55, v59, v40
	;;#ASMEND
	;;#ASMSTART
	v_dot2_f32_f16 v40, v56, v60, v40
	;;#ASMEND
	;;#ASMSTART
	v_dot2_f32_f16 v40, v57, v61, v40
	;;#ASMEND
	;;#ASMSTART
	v_dot2_f32_f16 v40, v58, v62, v40
	;;#ASMEND
	s_wait_dscnt 0x3
	;;#ASMSTART
	v_dot2_f32_f16 v41, v55, v63, v41
	;;#ASMEND
	;;#ASMSTART
	v_dot2_f32_f16 v41, v56, v64, v41
	;;#ASMEND
	;;#ASMSTART
	v_dot2_f32_f16 v41, v57, v65, v41
	;;#ASMEND
	;;#ASMSTART
	v_dot2_f32_f16 v41, v58, v66, v41
	;;#ASMEND
	;; [unrolled: 13-line block ×5, first 2 shown]
	;;#ASMSTART
	v_dot2_f32_f16 v46, v75, v63, v46
	;;#ASMEND
	;;#ASMSTART
	v_dot2_f32_f16 v46, v76, v64, v46
	;;#ASMEND
	;; [unrolled: 3-line block ×12, first 2 shown]
	ds_load_b128 v[55:58], v173 offset:224
	ds_load_b128 v[59:62], v172 offset:224
	;; [unrolled: 1-line block ×6, first 2 shown]
	s_wait_dscnt 0x4
	;;#ASMSTART
	v_dot2_f32_f16 v40, v55, v59, v40
	;;#ASMEND
	;;#ASMSTART
	v_dot2_f32_f16 v40, v56, v60, v40
	;;#ASMEND
	;;#ASMSTART
	v_dot2_f32_f16 v40, v57, v61, v40
	;;#ASMEND
	;;#ASMSTART
	v_dot2_f32_f16 v40, v58, v62, v40
	;;#ASMEND
	s_wait_dscnt 0x3
	;;#ASMSTART
	v_dot2_f32_f16 v41, v55, v63, v41
	;;#ASMEND
	;;#ASMSTART
	v_dot2_f32_f16 v41, v56, v64, v41
	;;#ASMEND
	;;#ASMSTART
	v_dot2_f32_f16 v41, v57, v65, v41
	;;#ASMEND
	;;#ASMSTART
	v_dot2_f32_f16 v41, v58, v66, v41
	;;#ASMEND
	;; [unrolled: 13-line block ×5, first 2 shown]
	;;#ASMSTART
	v_dot2_f32_f16 v46, v75, v63, v46
	;;#ASMEND
	;;#ASMSTART
	v_dot2_f32_f16 v46, v76, v64, v46
	;;#ASMEND
	;; [unrolled: 3-line block ×12, first 2 shown]
	ds_load_b128 v[55:58], v173 offset:240
	ds_load_b128 v[59:62], v172 offset:240
	ds_load_b128 v[63:66], v172 offset:752
	ds_load_b128 v[67:70], v172 offset:1264
	ds_load_b128 v[71:74], v172 offset:1776
	ds_load_b128 v[75:78], v173 offset:8944
	s_wait_dscnt 0x4
	;;#ASMSTART
	v_dot2_f32_f16 v40, v55, v59, v40
	;;#ASMEND
	;;#ASMSTART
	v_dot2_f32_f16 v40, v56, v60, v40
	;;#ASMEND
	;;#ASMSTART
	v_dot2_f32_f16 v40, v57, v61, v40
	;;#ASMEND
	;;#ASMSTART
	v_dot2_f32_f16 v40, v58, v62, v40
	;;#ASMEND
	s_wait_dscnt 0x3
	;;#ASMSTART
	v_dot2_f32_f16 v41, v55, v63, v41
	;;#ASMEND
	;;#ASMSTART
	v_dot2_f32_f16 v41, v56, v64, v41
	;;#ASMEND
	;;#ASMSTART
	v_dot2_f32_f16 v41, v57, v65, v41
	;;#ASMEND
	;;#ASMSTART
	v_dot2_f32_f16 v41, v58, v66, v41
	;;#ASMEND
	;; [unrolled: 13-line block ×5, first 2 shown]
	;;#ASMSTART
	v_dot2_f32_f16 v46, v75, v63, v46
	;;#ASMEND
	;;#ASMSTART
	v_dot2_f32_f16 v46, v76, v64, v46
	;;#ASMEND
	;; [unrolled: 3-line block ×12, first 2 shown]
	s_wait_loadcnt 0x0
	s_barrier_signal -1
	s_barrier_wait -1
	global_inv scope:SCOPE_SE
	s_clause 0x3
	global_load_b128 v[55:58], v[10:11], off offset:256
	global_load_b128 v[10:13], v[12:13], off offset:256
	;; [unrolled: 1-line block ×4, first 2 shown]
	s_wait_loadcnt 0x3
	ds_store_b128 v168, v[55:58]
	s_wait_loadcnt 0x2
	ds_store_b128 v169, v[10:13]
	s_wait_loadcnt 0x1
	ds_store_b128 v170, v[59:62]
	s_wait_loadcnt 0x0
	ds_store_b128 v171, v[14:17]
	s_wait_dscnt 0x0
	s_barrier_signal -1
	s_barrier_wait -1
	global_inv scope:SCOPE_SE
	ds_load_b128 v[10:13], v173
	ds_load_b128 v[14:17], v172 offset:256
	ds_load_b128 v[55:58], v172 offset:768
	ds_load_b128 v[59:62], v172 offset:1280
	ds_load_b128 v[63:66], v172 offset:1792
	ds_load_b128 v[67:70], v173 offset:8704
	s_wait_dscnt 0x4
	;;#ASMSTART
	v_dot2_f32_f16 v40, v10, v14, v40
	;;#ASMEND
	;;#ASMSTART
	v_dot2_f32_f16 v40, v11, v15, v40
	;;#ASMEND
	;;#ASMSTART
	v_dot2_f32_f16 v40, v12, v16, v40
	;;#ASMEND
	;;#ASMSTART
	v_dot2_f32_f16 v40, v13, v17, v40
	;;#ASMEND
	s_wait_dscnt 0x3
	;;#ASMSTART
	v_dot2_f32_f16 v41, v10, v55, v41
	;;#ASMEND
	;;#ASMSTART
	v_dot2_f32_f16 v41, v11, v56, v41
	;;#ASMEND
	;;#ASMSTART
	v_dot2_f32_f16 v41, v12, v57, v41
	;;#ASMEND
	;;#ASMSTART
	v_dot2_f32_f16 v41, v13, v58, v41
	;;#ASMEND
	;; [unrolled: 13-line block ×5, first 2 shown]
	;;#ASMSTART
	v_dot2_f32_f16 v46, v67, v55, v46
	;;#ASMEND
	;;#ASMSTART
	v_dot2_f32_f16 v46, v68, v56, v46
	;;#ASMEND
	;;#ASMSTART
	v_dot2_f32_f16 v46, v69, v57, v46
	;;#ASMEND
	;;#ASMSTART
	v_dot2_f32_f16 v46, v70, v58, v46
	;;#ASMEND
	;;#ASMSTART
	v_dot2_f32_f16 v47, v67, v59, v47
	;;#ASMEND
	;;#ASMSTART
	v_dot2_f32_f16 v47, v68, v60, v47
	;;#ASMEND
	;;#ASMSTART
	v_dot2_f32_f16 v47, v69, v61, v47
	;;#ASMEND
	;;#ASMSTART
	v_dot2_f32_f16 v47, v70, v62, v47
	;;#ASMEND
	;;#ASMSTART
	v_dot2_f32_f16 v48, v67, v63, v48
	;;#ASMEND
	;;#ASMSTART
	v_dot2_f32_f16 v48, v68, v64, v48
	;;#ASMEND
	;;#ASMSTART
	v_dot2_f32_f16 v48, v69, v65, v48
	;;#ASMEND
	;;#ASMSTART
	v_dot2_f32_f16 v48, v70, v66, v48
	;;#ASMEND
	ds_load_b128 v[10:13], v173 offset:16
	ds_load_b128 v[14:17], v172 offset:272
	;; [unrolled: 1-line block ×6, first 2 shown]
	s_wait_dscnt 0x4
	;;#ASMSTART
	v_dot2_f32_f16 v40, v10, v14, v40
	;;#ASMEND
	;;#ASMSTART
	v_dot2_f32_f16 v40, v11, v15, v40
	;;#ASMEND
	;;#ASMSTART
	v_dot2_f32_f16 v40, v12, v16, v40
	;;#ASMEND
	;;#ASMSTART
	v_dot2_f32_f16 v40, v13, v17, v40
	;;#ASMEND
	s_wait_dscnt 0x3
	;;#ASMSTART
	v_dot2_f32_f16 v41, v10, v55, v41
	;;#ASMEND
	;;#ASMSTART
	v_dot2_f32_f16 v41, v11, v56, v41
	;;#ASMEND
	;;#ASMSTART
	v_dot2_f32_f16 v41, v12, v57, v41
	;;#ASMEND
	;;#ASMSTART
	v_dot2_f32_f16 v41, v13, v58, v41
	;;#ASMEND
	;; [unrolled: 13-line block ×5, first 2 shown]
	;;#ASMSTART
	v_dot2_f32_f16 v46, v67, v55, v46
	;;#ASMEND
	;;#ASMSTART
	v_dot2_f32_f16 v46, v68, v56, v46
	;;#ASMEND
	;; [unrolled: 3-line block ×12, first 2 shown]
	ds_load_b128 v[10:13], v173 offset:32
	ds_load_b128 v[14:17], v172 offset:288
	;; [unrolled: 1-line block ×6, first 2 shown]
	s_wait_dscnt 0x4
	;;#ASMSTART
	v_dot2_f32_f16 v40, v10, v14, v40
	;;#ASMEND
	;;#ASMSTART
	v_dot2_f32_f16 v40, v11, v15, v40
	;;#ASMEND
	;;#ASMSTART
	v_dot2_f32_f16 v40, v12, v16, v40
	;;#ASMEND
	;;#ASMSTART
	v_dot2_f32_f16 v40, v13, v17, v40
	;;#ASMEND
	s_wait_dscnt 0x3
	;;#ASMSTART
	v_dot2_f32_f16 v41, v10, v55, v41
	;;#ASMEND
	;;#ASMSTART
	v_dot2_f32_f16 v41, v11, v56, v41
	;;#ASMEND
	;;#ASMSTART
	v_dot2_f32_f16 v41, v12, v57, v41
	;;#ASMEND
	;;#ASMSTART
	v_dot2_f32_f16 v41, v13, v58, v41
	;;#ASMEND
	;; [unrolled: 13-line block ×5, first 2 shown]
	;;#ASMSTART
	v_dot2_f32_f16 v46, v67, v55, v46
	;;#ASMEND
	;;#ASMSTART
	v_dot2_f32_f16 v46, v68, v56, v46
	;;#ASMEND
	;; [unrolled: 3-line block ×12, first 2 shown]
	ds_load_b128 v[10:13], v173 offset:48
	ds_load_b128 v[14:17], v172 offset:304
	;; [unrolled: 1-line block ×6, first 2 shown]
	s_wait_dscnt 0x4
	;;#ASMSTART
	v_dot2_f32_f16 v40, v10, v14, v40
	;;#ASMEND
	;;#ASMSTART
	v_dot2_f32_f16 v40, v11, v15, v40
	;;#ASMEND
	;;#ASMSTART
	v_dot2_f32_f16 v40, v12, v16, v40
	;;#ASMEND
	;;#ASMSTART
	v_dot2_f32_f16 v40, v13, v17, v40
	;;#ASMEND
	s_wait_dscnt 0x3
	;;#ASMSTART
	v_dot2_f32_f16 v41, v10, v55, v41
	;;#ASMEND
	;;#ASMSTART
	v_dot2_f32_f16 v41, v11, v56, v41
	;;#ASMEND
	;;#ASMSTART
	v_dot2_f32_f16 v41, v12, v57, v41
	;;#ASMEND
	;;#ASMSTART
	v_dot2_f32_f16 v41, v13, v58, v41
	;;#ASMEND
	;; [unrolled: 13-line block ×5, first 2 shown]
	;;#ASMSTART
	v_dot2_f32_f16 v46, v67, v55, v46
	;;#ASMEND
	;;#ASMSTART
	v_dot2_f32_f16 v46, v68, v56, v46
	;;#ASMEND
	;;#ASMSTART
	v_dot2_f32_f16 v46, v69, v57, v46
	;;#ASMEND
	;;#ASMSTART
	v_dot2_f32_f16 v46, v70, v58, v46
	;;#ASMEND
	;;#ASMSTART
	v_dot2_f32_f16 v47, v67, v59, v47
	;;#ASMEND
	;;#ASMSTART
	v_dot2_f32_f16 v47, v68, v60, v47
	;;#ASMEND
	;;#ASMSTART
	v_dot2_f32_f16 v47, v69, v61, v47
	;;#ASMEND
	;;#ASMSTART
	v_dot2_f32_f16 v47, v70, v62, v47
	;;#ASMEND
	;;#ASMSTART
	v_dot2_f32_f16 v48, v67, v63, v48
	;;#ASMEND
	;;#ASMSTART
	v_dot2_f32_f16 v48, v68, v64, v48
	;;#ASMEND
	;;#ASMSTART
	v_dot2_f32_f16 v48, v69, v65, v48
	;;#ASMEND
	;;#ASMSTART
	v_dot2_f32_f16 v48, v70, v66, v48
	;;#ASMEND
	ds_load_b128 v[10:13], v173 offset:64
	ds_load_b128 v[14:17], v172 offset:320
	;; [unrolled: 1-line block ×6, first 2 shown]
	s_wait_dscnt 0x4
	;;#ASMSTART
	v_dot2_f32_f16 v40, v10, v14, v40
	;;#ASMEND
	;;#ASMSTART
	v_dot2_f32_f16 v40, v11, v15, v40
	;;#ASMEND
	;;#ASMSTART
	v_dot2_f32_f16 v40, v12, v16, v40
	;;#ASMEND
	;;#ASMSTART
	v_dot2_f32_f16 v40, v13, v17, v40
	;;#ASMEND
	s_wait_dscnt 0x3
	;;#ASMSTART
	v_dot2_f32_f16 v41, v10, v55, v41
	;;#ASMEND
	;;#ASMSTART
	v_dot2_f32_f16 v41, v11, v56, v41
	;;#ASMEND
	;;#ASMSTART
	v_dot2_f32_f16 v41, v12, v57, v41
	;;#ASMEND
	;;#ASMSTART
	v_dot2_f32_f16 v41, v13, v58, v41
	;;#ASMEND
	;; [unrolled: 13-line block ×5, first 2 shown]
	;;#ASMSTART
	v_dot2_f32_f16 v46, v67, v55, v46
	;;#ASMEND
	;;#ASMSTART
	v_dot2_f32_f16 v46, v68, v56, v46
	;;#ASMEND
	;; [unrolled: 3-line block ×12, first 2 shown]
	ds_load_b128 v[10:13], v173 offset:80
	ds_load_b128 v[14:17], v172 offset:336
	;; [unrolled: 1-line block ×6, first 2 shown]
	s_wait_dscnt 0x4
	;;#ASMSTART
	v_dot2_f32_f16 v40, v10, v14, v40
	;;#ASMEND
	;;#ASMSTART
	v_dot2_f32_f16 v40, v11, v15, v40
	;;#ASMEND
	;;#ASMSTART
	v_dot2_f32_f16 v40, v12, v16, v40
	;;#ASMEND
	;;#ASMSTART
	v_dot2_f32_f16 v40, v13, v17, v40
	;;#ASMEND
	s_wait_dscnt 0x3
	;;#ASMSTART
	v_dot2_f32_f16 v41, v10, v55, v41
	;;#ASMEND
	;;#ASMSTART
	v_dot2_f32_f16 v41, v11, v56, v41
	;;#ASMEND
	;;#ASMSTART
	v_dot2_f32_f16 v41, v12, v57, v41
	;;#ASMEND
	;;#ASMSTART
	v_dot2_f32_f16 v41, v13, v58, v41
	;;#ASMEND
	;; [unrolled: 13-line block ×5, first 2 shown]
	;;#ASMSTART
	v_dot2_f32_f16 v46, v67, v55, v46
	;;#ASMEND
	;;#ASMSTART
	v_dot2_f32_f16 v46, v68, v56, v46
	;;#ASMEND
	;; [unrolled: 3-line block ×12, first 2 shown]
	ds_load_b128 v[10:13], v173 offset:96
	ds_load_b128 v[14:17], v172 offset:352
	ds_load_b128 v[55:58], v172 offset:864
	ds_load_b128 v[59:62], v172 offset:1376
	ds_load_b128 v[63:66], v172 offset:1888
	ds_load_b128 v[67:70], v173 offset:8800
	s_wait_dscnt 0x4
	;;#ASMSTART
	v_dot2_f32_f16 v40, v10, v14, v40
	;;#ASMEND
	;;#ASMSTART
	v_dot2_f32_f16 v40, v11, v15, v40
	;;#ASMEND
	;;#ASMSTART
	v_dot2_f32_f16 v40, v12, v16, v40
	;;#ASMEND
	;;#ASMSTART
	v_dot2_f32_f16 v40, v13, v17, v40
	;;#ASMEND
	s_wait_dscnt 0x3
	;;#ASMSTART
	v_dot2_f32_f16 v41, v10, v55, v41
	;;#ASMEND
	;;#ASMSTART
	v_dot2_f32_f16 v41, v11, v56, v41
	;;#ASMEND
	;;#ASMSTART
	v_dot2_f32_f16 v41, v12, v57, v41
	;;#ASMEND
	;;#ASMSTART
	v_dot2_f32_f16 v41, v13, v58, v41
	;;#ASMEND
	;; [unrolled: 13-line block ×5, first 2 shown]
	;;#ASMSTART
	v_dot2_f32_f16 v46, v67, v55, v46
	;;#ASMEND
	;;#ASMSTART
	v_dot2_f32_f16 v46, v68, v56, v46
	;;#ASMEND
	;; [unrolled: 3-line block ×12, first 2 shown]
	ds_load_b128 v[10:13], v173 offset:112
	ds_load_b128 v[14:17], v172 offset:368
	;; [unrolled: 1-line block ×6, first 2 shown]
	s_wait_dscnt 0x4
	;;#ASMSTART
	v_dot2_f32_f16 v40, v10, v14, v40
	;;#ASMEND
	;;#ASMSTART
	v_dot2_f32_f16 v40, v11, v15, v40
	;;#ASMEND
	;;#ASMSTART
	v_dot2_f32_f16 v40, v12, v16, v40
	;;#ASMEND
	;;#ASMSTART
	v_dot2_f32_f16 v40, v13, v17, v40
	;;#ASMEND
	s_wait_dscnt 0x3
	;;#ASMSTART
	v_dot2_f32_f16 v41, v10, v55, v41
	;;#ASMEND
	;;#ASMSTART
	v_dot2_f32_f16 v41, v11, v56, v41
	;;#ASMEND
	;;#ASMSTART
	v_dot2_f32_f16 v41, v12, v57, v41
	;;#ASMEND
	;;#ASMSTART
	v_dot2_f32_f16 v41, v13, v58, v41
	;;#ASMEND
	;; [unrolled: 13-line block ×5, first 2 shown]
	;;#ASMSTART
	v_dot2_f32_f16 v46, v67, v55, v46
	;;#ASMEND
	;;#ASMSTART
	v_dot2_f32_f16 v46, v68, v56, v46
	;;#ASMEND
	;; [unrolled: 3-line block ×12, first 2 shown]
	ds_load_b128 v[10:13], v173 offset:128
	ds_load_b128 v[14:17], v172 offset:384
	;; [unrolled: 1-line block ×6, first 2 shown]
	s_wait_dscnt 0x4
	;;#ASMSTART
	v_dot2_f32_f16 v40, v10, v14, v40
	;;#ASMEND
	;;#ASMSTART
	v_dot2_f32_f16 v40, v11, v15, v40
	;;#ASMEND
	;;#ASMSTART
	v_dot2_f32_f16 v40, v12, v16, v40
	;;#ASMEND
	;;#ASMSTART
	v_dot2_f32_f16 v40, v13, v17, v40
	;;#ASMEND
	s_wait_dscnt 0x3
	;;#ASMSTART
	v_dot2_f32_f16 v41, v10, v55, v41
	;;#ASMEND
	;;#ASMSTART
	v_dot2_f32_f16 v41, v11, v56, v41
	;;#ASMEND
	;;#ASMSTART
	v_dot2_f32_f16 v41, v12, v57, v41
	;;#ASMEND
	;;#ASMSTART
	v_dot2_f32_f16 v41, v13, v58, v41
	;;#ASMEND
	;; [unrolled: 13-line block ×5, first 2 shown]
	;;#ASMSTART
	v_dot2_f32_f16 v46, v67, v55, v46
	;;#ASMEND
	;;#ASMSTART
	v_dot2_f32_f16 v46, v68, v56, v46
	;;#ASMEND
	;; [unrolled: 3-line block ×12, first 2 shown]
	ds_load_b128 v[10:13], v173 offset:144
	ds_load_b128 v[14:17], v172 offset:400
	;; [unrolled: 1-line block ×6, first 2 shown]
	s_wait_dscnt 0x4
	;;#ASMSTART
	v_dot2_f32_f16 v40, v10, v14, v40
	;;#ASMEND
	;;#ASMSTART
	v_dot2_f32_f16 v40, v11, v15, v40
	;;#ASMEND
	;;#ASMSTART
	v_dot2_f32_f16 v40, v12, v16, v40
	;;#ASMEND
	;;#ASMSTART
	v_dot2_f32_f16 v40, v13, v17, v40
	;;#ASMEND
	s_wait_dscnt 0x3
	;;#ASMSTART
	v_dot2_f32_f16 v41, v10, v55, v41
	;;#ASMEND
	;;#ASMSTART
	v_dot2_f32_f16 v41, v11, v56, v41
	;;#ASMEND
	;;#ASMSTART
	v_dot2_f32_f16 v41, v12, v57, v41
	;;#ASMEND
	;;#ASMSTART
	v_dot2_f32_f16 v41, v13, v58, v41
	;;#ASMEND
	;; [unrolled: 13-line block ×5, first 2 shown]
	;;#ASMSTART
	v_dot2_f32_f16 v46, v67, v55, v46
	;;#ASMEND
	;;#ASMSTART
	v_dot2_f32_f16 v46, v68, v56, v46
	;;#ASMEND
	;; [unrolled: 3-line block ×12, first 2 shown]
	ds_load_b128 v[10:13], v173 offset:160
	ds_load_b128 v[14:17], v172 offset:416
	;; [unrolled: 1-line block ×6, first 2 shown]
	s_wait_dscnt 0x4
	;;#ASMSTART
	v_dot2_f32_f16 v40, v10, v14, v40
	;;#ASMEND
	;;#ASMSTART
	v_dot2_f32_f16 v40, v11, v15, v40
	;;#ASMEND
	;;#ASMSTART
	v_dot2_f32_f16 v40, v12, v16, v40
	;;#ASMEND
	;;#ASMSTART
	v_dot2_f32_f16 v40, v13, v17, v40
	;;#ASMEND
	s_wait_dscnt 0x3
	;;#ASMSTART
	v_dot2_f32_f16 v41, v10, v55, v41
	;;#ASMEND
	;;#ASMSTART
	v_dot2_f32_f16 v41, v11, v56, v41
	;;#ASMEND
	;;#ASMSTART
	v_dot2_f32_f16 v41, v12, v57, v41
	;;#ASMEND
	;;#ASMSTART
	v_dot2_f32_f16 v41, v13, v58, v41
	;;#ASMEND
	;; [unrolled: 13-line block ×5, first 2 shown]
	;;#ASMSTART
	v_dot2_f32_f16 v46, v67, v55, v46
	;;#ASMEND
	;;#ASMSTART
	v_dot2_f32_f16 v46, v68, v56, v46
	;;#ASMEND
	;; [unrolled: 3-line block ×12, first 2 shown]
	ds_load_b128 v[10:13], v173 offset:176
	ds_load_b128 v[14:17], v172 offset:432
	;; [unrolled: 1-line block ×6, first 2 shown]
	s_wait_dscnt 0x4
	;;#ASMSTART
	v_dot2_f32_f16 v40, v10, v14, v40
	;;#ASMEND
	;;#ASMSTART
	v_dot2_f32_f16 v40, v11, v15, v40
	;;#ASMEND
	;;#ASMSTART
	v_dot2_f32_f16 v40, v12, v16, v40
	;;#ASMEND
	;;#ASMSTART
	v_dot2_f32_f16 v40, v13, v17, v40
	;;#ASMEND
	s_wait_dscnt 0x3
	;;#ASMSTART
	v_dot2_f32_f16 v41, v10, v55, v41
	;;#ASMEND
	;;#ASMSTART
	v_dot2_f32_f16 v41, v11, v56, v41
	;;#ASMEND
	;;#ASMSTART
	v_dot2_f32_f16 v41, v12, v57, v41
	;;#ASMEND
	;;#ASMSTART
	v_dot2_f32_f16 v41, v13, v58, v41
	;;#ASMEND
	;; [unrolled: 13-line block ×5, first 2 shown]
	;;#ASMSTART
	v_dot2_f32_f16 v46, v67, v55, v46
	;;#ASMEND
	;;#ASMSTART
	v_dot2_f32_f16 v46, v68, v56, v46
	;;#ASMEND
	;; [unrolled: 3-line block ×12, first 2 shown]
	ds_load_b128 v[10:13], v173 offset:192
	ds_load_b128 v[14:17], v172 offset:448
	;; [unrolled: 1-line block ×6, first 2 shown]
	s_wait_dscnt 0x4
	;;#ASMSTART
	v_dot2_f32_f16 v40, v10, v14, v40
	;;#ASMEND
	;;#ASMSTART
	v_dot2_f32_f16 v40, v11, v15, v40
	;;#ASMEND
	;;#ASMSTART
	v_dot2_f32_f16 v40, v12, v16, v40
	;;#ASMEND
	;;#ASMSTART
	v_dot2_f32_f16 v40, v13, v17, v40
	;;#ASMEND
	s_wait_dscnt 0x3
	;;#ASMSTART
	v_dot2_f32_f16 v41, v10, v55, v41
	;;#ASMEND
	;;#ASMSTART
	v_dot2_f32_f16 v41, v11, v56, v41
	;;#ASMEND
	;;#ASMSTART
	v_dot2_f32_f16 v41, v12, v57, v41
	;;#ASMEND
	;;#ASMSTART
	v_dot2_f32_f16 v41, v13, v58, v41
	;;#ASMEND
	;; [unrolled: 13-line block ×5, first 2 shown]
	;;#ASMSTART
	v_dot2_f32_f16 v46, v67, v55, v46
	;;#ASMEND
	;;#ASMSTART
	v_dot2_f32_f16 v46, v68, v56, v46
	;;#ASMEND
	;; [unrolled: 3-line block ×12, first 2 shown]
	ds_load_b128 v[10:13], v173 offset:208
	ds_load_b128 v[14:17], v172 offset:464
	ds_load_b128 v[55:58], v172 offset:976
	ds_load_b128 v[59:62], v172 offset:1488
	ds_load_b128 v[63:66], v172 offset:2000
	ds_load_b128 v[67:70], v173 offset:8912
	s_wait_dscnt 0x4
	;;#ASMSTART
	v_dot2_f32_f16 v40, v10, v14, v40
	;;#ASMEND
	;;#ASMSTART
	v_dot2_f32_f16 v40, v11, v15, v40
	;;#ASMEND
	;;#ASMSTART
	v_dot2_f32_f16 v40, v12, v16, v40
	;;#ASMEND
	;;#ASMSTART
	v_dot2_f32_f16 v40, v13, v17, v40
	;;#ASMEND
	s_wait_dscnt 0x3
	;;#ASMSTART
	v_dot2_f32_f16 v41, v10, v55, v41
	;;#ASMEND
	;;#ASMSTART
	v_dot2_f32_f16 v41, v11, v56, v41
	;;#ASMEND
	;;#ASMSTART
	v_dot2_f32_f16 v41, v12, v57, v41
	;;#ASMEND
	;;#ASMSTART
	v_dot2_f32_f16 v41, v13, v58, v41
	;;#ASMEND
	;; [unrolled: 13-line block ×5, first 2 shown]
	;;#ASMSTART
	v_dot2_f32_f16 v46, v67, v55, v46
	;;#ASMEND
	;;#ASMSTART
	v_dot2_f32_f16 v46, v68, v56, v46
	;;#ASMEND
	;; [unrolled: 3-line block ×12, first 2 shown]
	ds_load_b128 v[10:13], v173 offset:224
	ds_load_b128 v[14:17], v172 offset:480
	;; [unrolled: 1-line block ×6, first 2 shown]
	s_wait_dscnt 0x4
	;;#ASMSTART
	v_dot2_f32_f16 v40, v10, v14, v40
	;;#ASMEND
	;;#ASMSTART
	v_dot2_f32_f16 v40, v11, v15, v40
	;;#ASMEND
	;;#ASMSTART
	v_dot2_f32_f16 v40, v12, v16, v40
	;;#ASMEND
	;;#ASMSTART
	v_dot2_f32_f16 v40, v13, v17, v40
	;;#ASMEND
	s_wait_dscnt 0x3
	;;#ASMSTART
	v_dot2_f32_f16 v41, v10, v55, v41
	;;#ASMEND
	;;#ASMSTART
	v_dot2_f32_f16 v41, v11, v56, v41
	;;#ASMEND
	;;#ASMSTART
	v_dot2_f32_f16 v41, v12, v57, v41
	;;#ASMEND
	;;#ASMSTART
	v_dot2_f32_f16 v41, v13, v58, v41
	;;#ASMEND
	;; [unrolled: 13-line block ×5, first 2 shown]
	;;#ASMSTART
	v_dot2_f32_f16 v46, v67, v55, v46
	;;#ASMEND
	;;#ASMSTART
	v_dot2_f32_f16 v46, v68, v56, v46
	;;#ASMEND
	;; [unrolled: 3-line block ×12, first 2 shown]
	ds_load_b128 v[10:13], v173 offset:240
	ds_load_b128 v[14:17], v172 offset:496
	;; [unrolled: 1-line block ×6, first 2 shown]
	s_wait_dscnt 0x4
	;;#ASMSTART
	v_dot2_f32_f16 v40, v10, v14, v40
	;;#ASMEND
	;;#ASMSTART
	v_dot2_f32_f16 v40, v11, v15, v40
	;;#ASMEND
	;;#ASMSTART
	v_dot2_f32_f16 v40, v12, v16, v40
	;;#ASMEND
	;;#ASMSTART
	v_dot2_f32_f16 v40, v13, v17, v40
	;;#ASMEND
	s_wait_dscnt 0x3
	;;#ASMSTART
	v_dot2_f32_f16 v41, v10, v55, v41
	;;#ASMEND
	;;#ASMSTART
	v_dot2_f32_f16 v41, v11, v56, v41
	;;#ASMEND
	;;#ASMSTART
	v_dot2_f32_f16 v41, v12, v57, v41
	;;#ASMEND
	;;#ASMSTART
	v_dot2_f32_f16 v41, v13, v58, v41
	;;#ASMEND
	s_wait_dscnt 0x2
	;;#ASMSTART
	v_dot2_f32_f16 v42, v10, v59, v42
	;;#ASMEND
	;;#ASMSTART
	v_dot2_f32_f16 v42, v11, v60, v42
	;;#ASMEND
	;;#ASMSTART
	v_dot2_f32_f16 v42, v12, v61, v42
	;;#ASMEND
	;;#ASMSTART
	v_dot2_f32_f16 v42, v13, v62, v42
	;;#ASMEND
	s_wait_dscnt 0x1
	;;#ASMSTART
	v_dot2_f32_f16 v43, v10, v63, v43
	;;#ASMEND
	;;#ASMSTART
	v_dot2_f32_f16 v43, v11, v64, v43
	;;#ASMEND
	;;#ASMSTART
	v_dot2_f32_f16 v43, v12, v65, v43
	;;#ASMEND
	;;#ASMSTART
	v_dot2_f32_f16 v43, v13, v66, v43
	;;#ASMEND
	s_wait_dscnt 0x0
	;;#ASMSTART
	v_dot2_f32_f16 v45, v67, v14, v45
	;;#ASMEND
	;;#ASMSTART
	v_dot2_f32_f16 v45, v68, v15, v45
	;;#ASMEND
	;;#ASMSTART
	v_dot2_f32_f16 v45, v69, v16, v45
	;;#ASMEND
	;;#ASMSTART
	v_dot2_f32_f16 v45, v70, v17, v45
	;;#ASMEND
	;;#ASMSTART
	v_dot2_f32_f16 v46, v67, v55, v46
	;;#ASMEND
	;;#ASMSTART
	v_dot2_f32_f16 v46, v68, v56, v46
	;;#ASMEND
	;; [unrolled: 3-line block ×12, first 2 shown]
	s_clause 0x1
	global_load_u16 v55, v[6:7], off
	global_load_u16 v56, v[6:7], off offset:64
	s_wait_loadcnt 0x0
	s_barrier_signal -1
	s_barrier_wait -1
	global_inv scope:SCOPE_SE
	s_clause 0x3
	global_load_b128 v[10:13], v[0:1], off
	global_load_b128 v[0:3], v[2:3], off
	;; [unrolled: 1-line block ×4, first 2 shown]
	s_wait_loadcnt 0x3
	ds_store_b128 v174, v[10:13]
	s_wait_loadcnt 0x2
	ds_store_b128 v176, v[0:3]
	;; [unrolled: 2-line block ×4, first 2 shown]
	v_cvt_f32_f16_e32 v8, v55
	v_cvt_f32_f16_e32 v9, v56
	s_delay_alu instid0(VALU_DEP_1) | instskip(SKIP_2) | instid1(VALU_DEP_3)
	v_dual_add_f32 v4, v40, v8 :: v_dual_add_f32 v5, v45, v9
	v_dual_add_f32 v6, v41, v8 :: v_dual_add_f32 v7, v46, v9
	;; [unrolled: 1-line block ×4, first 2 shown]
	s_delay_alu instid0(VALU_DEP_3) | instskip(NEXT) | instid1(VALU_DEP_3)
	v_dual_add_f32 v0, 0x40051340, v4 :: v_dual_add_f32 v3, 0x40051340, v7
	v_dual_add_f32 v2, 0x40051340, v6 :: v_dual_add_f32 v13, 0x40051340, v11
	s_delay_alu instid0(VALU_DEP_4) | instskip(NEXT) | instid1(VALU_DEP_3)
	v_dual_add_f32 v9, v48, v9 :: v_dual_add_f32 v12, 0x40051340, v10
	v_max3_num_f32 v0, v39, v0, v1
	s_delay_alu instid0(VALU_DEP_3) | instskip(NEXT) | instid1(VALU_DEP_3)
	v_max3_num_f32 v1, v23, v2, v3
	v_add_f32_e32 v15, 0x40051340, v9
	s_delay_alu instid0(VALU_DEP_4) | instskip(SKIP_4) | instid1(VALU_DEP_1)
	v_max3_num_f32 v2, v22, v12, v13
	ds_bpermute_b32 v12, v54, v0
	ds_bpermute_b32 v13, v54, v1
	s_wait_dscnt 0x0
	v_dual_add_f32 v14, 0x40051340, v8 :: v_dual_max_num_f32 v13, v13, v13
	v_max3_num_f32 v3, v21, v14, v15
	ds_bpermute_b32 v14, v54, v2
	v_max_num_f32_e32 v1, v1, v13
	ds_bpermute_b32 v15, v54, v3
	v_max_num_f32_e32 v12, v12, v12
	ds_bpermute_b32 v13, v53, v1
	s_wait_dscnt 0x1
	v_dual_max_num_f32 v14, v14, v14 :: v_dual_max_num_f32 v15, v15, v15
	s_delay_alu instid0(VALU_DEP_1) | instskip(SKIP_2) | instid1(VALU_DEP_3)
	v_max_num_f32_e32 v2, v2, v14
	s_wait_dscnt 0x0
	v_dual_max_num_f32 v0, v0, v12 :: v_dual_max_num_f32 v13, v13, v13
	v_max_num_f32_e32 v3, v3, v15
	ds_bpermute_b32 v14, v53, v2
	ds_bpermute_b32 v12, v53, v0
	v_max_num_f32_e32 v1, v1, v13
	ds_bpermute_b32 v15, v53, v3
	ds_bpermute_b32 v13, v52, v1
	s_wait_dscnt 0x3
	v_max_num_f32_e32 v14, v14, v14
	s_wait_dscnt 0x1
	v_dual_max_num_f32 v12, v12, v12 :: v_dual_max_num_f32 v15, v15, v15
	s_delay_alu instid0(VALU_DEP_2) | instskip(SKIP_1) | instid1(VALU_DEP_2)
	v_max_num_f32_e32 v2, v2, v14
	s_wait_dscnt 0x0
	v_dual_max_num_f32 v0, v0, v12 :: v_dual_max_num_f32 v13, v13, v13
	s_delay_alu instid0(VALU_DEP_3)
	v_max_num_f32_e32 v3, v3, v15
	ds_bpermute_b32 v14, v52, v2
	ds_bpermute_b32 v12, v52, v0
	v_max_num_f32_e32 v1, v1, v13
	ds_bpermute_b32 v15, v52, v3
	ds_bpermute_b32 v13, v51, v1
	s_wait_dscnt 0x3
	v_max_num_f32_e32 v14, v14, v14
	s_wait_dscnt 0x1
	v_dual_max_num_f32 v12, v12, v12 :: v_dual_max_num_f32 v15, v15, v15
	s_delay_alu instid0(VALU_DEP_2) | instskip(SKIP_1) | instid1(VALU_DEP_2)
	v_max_num_f32_e32 v2, v2, v14
	s_wait_dscnt 0x0
	v_dual_max_num_f32 v0, v0, v12 :: v_dual_max_num_f32 v13, v13, v13
	s_delay_alu instid0(VALU_DEP_3)
	;; [unrolled: 15-line block ×3, first 2 shown]
	v_max_num_f32_e32 v3, v3, v15
	ds_bpermute_b32 v14, v50, v2
	ds_bpermute_b32 v12, v50, v0
	v_max_num_f32_e32 v1, v1, v13
	ds_bpermute_b32 v15, v50, v3
	v_sub_f32_e32 v13, v23, v1
	s_delay_alu instid0(VALU_DEP_1)
	v_cmp_ngt_f32_e64 s5, 0xc2ce8ed0, v13
	v_cmp_nlt_f32_e64 s17, 0x42b17218, v13
	s_wait_dscnt 0x2
	v_max_num_f32_e32 v14, v14, v14
	s_wait_dscnt 0x0
	v_dual_max_num_f32 v12, v12, v12 :: v_dual_max_num_f32 v15, v15, v15
	s_delay_alu instid0(VALU_DEP_1) | instskip(NEXT) | instid1(VALU_DEP_1)
	v_dual_max_num_f32 v0, v0, v12 :: v_dual_max_num_f32 v3, v3, v15
	v_dual_max_num_f32 v2, v2, v14 :: v_dual_sub_f32 v5, v5, v0
	v_sub_f32_e32 v12, v39, v0
	v_sub_f32_e32 v4, v4, v0
	s_delay_alu instid0(VALU_DEP_3) | instskip(SKIP_4) | instid1(VALU_DEP_4)
	v_dual_sub_f32 v6, v6, v1 :: v_dual_sub_f32 v11, v11, v2
	v_dual_sub_f32 v7, v7, v1 :: v_dual_sub_f32 v14, v22, v2
	;; [unrolled: 1-line block ×3, first 2 shown]
	v_sub_f32_e32 v15, v21, v3
	v_dual_sub_f32 v8, v8, v3 :: v_dual_mul_f32 v17, 0x3fb8aa3b, v5
	v_dual_mul_f32 v16, 0x3fb8aa3b, v4 :: v_dual_mul_f32 v23, 0x3fb8aa3b, v7
	v_dual_mul_f32 v21, 0x3fb8aa3b, v12 :: v_dual_mul_f32 v22, 0x3fb8aa3b, v6
	;; [unrolled: 1-line block ×3, first 2 shown]
	s_delay_alu instid0(VALU_DEP_3)
	v_fma_f32 v47, 0x3fb8aa3b, v4, -v16
	v_fma_f32 v50, 0x3fb8aa3b, v5, -v17
	v_rndne_f32_e32 v51, v17
	v_fma_f32 v52, 0x3fb8aa3b, v12, -v21
	v_fma_f32 v54, 0x3fb8aa3b, v6, -v22
	;; [unrolled: 1-line block ×3, first 2 shown]
	v_rndne_f32_e32 v57, v23
	v_dual_mul_f32 v43, 0x3fb8aa3b, v8 :: v_dual_mul_f32 v46, 0x3fb8aa3b, v15
	v_cmp_ngt_f32_e32 vcc_lo, 0xc2ce8ed0, v5
	v_cmp_ngt_f32_e64 s4, 0xc2ce8ed0, v7
	v_cmp_nlt_f32_e64 s13, 0x42b17218, v5
	v_cmp_nlt_f32_e64 s16, 0x42b17218, v7
	v_fma_f32 v60, 0x3fb8aa3b, v10, -v40
	v_rndne_f32_e32 v61, v40
	v_dual_fmac_f32 v47, 0x32a5705f, v4 :: v_dual_fmac_f32 v50, 0x32a5705f, v5
	v_dual_sub_f32 v5, v17, v51 :: v_dual_fmac_f32 v52, 0x32a5705f, v12
	v_fmac_f32_e32 v54, 0x32a5705f, v6
	v_dual_fmac_f32 v56, 0x32a5705f, v7 :: v_dual_sub_f32 v7, v23, v57
	v_cmp_ngt_f32_e64 s6, 0xc2ce8ed0, v10
	v_cmp_nlt_f32_e64 s18, 0x42b17218, v10
	v_rndne_f32_e32 v71, v46
	v_fmac_f32_e32 v60, 0x32a5705f, v10
	v_dual_add_f32 v5, v5, v50 :: v_dual_sub_f32 v10, v40, v61
	v_add_f32_e32 v7, v7, v56
	v_cvt_i32_f32_e32 v23, v57
	v_rndne_f32_e32 v48, v16
	v_mul_f32_e32 v45, 0x3fb8aa3b, v9
	v_rndne_f32_e32 v55, v22
	v_exp_f32_e32 v7, v7
	v_cmp_ngt_f32_e64 s3, 0xc2ce8ed0, v6
	v_cmp_ngt_f32_e64 s12, 0xc2ce8ed0, v4
	v_cmp_nlt_f32_e64 s15, 0x42b17218, v6
	v_cmp_nlt_f32_e64 s24, 0x42b17218, v4
	v_sub_f32_e32 v4, v16, v48
	v_fma_f32 v68, 0x3fb8aa3b, v9, -v45
	v_rndne_f32_e32 v69, v45
	v_sub_f32_e32 v6, v22, v55
	v_cmp_ngt_f32_e64 s10, 0xc2ce8ed0, v9
	v_ldexp_f32 v7, v7, v23
	v_cmp_nlt_f32_e64 s22, 0x42b17218, v9
	v_cvt_i32_f32_e32 v22, v55
	v_dual_mul_f32 v41, 0x3fb8aa3b, v11 :: v_dual_mul_f32 v42, 0x3fb8aa3b, v14
	s_wait_alu 0xf1ff
	v_cndmask_b32_e64 v7, 0, v7, s4
	v_rndne_f32_e32 v53, v21
	v_fma_f32 v58, 0x3fb8aa3b, v13, -v39
	v_rndne_f32_e32 v59, v39
	v_fma_f32 v64, 0x3fb8aa3b, v14, -v42
	v_cndmask_b32_e64 v7, 0x7f800000, v7, s16
	v_fmac_f32_e32 v68, 0x32a5705f, v9
	v_dual_sub_f32 v9, v45, v69 :: v_dual_add_f32 v6, v6, v54
	v_cmp_ngt_f32_e64 s2, 0xc2ce8ed0, v12
	v_cmp_nlt_f32_e64 s14, 0x42b17218, v12
	v_fma_f32 v62, 0x3fb8aa3b, v11, -v41
	v_rndne_f32_e32 v63, v41
	v_exp_f32_e32 v6, v6
	v_sub_f32_e32 v12, v21, v53
	v_dual_fmac_f32 v58, 0x32a5705f, v13 :: v_dual_sub_f32 v13, v39, v59
	v_cmp_ngt_f32_e64 s7, 0xc2ce8ed0, v11
	v_cmp_nlt_f32_e64 s19, 0x42b17218, v11
	v_fmac_f32_e32 v62, 0x32a5705f, v11
	v_sub_f32_e32 v11, v41, v63
	v_add_f32_e32 v13, v13, v58
	v_cvt_i32_f32_e32 v45, v69
	s_delay_alu instid0(TRANS32_DEP_1)
	v_ldexp_f32 v6, v6, v22
	v_cvt_i32_f32_e32 v39, v59
	v_exp_f32_e32 v5, v5
	v_exp_f32_e32 v13, v13
	v_fma_f32 v66, 0x3fb8aa3b, v8, -v43
	v_cndmask_b32_e64 v6, 0, v6, s3
	v_rndne_f32_e32 v67, v43
	v_fma_f32 v70, 0x3fb8aa3b, v15, -v46
	v_cvt_i32_f32_e32 v17, v51
	v_cmp_ngt_f32_e64 s9, 0xc2ce8ed0, v8
	v_cndmask_b32_e64 v6, 0x7f800000, v6, s15
	v_cmp_ngt_f32_e64 s11, 0xc2ce8ed0, v15
	v_cmp_nlt_f32_e64 s21, 0x42b17218, v8
	v_ldexp_f32 v13, v13, v39
	v_cmp_nlt_f32_e64 s23, 0x42b17218, v15
	v_dual_add_f32 v191, v6, v7 :: v_dual_fmac_f32 v64, 0x32a5705f, v14
	v_add_f32_e32 v9, v9, v68
	v_ldexp_f32 v5, v5, v17
	v_cndmask_b32_e64 v13, 0, v13, s5
	v_cvt_i32_f32_e32 v16, v48
	v_rndne_f32_e32 v65, v42
	v_exp_f32_e32 v9, v9
	s_wait_alu 0xfffd
	v_cndmask_b32_e32 v5, 0, v5, vcc_lo
	v_cndmask_b32_e64 v13, 0x7f800000, v13, s17
	v_add_f32_e32 v4, v4, v47
	v_cmp_ngt_f32_e64 s8, 0xc2ce8ed0, v14
	v_cmp_nlt_f32_e64 s20, 0x42b17218, v14
	v_dual_sub_f32 v14, v42, v65 :: v_dual_add_f32 v11, v11, v62
	v_fmac_f32_e32 v191, v19, v13
	v_exp_f32_e32 v4, v4
	v_ldexp_f32 v9, v9, v45
	v_cndmask_b32_e64 v5, 0x7f800000, v5, s13
	v_exp_f32_e32 v11, v11
	v_cvt_i32_f32_e32 v21, v53
	v_cvt_i32_f32_e32 v40, v61
	v_cndmask_b32_e64 v9, 0, v9, s10
	v_cvt_f16_f32_e32 v17, v5
	v_cvt_i32_f32_e32 v41, v63
	v_cvt_i32_f32_e32 v42, v65
	v_ldexp_f32 v4, v4, v16
	v_cndmask_b32_e64 v9, 0x7f800000, v9, s22
	v_fmac_f32_e32 v70, 0x32a5705f, v15
	v_dual_sub_f32 v15, v46, v71 :: v_dual_fmac_f32 v66, 0x32a5705f, v8
	v_sub_f32_e32 v8, v43, v67
	v_cvt_i32_f32_e32 v43, v67
	v_cvt_i32_f32_e32 v46, v71
	s_delay_alu instid0(VALU_DEP_4) | instskip(SKIP_3) | instid1(VALU_DEP_4)
	v_add_f32_e32 v15, v15, v70
	v_cndmask_b32_e64 v4, 0, v4, s12
	v_add_f32_e32 v8, v8, v66
	v_ldexp_f32 v11, v11, v41
	v_exp_f32_e32 v15, v15
	s_delay_alu instid0(VALU_DEP_3) | instskip(NEXT) | instid1(VALU_DEP_3)
	v_cndmask_b32_e64 v4, 0x7f800000, v4, s24
	v_exp_f32_e32 v8, v8
	s_wait_alu 0xf1ff
	v_cndmask_b32_e64 v11, 0, v11, s7
	s_delay_alu instid0(VALU_DEP_2) | instskip(SKIP_2) | instid1(VALU_DEP_4)
	v_add_f32_e32 v190, v4, v5
	v_cvt_f16_f32_e32 v5, v13
	v_add_f32_e32 v12, v12, v52
	v_cndmask_b32_e64 v11, 0x7f800000, v11, s19
	s_delay_alu instid0(TRANS32_DEP_2) | instskip(SKIP_1) | instid1(TRANS32_DEP_1)
	v_ldexp_f32 v15, v15, v46
	v_cvt_f16_f32_e32 v16, v4
	v_ldexp_f32 v8, v8, v43
	v_and_b32_e32 v13, 0xffff, v5
	v_exp_f32_e32 v12, v12
	v_cndmask_b32_e64 v15, 0, v15, s11
	s_delay_alu instid0(VALU_DEP_3) | instskip(NEXT) | instid1(VALU_DEP_3)
	v_cndmask_b32_e64 v8, 0, v8, s9
	v_mul_u32_u24_e32 v51, 0x10001, v13
	s_delay_alu instid0(VALU_DEP_3) | instskip(NEXT) | instid1(VALU_DEP_3)
	v_cndmask_b32_e64 v15, 0x7f800000, v15, s23
	v_cndmask_b32_e64 v8, 0x7f800000, v8, s21
	s_delay_alu instid0(VALU_DEP_3) | instskip(NEXT) | instid1(TRANS32_DEP_1)
	v_pk_mul_f16 v33, v33, v51
	v_ldexp_f32 v12, v12, v21
	v_cvt_f16_f32_e32 v21, v6
	v_cvt_f16_f32_e32 v6, v7
	;; [unrolled: 1-line block ×3, first 2 shown]
	v_dual_add_f32 v189, v8, v9 :: v_dual_add_f32 v14, v14, v64
	v_cvt_f16_f32_e32 v8, v9
	v_cvt_f16_f32_e32 v9, v15
	s_delay_alu instid0(VALU_DEP_3) | instskip(NEXT) | instid1(VALU_DEP_4)
	v_dual_add_f32 v10, v10, v60 :: v_dual_fmac_f32 v189, v49, v15
	v_exp_f32_e32 v14, v14
	v_cndmask_b32_e64 v12, 0, v12, s2
	s_delay_alu instid0(VALU_DEP_3) | instskip(NEXT) | instid1(VALU_DEP_3)
	v_and_b32_e32 v9, 0xffff, v9
	v_exp_f32_e32 v10, v10
	v_pack_b32_f16 v6, v17, v6
	v_pk_mul_f16 v34, v34, v51
	v_cndmask_b32_e64 v12, 0x7f800000, v12, s14
	v_mul_u32_u24_e32 v39, 0x10001, v9
	v_pk_mul_f16 v35, v35, v51
	s_delay_alu instid0(TRANS32_DEP_2) | instskip(NEXT) | instid1(VALU_DEP_4)
	v_ldexp_f32 v14, v14, v42
	v_cvt_f16_f32_e32 v4, v12
	v_fmac_f32_e32 v190, v20, v12
	s_delay_alu instid0(TRANS32_DEP_1)
	v_ldexp_f32 v10, v10, v40
	v_pk_mul_f16 v49, v26, v39
	v_cndmask_b32_e64 v14, 0, v14, s8
	v_and_b32_e32 v12, 0xffff, v4
	v_pack_b32_f16 v4, v16, v21
	v_cndmask_b32_e64 v10, 0, v10, s6
	v_pk_mul_f16 v218, v27, v39
	v_cndmask_b32_e64 v14, 0x7f800000, v14, s20
	v_mul_u32_u24_e32 v50, 0x10001, v12
	v_pk_mul_f16 v219, v25, v39
	v_cndmask_b32_e64 v10, 0x7f800000, v10, s18
	v_pk_mul_f16 v39, v24, v39
	s_delay_alu instid0(VALU_DEP_4) | instskip(SKIP_1) | instid1(VALU_DEP_4)
	v_pk_mul_f16 v38, v38, v50
	v_pk_mul_f16 v36, v36, v50
	v_cvt_f16_f32_e32 v7, v10
	v_add_f32_e32 v192, v10, v11
	v_cvt_f16_f32_e32 v10, v11
	v_cvt_f16_f32_e32 v11, v14
	v_pk_mul_f16 v37, v37, v50
	v_pack_b32_f16 v5, v7, v22
	v_fmac_f32_e32 v192, v18, v14
	v_pack_b32_f16 v7, v10, v8
	v_and_b32_e32 v11, 0xffff, v11
	ds_store_2addr_b64 v180, v[4:5], v[6:7] offset1:32
	v_mul_u32_u24_e32 v217, 0x10001, v11
	s_wait_dscnt 0x0
	s_barrier_signal -1
	s_barrier_wait -1
	global_inv scope:SCOPE_SE
	ds_load_2addr_b64 v[45:48], v161 offset1:32
	ds_load_b128 v[60:63], v175
	ds_load_b128 v[68:71], v175 offset:16
	ds_load_b128 v[120:123], v175 offset:32
	;; [unrolled: 1-line block ×3, first 2 shown]
	ds_load_2addr_b64 v[128:131], v161 offset0:64 offset1:96
	ds_load_2addr_b64 v[132:135], v161 offset0:128 offset1:160
	;; [unrolled: 1-line block ×3, first 2 shown]
	ds_load_2addr_b64 v[193:196], v182 offset1:32
	ds_load_2addr_b64 v[104:107], v182 offset0:64 offset1:96
	ds_load_2addr_b64 v[96:99], v182 offset0:128 offset1:160
	ds_load_b128 v[197:200], v175 offset:64
	ds_load_b128 v[201:204], v175 offset:80
	;; [unrolled: 1-line block ×12, first 2 shown]
	ds_load_2addr_b64 v[209:212], v182 offset0:192 offset1:224
	ds_load_2addr_b64 v[213:216], v183 offset1:32
	ds_load_2addr_b64 v[108:111], v183 offset0:64 offset1:96
	ds_load_2addr_b64 v[100:103], v183 offset0:128 offset1:160
	;; [unrolled: 1-line block ×3, first 2 shown]
	ds_load_2addr_b64 v[88:91], v184 offset1:32
	ds_load_2addr_b64 v[56:59], v184 offset0:64 offset1:96
	ds_load_2addr_b64 v[16:19], v184 offset0:128 offset1:160
	;; [unrolled: 1-line block ×3, first 2 shown]
	ds_load_2addr_b64 v[8:11], v185 offset1:32
	s_wait_dscnt 0x1f
	v_lshrrev_b32_e32 v220, 16, v60
	v_and_b32_e32 v60, 0xffff, v60
	v_lshrrev_b32_e32 v221, 16, v61
	v_and_b32_e32 v61, 0xffff, v61
	v_lshrrev_b32_e32 v222, 16, v62
	v_mul_u32_u24_e32 v220, 0x10001, v220
	v_mul_u32_u24_e32 v60, 0x10001, v60
	v_lshrrev_b32_e32 v223, 16, v63
	v_and_b32_e32 v62, 0xffff, v62
	v_mul_u32_u24_e32 v221, 0x10001, v221
	v_mul_u32_u24_e32 v61, 0x10001, v61
	v_pk_fma_f16 v232, v46, v60, v38
	v_pk_fma_f16 v233, v47, v60, v36
	;; [unrolled: 1-line block ×3, first 2 shown]
	v_pk_mul_f16 v60, v45, v60
	v_pk_fma_f16 v236, v47, v220, v33
	v_pk_mul_f16 v33, v45, v220
	v_pk_fma_f16 v49, v45, v221, v49
	v_pk_fma_f16 v218, v46, v221, v218
	;; [unrolled: 1-line block ×4, first 2 shown]
	v_pk_mul_f16 v34, v45, v61
	v_pk_fma_f16 v44, v44, v50, v60
	v_pk_fma_f16 v45, v31, v51, v33
	v_mul_u32_u24_e32 v33, 0x10001, v223
	v_mul_u32_u24_e32 v62, 0x10001, v62
	v_and_b32_e32 v63, 0xffff, v63
	s_wait_dscnt 0x1e
	v_lshrrev_b32_e32 v224, 16, v68
	v_and_b32_e32 v68, 0xffff, v68
	v_pk_mul_f16 v30, v30, v217
	v_pk_mul_f16 v28, v28, v217
	;; [unrolled: 1-line block ×3, first 2 shown]
	v_pk_fma_f16 v221, v48, v221, v39
	v_pk_fma_f16 v235, v46, v220, v35
	;; [unrolled: 1-line block ×3, first 2 shown]
	s_wait_dscnt 0x1b
	v_pk_fma_f16 v51, v129, v33, v218
	v_pk_fma_f16 v60, v130, v33, v219
	;; [unrolled: 1-line block ×6, first 2 shown]
	v_mul_u32_u24_e32 v44, 0x10001, v222
	v_lshrrev_b32_e32 v226, 16, v70
	v_and_b32_e32 v70, 0xffff, v70
	v_pk_fma_f16 v46, v46, v61, v30
	v_pk_fma_f16 v47, v47, v61, v28
	;; [unrolled: 1-line block ×8, first 2 shown]
	v_mul_u32_u24_e32 v44, 0x10001, v63
	v_mul_u32_u24_e32 v68, 0x10001, v68
	v_lshrrev_b32_e32 v225, 16, v69
	v_and_b32_e32 v69, 0xffff, v69
	v_lshrrev_b32_e32 v228, 16, v120
	v_and_b32_e32 v120, 0xffff, v120
	v_pk_fma_f16 v48, v131, v44, v48
	s_wait_dscnt 0x1a
	v_pk_fma_f16 v131, v133, v68, v217
	v_pk_fma_f16 v217, v134, v68, v218
	v_pk_fma_f16 v218, v135, v68, v219
	v_pk_fma_f16 v62, v132, v68, v62
	v_mul_u32_u24_e32 v68, 0x10001, v224
	v_mul_u32_u24_e32 v70, 0x10001, v70
	v_lshrrev_b32_e32 v227, 16, v71
	v_and_b32_e32 v71, 0xffff, v71
	v_pk_fma_f16 v49, v128, v33, v49
	v_pk_fma_f16 v63, v129, v44, v46
	;; [unrolled: 1-line block ×4, first 2 shown]
	v_mul_u32_u24_e32 v44, 0x10001, v225
	v_pk_fma_f16 v221, v133, v68, v221
	v_pk_fma_f16 v222, v134, v68, v222
	;; [unrolled: 1-line block ×4, first 2 shown]
	v_mul_u32_u24_e32 v69, 0x10001, v69
	s_wait_dscnt 0x19
	v_pk_fma_f16 v131, v137, v70, v131
	v_pk_fma_f16 v217, v138, v70, v217
	;; [unrolled: 1-line block ×4, first 2 shown]
	v_mul_u32_u24_e32 v62, 0x10001, v226
	v_mul_u32_u24_e32 v120, 0x10001, v120
	v_lshrrev_b32_e32 v229, 16, v121
	v_and_b32_e32 v121, 0xffff, v121
	v_pk_fma_f16 v49, v132, v44, v49
	v_pk_fma_f16 v51, v133, v44, v51
	;; [unrolled: 1-line block ×7, first 2 shown]
	v_mul_u32_u24_e32 v48, 0x10001, v227
	v_pk_fma_f16 v221, v137, v62, v221
	v_pk_fma_f16 v222, v138, v62, v222
	;; [unrolled: 1-line block ×4, first 2 shown]
	v_mul_u32_u24_e32 v62, 0x10001, v71
	s_wait_dscnt 0x18
	v_pk_fma_f16 v131, v194, v120, v131
	v_pk_fma_f16 v217, v195, v120, v217
	;; [unrolled: 1-line block ×4, first 2 shown]
	v_mul_u32_u24_e32 v70, 0x10001, v228
	v_lshrrev_b32_e32 v231, 16, v123
	v_pk_fma_f16 v60, v134, v44, v60
	s_wait_dscnt 0x15
	v_lshrrev_b32_e32 v219, 16, v197
	v_lshrrev_b32_e32 v224, 16, v198
	v_and_b32_e32 v132, 0xffff, v197
	v_and_b32_e32 v134, 0xffff, v198
	v_lshrrev_b32_e32 v135, 16, v199
	v_lshrrev_b32_e32 v197, 16, v200
	v_and_b32_e32 v198, 0xffff, v199
	v_and_b32_e32 v199, 0xffff, v200
	v_pk_fma_f16 v200, v136, v48, v49
	v_pk_fma_f16 v225, v137, v48, v51
	;; [unrolled: 1-line block ×7, first 2 shown]
	v_mul_u32_u24_e32 v62, 0x10001, v229
	v_pk_fma_f16 v228, v193, v70, v68
	v_mul_u32_u24_e32 v68, 0x10001, v121
	v_lshrrev_b32_e32 v230, 16, v122
	v_and_b32_e32 v122, 0xffff, v122
	v_and_b32_e32 v123, 0xffff, v123
	v_pk_fma_f16 v60, v138, v48, v60
	s_wait_dscnt 0x14
	v_lshrrev_b32_e32 v227, 16, v201
	v_and_b32_e32 v136, 0xffff, v201
	v_lshrrev_b32_e32 v138, 16, v203
	v_and_b32_e32 v201, 0xffff, v203
	v_pk_fma_f16 v200, v193, v62, v200
	v_pk_fma_f16 v203, v194, v62, v225
	;; [unrolled: 1-line block ×7, first 2 shown]
	v_mul_u32_u24_e32 v68, 0x10001, v231
	v_lshrrev_b32_e32 v220, 16, v124
	v_lshrrev_b32_e32 v233, 16, v125
	v_and_b32_e32 v124, 0xffff, v124
	v_and_b32_e32 v125, 0xffff, v125
	v_lshrrev_b32_e32 v226, 16, v202
	v_and_b32_e32 v137, 0xffff, v202
	v_lshrrev_b32_e32 v139, 16, v204
	v_and_b32_e32 v202, 0xffff, v204
	v_pk_fma_f16 v204, v195, v62, v60
	s_wait_dscnt 0x13
	v_lshrrev_b32_e32 v229, 16, v205
	v_pk_fma_f16 v221, v194, v70, v221
	v_pk_fma_f16 v222, v195, v70, v222
	;; [unrolled: 1-line block ×3, first 2 shown]
	v_lshrrev_b32_e32 v232, 16, v206
	v_and_b32_e32 v194, 0xffff, v205
	v_and_b32_e32 v195, 0xffff, v206
	v_lshrrev_b32_e32 v196, 16, v207
	v_lshrrev_b32_e32 v205, 16, v208
	v_and_b32_e32 v206, 0xffff, v207
	v_and_b32_e32 v207, 0xffff, v208
	v_pk_fma_f16 v208, v107, v68, v225
	v_mul_u32_u24_e32 v122, 0x10001, v122
	v_mul_u32_u24_e32 v225, 0x10001, v230
	;; [unrolled: 1-line block ×3, first 2 shown]
	v_lshrrev_b32_e32 v128, 16, v126
	v_lshrrev_b32_e32 v130, 16, v127
	v_and_b32_e32 v126, 0xffff, v126
	v_and_b32_e32 v127, 0xffff, v127
	v_pk_fma_f16 v200, v104, v68, v200
	v_pk_fma_f16 v203, v105, v68, v203
	;; [unrolled: 1-line block ×7, first 2 shown]
	s_wait_dscnt 0x12
	v_lshrrev_b32_e32 v122, 16, v72
	v_pk_fma_f16 v221, v105, v225, v221
	v_pk_fma_f16 v222, v106, v225, v222
	;; [unrolled: 1-line block ×8, first 2 shown]
	v_and_b32_e32 v121, 0xffff, v72
	v_mul_u32_u24_e32 v72, 0x10001, v233
	v_mul_u32_u24_e32 v124, 0x10001, v124
	;; [unrolled: 1-line block ×5, first 2 shown]
	v_pk_fma_f16 v200, v96, v72, v200
	v_pk_fma_f16 v203, v97, v72, v203
	;; [unrolled: 1-line block ×8, first 2 shown]
	s_wait_dscnt 0x11
	v_lshrrev_b32_e32 v124, 16, v80
	v_pk_fma_f16 v221, v97, v220, v221
	v_pk_fma_f16 v222, v98, v220, v222
	;; [unrolled: 1-line block ×8, first 2 shown]
	v_and_b32_e32 v104, 0xffff, v80
	v_mul_u32_u24_e32 v80, 0x10001, v130
	v_mul_u32_u24_e32 v128, 0x10001, v128
	;; [unrolled: 1-line block ×3, first 2 shown]
	s_wait_dscnt 0x9
	v_pk_fma_f16 v131, v210, v126, v131
	v_pk_fma_f16 v120, v209, v126, v120
	;; [unrolled: 1-line block ×8, first 2 shown]
	v_lshrrev_b32_e32 v126, 16, v84
	v_pk_fma_f16 v218, v210, v128, v221
	v_pk_fma_f16 v221, v211, v128, v222
	;; [unrolled: 1-line block ×8, first 2 shown]
	v_and_b32_e32 v127, 0xffff, v84
	v_mul_u32_u24_e32 v84, 0x10001, v224
	v_mul_u32_u24_e32 v132, 0x10001, v132
	;; [unrolled: 1-line block ×5, first 2 shown]
	s_wait_dscnt 0x8
	v_pk_fma_f16 v130, v213, v84, v130
	v_pk_fma_f16 v200, v214, v84, v200
	;; [unrolled: 1-line block ×8, first 2 shown]
	v_lshrrev_b32_e32 v132, 16, v76
	v_pk_fma_f16 v128, v213, v219, v128
	v_pk_fma_f16 v97, v214, v134, v97
	;; [unrolled: 1-line block ×5, first 2 shown]
	v_and_b32_e32 v134, 0xffff, v76
	v_mul_u32_u24_e32 v76, 0x10001, v197
	v_mul_u32_u24_e32 v135, 0x10001, v135
	;; [unrolled: 1-line block ×3, first 2 shown]
	v_pk_fma_f16 v218, v214, v219, v218
	v_pk_fma_f16 v221, v215, v219, v221
	v_pk_fma_f16 v222, v216, v219, v222
	s_wait_dscnt 0x7
	v_pk_fma_f16 v130, v108, v76, v130
	v_pk_fma_f16 v197, v109, v76, v200
	v_pk_fma_f16 v200, v110, v76, v203
	v_pk_fma_f16 v203, v111, v76, v204
	v_pk_fma_f16 v131, v109, v198, v131
	v_pk_fma_f16 v204, v110, v198, v208
	v_pk_fma_f16 v208, v111, v198, v217
	v_pk_fma_f16 v120, v108, v198, v120
	v_lshrrev_b32_e32 v198, 16, v64
	v_pk_fma_f16 v128, v108, v135, v128
	v_pk_fma_f16 v96, v108, v199, v96
	v_and_b32_e32 v108, 0xffff, v64
	v_mul_u32_u24_e32 v64, 0x10001, v226
	v_mul_u32_u24_e32 v136, 0x10001, v136
	v_mul_u32_u24_e32 v226, 0x10001, v227
	v_mul_u32_u24_e32 v137, 0x10001, v137
	v_pk_fma_f16 v217, v109, v135, v218
	v_pk_fma_f16 v218, v110, v135, v221
	v_pk_fma_f16 v221, v111, v135, v222
	v_pk_fma_f16 v97, v109, v199, v97
	v_pk_fma_f16 v98, v110, v199, v98
	v_pk_fma_f16 v99, v111, v199, v99
	s_wait_dscnt 0x6
	v_pk_fma_f16 v130, v100, v64, v130
	v_pk_fma_f16 v197, v101, v64, v197
	v_pk_fma_f16 v200, v102, v64, v200
	v_pk_fma_f16 v203, v103, v64, v203
	v_pk_fma_f16 v131, v101, v136, v131
	v_pk_fma_f16 v204, v102, v136, v204
	v_pk_fma_f16 v208, v103, v136, v208
	v_pk_fma_f16 v120, v100, v136, v120
	v_lshrrev_b32_e32 v136, 16, v52
	v_pk_fma_f16 v128, v100, v226, v128
	v_pk_fma_f16 v96, v100, v137, v96
	v_and_b32_e32 v100, 0xffff, v52
	v_mul_u32_u24_e32 v52, 0x10001, v139
	v_mul_u32_u24_e32 v201, 0x10001, v201
	v_mul_u32_u24_e32 v138, 0x10001, v138
	v_mul_u32_u24_e32 v202, 0x10001, v202
	v_pk_fma_f16 v217, v101, v226, v217
	v_pk_fma_f16 v218, v102, v226, v218
	v_pk_fma_f16 v221, v103, v226, v221
	;; [unrolled: 23-line block ×3, first 2 shown]
	v_pk_fma_f16 v93, v93, v202, v97
	v_pk_fma_f16 v94, v94, v202, v98
	;; [unrolled: 1-line block ×3, first 2 shown]
	s_wait_dscnt 0x4
	v_pk_fma_f16 v130, v88, v40, v130
	v_pk_fma_f16 v139, v89, v40, v139
	;; [unrolled: 1-line block ×7, first 2 shown]
	v_mul_u32_u24_e32 v88, 0x10001, v205
	ds_load_2addr_b64 v[24:27], v185 offset0:64 offset1:96
	ds_load_2addr_b64 v[36:39], v185 offset0:128 offset1:160
	;; [unrolled: 1-line block ×3, first 2 shown]
	ds_load_2addr_b64 v[32:35], v186 offset1:32
	ds_load_2addr_b64 v[44:47], v186 offset0:64 offset1:96
	ds_load_2addr_b64 v[48:51], v186 offset0:128 offset1:160
	;; [unrolled: 1-line block ×3, first 2 shown]
	ds_load_2addr_b64 v[68:71], v187 offset1:32
	v_lshrrev_b32_e32 v228, 16, v73
	v_and_b32_e32 v123, 0xffff, v73
	v_lshrrev_b32_e32 v129, 16, v74
	v_lshrrev_b32_e32 v133, 16, v75
	v_and_b32_e32 v193, 0xffff, v74
	v_and_b32_e32 v230, 0xffff, v75
	ds_load_2addr_b64 v[72:75], v187 offset0:64 offset1:96
	v_lshrrev_b32_e32 v225, 16, v81
	v_and_b32_e32 v105, 0xffff, v81
	v_lshrrev_b32_e32 v106, 16, v82
	v_lshrrev_b32_e32 v107, 16, v83
	v_and_b32_e32 v125, 0xffff, v82
	v_and_b32_e32 v231, 0xffff, v83
	ds_load_2addr_b64 v[80:83], v187 offset0:128 offset1:160
	v_lshrrev_b32_e32 v220, 16, v85
	v_and_b32_e32 v209, 0xffff, v85
	v_lshrrev_b32_e32 v210, 16, v86
	v_lshrrev_b32_e32 v211, 16, v87
	v_and_b32_e32 v212, 0xffff, v86
	v_and_b32_e32 v223, 0xffff, v87
	ds_load_2addr_b64 v[84:87], v187 offset0:192 offset1:224
	v_lshrrev_b32_e32 v219, 16, v77
	v_and_b32_e32 v213, 0xffff, v77
	v_lshrrev_b32_e32 v214, 16, v78
	v_lshrrev_b32_e32 v215, 16, v79
	v_and_b32_e32 v216, 0xffff, v78
	v_and_b32_e32 v224, 0xffff, v79
	ds_load_2addr_b64 v[76:79], v188 offset1:32
	v_lshrrev_b32_e32 v135, 16, v65
	v_and_b32_e32 v109, 0xffff, v65
	v_lshrrev_b32_e32 v110, 16, v66
	v_lshrrev_b32_e32 v111, 16, v67
	v_and_b32_e32 v199, 0xffff, v66
	v_and_b32_e32 v222, 0xffff, v67
	ds_load_2addr_b64 v[64:67], v188 offset0:64 offset1:96
	v_lshrrev_b32_e32 v226, 16, v53
	v_and_b32_e32 v101, 0xffff, v53
	v_lshrrev_b32_e32 v102, 16, v54
	v_lshrrev_b32_e32 v103, 16, v55
	v_and_b32_e32 v137, 0xffff, v54
	v_and_b32_e32 v227, 0xffff, v55
	ds_load_2addr_b64 v[52:55], v188 offset0:128 offset1:160
	;; [unrolled: 7-line block ×3, first 2 shown]
	s_wait_loadcnt_dscnt 0x0
	s_barrier_signal -1
	s_barrier_wait -1
	global_inv scope:SCOPE_SE
	v_pk_fma_f16 v131, v89, v194, v131
	v_pk_fma_f16 v203, v90, v194, v203
	;; [unrolled: 1-line block ×3, first 2 shown]
	v_lshrrev_b32_e32 v194, 16, v20
	v_pk_fma_f16 v208, v89, v229, v208
	v_pk_fma_f16 v217, v90, v229, v217
	;; [unrolled: 1-line block ×3, first 2 shown]
	v_lshrrev_b32_e32 v229, 16, v21
	v_pk_fma_f16 v93, v89, v195, v93
	v_pk_fma_f16 v94, v90, v195, v94
	;; [unrolled: 1-line block ×3, first 2 shown]
	v_and_b32_e32 v195, 0xffff, v20
	v_and_b32_e32 v232, 0xffff, v21
	v_lshrrev_b32_e32 v233, 16, v22
	v_lshrrev_b32_e32 v234, 16, v23
	v_and_b32_e32 v235, 0xffff, v22
	v_and_b32_e32 v236, 0xffff, v23
	global_load_b128 v[20:23], v[118:119], off
	v_pk_fma_f16 v118, v56, v88, v130
	v_pk_fma_f16 v119, v57, v88, v139
	;; [unrolled: 1-line block ×4, first 2 shown]
	global_load_b128 v[88:91], v[116:117], off
	v_mul_u32_u24_e32 v116, 0x10001, v206
	v_mul_u32_u24_e32 v196, 0x10001, v196
	;; [unrolled: 1-line block ×3, first 2 shown]
	v_and_b32_e32 v206, 0xffff, v5
	v_lshrrev_b32_e32 v207, 16, v6
	v_pk_fma_f16 v117, v57, v116, v131
	v_pk_fma_f16 v131, v58, v116, v203
	;; [unrolled: 1-line block ×6, first 2 shown]
	v_mul_u32_u24_e32 v56, 0x10001, v228
	v_lshrrev_b32_e32 v120, 16, v4
	v_pk_fma_f16 v200, v57, v196, v208
	v_pk_fma_f16 v203, v58, v196, v217
	;; [unrolled: 1-line block ×3, first 2 shown]
	v_lshrrev_b32_e32 v196, 16, v5
	v_pk_fma_f16 v93, v57, v205, v93
	v_pk_fma_f16 v94, v58, v205, v94
	;; [unrolled: 1-line block ×3, first 2 shown]
	v_and_b32_e32 v205, 0xffff, v4
	v_lshrrev_b32_e32 v208, 16, v7
	v_and_b32_e32 v217, 0xffff, v6
	v_and_b32_e32 v218, 0xffff, v7
	global_load_b128 v[4:7], v[114:115], off
	v_pk_fma_f16 v114, v16, v56, v118
	v_pk_fma_f16 v115, v17, v56, v119
	;; [unrolled: 1-line block ×4, first 2 shown]
	global_load_b128 v[56:59], v[112:113], off
	v_mul_u32_u24_e32 v112, 0x10001, v121
	v_mul_u32_u24_e32 v113, 0x10001, v122
	v_mul_u32_u24_e32 v121, 0x10001, v123
	v_mul_u32_u24_e32 v122, 0x10001, v193
	v_mul_u32_u24_e32 v123, 0x10001, v129
	v_mul_u32_u24_e32 v129, 0x10001, v230
	v_mul_u32_u24_e32 v130, 0x10001, v133
	v_pk_fma_f16 v117, v17, v112, v117
	v_pk_fma_f16 v200, v17, v113, v200
	v_pk_fma_f16 v17, v17, v121, v93
	v_pk_fma_f16 v93, v18, v112, v131
	v_pk_fma_f16 v131, v18, v113, v203
	v_pk_fma_f16 v18, v18, v121, v94
	v_pk_fma_f16 v94, v19, v112, v197
	v_pk_fma_f16 v197, v19, v113, v204
	v_pk_fma_f16 v19, v19, v121, v95
	v_pk_fma_f16 v95, v16, v112, v116
	v_pk_fma_f16 v112, v16, v113, v128
	v_pk_fma_f16 v16, v16, v121, v92
	v_mul_u32_u24_e32 v104, 0x10001, v104
	v_mul_u32_u24_e32 v124, 0x10001, v124
	v_mul_u32_u24_e32 v105, 0x10001, v105
	v_mul_u32_u24_e32 v133, 0x10001, v225
	v_pk_fma_f16 v92, v12, v130, v114
	v_pk_fma_f16 v113, v13, v122, v117
	v_pk_fma_f16 v114, v13, v123, v200
	v_pk_fma_f16 v17, v13, v129, v17
	v_pk_fma_f16 v13, v13, v130, v115
	v_pk_fma_f16 v93, v14, v122, v93
	v_pk_fma_f16 v115, v14, v123, v131
	v_pk_fma_f16 v18, v14, v129, v18
	v_pk_fma_f16 v14, v14, v130, v118
	v_pk_fma_f16 v94, v15, v122, v94
	v_pk_fma_f16 v116, v15, v123, v197
	v_pk_fma_f16 v19, v15, v129, v19
	v_pk_fma_f16 v15, v15, v130, v119
	v_pk_fma_f16 v95, v12, v122, v95
	v_pk_fma_f16 v112, v12, v123, v112
	v_pk_fma_f16 v12, v12, v129, v16
	v_mul_u32_u24_e32 v125, 0x10001, v125
	v_mul_u32_u24_e32 v106, 0x10001, v106
	v_mul_u32_u24_e32 v139, 0x10001, v231
	v_mul_u32_u24_e32 v107, 0x10001, v107
	v_pk_fma_f16 v16, v8, v133, v92
	v_pk_fma_f16 v92, v9, v104, v113
	v_pk_fma_f16 v113, v9, v124, v114
	v_pk_fma_f16 v17, v9, v105, v17
	;; [unrolled: 20-line block ×16, first 2 shown]
	v_pk_fma_f16 v9, v53, v196, v9
	v_pk_fma_f16 v13, v54, v205, v13
	;; [unrolled: 1-line block ×28, first 2 shown]
	s_wait_loadcnt 0x3
	ds_store_b128 v174, v[20:23]
	s_wait_loadcnt 0x2
	ds_store_b128 v176, v[88:91]
	;; [unrolled: 2-line block ×4, first 2 shown]
	s_wait_dscnt 0x0
	s_barrier_signal -1
	s_barrier_wait -1
	global_inv scope:SCOPE_SE
	ds_load_2addr_b64 v[32:35], v161 offset1:32
	ds_load_b128 v[48:51], v175 offset:256
	ds_load_b128 v[44:47], v175 offset:272
	ds_load_b128 v[40:43], v175 offset:288
	ds_load_b128 v[36:39], v175 offset:304
	ds_load_2addr_b64 v[28:31], v161 offset0:64 offset1:96
	ds_load_2addr_b64 v[24:27], v161 offset0:128 offset1:160
	;; [unrolled: 1-line block ×3, first 2 shown]
	ds_load_2addr_b64 v[16:19], v182 offset1:32
	ds_load_2addr_b64 v[12:15], v182 offset0:64 offset1:96
	ds_load_2addr_b64 v[8:11], v182 offset0:128 offset1:160
	;; [unrolled: 1-line block ×3, first 2 shown]
	ds_load_b128 v[52:55], v175 offset:320
	ds_load_b128 v[56:59], v175 offset:336
	;; [unrolled: 1-line block ×12, first 2 shown]
	ds_load_2addr_b64 v[209:212], v183 offset1:32
	ds_load_2addr_b64 v[136:139], v183 offset0:64 offset1:96
	ds_load_2addr_b64 v[132:135], v183 offset0:128 offset1:160
	;; [unrolled: 1-line block ×3, first 2 shown]
	ds_load_2addr_b64 v[120:123], v184 offset1:32
	ds_load_2addr_b64 v[116:119], v184 offset0:64 offset1:96
	ds_load_2addr_b64 v[112:115], v184 offset0:128 offset1:160
	;; [unrolled: 1-line block ×3, first 2 shown]
	ds_load_2addr_b64 v[100:103], v185 offset1:32
	ds_load_2addr_b64 v[96:99], v185 offset0:64 offset1:96
	ds_load_2addr_b64 v[88:91], v185 offset0:128 offset1:160
	s_wait_dscnt 0x21
	v_lshrrev_b32_e32 v213, 16, v48
	v_and_b32_e32 v48, 0xffff, v48
	v_lshrrev_b32_e32 v214, 16, v49
	v_and_b32_e32 v49, 0xffff, v49
	s_wait_dscnt 0x1e
	v_lshrrev_b32_e32 v225, 16, v36
	v_and_b32_e32 v227, 0xffff, v36
	v_mul_u32_u24_e32 v36, 0x10001, v48
	v_lshrrev_b32_e32 v215, 16, v50
	v_and_b32_e32 v50, 0xffff, v50
	v_mul_u32_u24_e32 v49, 0x10001, v49
	v_lshrrev_b32_e32 v216, 16, v51
	v_pk_fma_f16 v48, v32, v36, v208
	v_mul_u32_u24_e32 v208, 0x10001, v213
	v_mul_u32_u24_e32 v213, 0x10001, v214
	v_and_b32_e32 v51, 0xffff, v51
	v_pk_fma_f16 v205, v33, v36, v205
	v_pk_fma_f16 v206, v34, v36, v206
	v_pk_fma_f16 v207, v35, v36, v207
	v_pk_fma_f16 v204, v32, v208, v204
	v_pk_fma_f16 v203, v32, v49, v203
	v_pk_fma_f16 v193, v32, v213, v193
	v_mul_u32_u24_e32 v32, 0x10001, v50
	v_lshrrev_b32_e32 v217, 16, v44
	v_lshrrev_b32_e32 v218, 16, v45
	v_and_b32_e32 v44, 0xffff, v44
	v_and_b32_e32 v45, 0xffff, v45
	v_pk_fma_f16 v196, v33, v49, v196
	v_pk_fma_f16 v198, v34, v49, v198
	;; [unrolled: 1-line block ×3, first 2 shown]
	s_wait_dscnt 0x1d
	v_pk_fma_f16 v50, v29, v32, v205
	v_pk_fma_f16 v205, v30, v32, v206
	;; [unrolled: 1-line block ×3, first 2 shown]
	v_mul_u32_u24_e32 v207, 0x10001, v215
	v_mul_u32_u24_e32 v51, 0x10001, v51
	;; [unrolled: 1-line block ×3, first 2 shown]
	v_pk_fma_f16 v48, v28, v32, v48
	v_mul_u32_u24_e32 v45, 0x10001, v45
	v_pk_fma_f16 v204, v28, v207, v204
	v_pk_fma_f16 v203, v28, v51, v203
	;; [unrolled: 1-line block ×6, first 2 shown]
	v_mul_u32_u24_e32 v28, 0x10001, v44
	v_lshrrev_b32_e32 v219, 16, v46
	v_lshrrev_b32_e32 v220, 16, v47
	v_and_b32_e32 v46, 0xffff, v46
	v_and_b32_e32 v47, 0xffff, v47
	v_pk_fma_f16 v199, v33, v208, v199
	v_pk_fma_f16 v201, v34, v208, v201
	;; [unrolled: 1-line block ×6, first 2 shown]
	s_wait_dscnt 0x1c
	v_pk_fma_f16 v44, v24, v28, v48
	v_pk_fma_f16 v48, v25, v28, v50
	;; [unrolled: 1-line block ×4, first 2 shown]
	v_mul_u32_u24_e32 v206, 0x10001, v217
	v_pk_fma_f16 v203, v24, v45, v203
	v_pk_fma_f16 v196, v25, v45, v196
	;; [unrolled: 1-line block ×4, first 2 shown]
	v_mul_u32_u24_e32 v49, 0x10001, v218
	v_lshrrev_b32_e32 v222, 16, v41
	v_and_b32_e32 v41, 0xffff, v41
	v_pk_fma_f16 v199, v29, v207, v199
	v_pk_fma_f16 v201, v30, v207, v201
	;; [unrolled: 1-line block ×8, first 2 shown]
	v_mul_u32_u24_e32 v24, 0x10001, v46
	v_mul_u32_u24_e32 v47, 0x10001, v47
	v_lshrrev_b32_e32 v221, 16, v40
	v_and_b32_e32 v40, 0xffff, v40
	v_pk_fma_f16 v199, v25, v206, v199
	v_pk_fma_f16 v201, v26, v206, v201
	;; [unrolled: 1-line block ×6, first 2 shown]
	s_wait_dscnt 0x1b
	v_pk_fma_f16 v46, v21, v24, v48
	v_pk_fma_f16 v48, v22, v24, v50
	;; [unrolled: 1-line block ×3, first 2 shown]
	v_mul_u32_u24_e32 v205, 0x10001, v219
	v_pk_fma_f16 v203, v20, v47, v203
	v_pk_fma_f16 v196, v21, v47, v196
	;; [unrolled: 1-line block ×4, first 2 shown]
	v_mul_u32_u24_e32 v47, 0x10001, v220
	v_mul_u32_u24_e32 v41, 0x10001, v41
	v_lshrrev_b32_e32 v223, 16, v42
	v_lshrrev_b32_e32 v224, 16, v43
	v_and_b32_e32 v42, 0xffff, v42
	v_and_b32_e32 v43, 0xffff, v43
	v_pk_fma_f16 v44, v20, v24, v44
	v_pk_fma_f16 v204, v20, v205, v204
	;; [unrolled: 1-line block ×9, first 2 shown]
	v_mul_u32_u24_e32 v20, 0x10001, v40
	v_mul_u32_u24_e32 v49, 0x10001, v221
	s_wait_dscnt 0x1a
	v_pk_fma_f16 v203, v16, v41, v203
	v_pk_fma_f16 v196, v17, v41, v196
	;; [unrolled: 1-line block ×4, first 2 shown]
	v_mul_u32_u24_e32 v45, 0x10001, v222
	v_pk_fma_f16 v40, v16, v20, v44
	v_pk_fma_f16 v44, v17, v20, v46
	;; [unrolled: 1-line block ×12, first 2 shown]
	v_mul_u32_u24_e32 v16, 0x10001, v42
	v_mul_u32_u24_e32 v47, 0x10001, v223
	;; [unrolled: 1-line block ×3, first 2 shown]
	v_and_b32_e32 v228, 0xffff, v37
	v_lshrrev_b32_e32 v226, 16, v37
	s_wait_dscnt 0x19
	v_pk_fma_f16 v42, v13, v16, v44
	v_pk_fma_f16 v44, v14, v16, v46
	;; [unrolled: 1-line block ×11, first 2 shown]
	v_mul_u32_u24_e32 v43, 0x10001, v224
	v_pk_fma_f16 v40, v12, v16, v40
	v_lshrrev_b32_e32 v229, 16, v38
	v_and_b32_e32 v232, 0xffff, v39
	v_lshrrev_b32_e32 v230, 16, v39
	v_pk_fma_f16 v193, v12, v43, v193
	v_mul_u32_u24_e32 v12, 0x10001, v227
	v_pk_fma_f16 v194, v13, v43, v194
	v_pk_fma_f16 v195, v14, v43, v195
	v_pk_fma_f16 v43, v15, v43, v45
	v_and_b32_e32 v231, 0xffff, v38
	s_wait_dscnt 0x18
	v_pk_fma_f16 v45, v11, v12, v46
	v_mul_u32_u24_e32 v46, 0x10001, v225
	s_wait_dscnt 0x16
	v_lshrrev_b32_e32 v208, 16, v52
	v_lshrrev_b32_e32 v200, 16, v53
	v_and_b32_e32 v52, 0xffff, v52
	v_and_b32_e32 v53, 0xffff, v53
	v_pk_fma_f16 v48, v8, v46, v48
	v_pk_fma_f16 v50, v9, v46, v50
	;; [unrolled: 1-line block ×4, first 2 shown]
	v_mul_u32_u24_e32 v47, 0x10001, v228
	v_pk_fma_f16 v40, v8, v12, v40
	v_pk_fma_f16 v44, v10, v12, v44
	v_lshrrev_b32_e32 v213, 16, v54
	v_lshrrev_b32_e32 v214, 16, v55
	v_pk_fma_f16 v49, v8, v47, v49
	v_pk_fma_f16 v196, v9, v47, v196
	;; [unrolled: 1-line block ×4, first 2 shown]
	v_mul_u32_u24_e32 v47, 0x10001, v226
	v_and_b32_e32 v55, 0xffff, v55
	v_pk_fma_f16 v42, v9, v12, v42
	v_and_b32_e32 v54, 0xffff, v54
	s_wait_dscnt 0x15
	v_lshrrev_b32_e32 v207, 16, v56
	v_pk_fma_f16 v193, v8, v47, v193
	v_pk_fma_f16 v194, v9, v47, v194
	;; [unrolled: 1-line block ×4, first 2 shown]
	v_mul_u32_u24_e32 v47, 0x10001, v229
	v_mul_u32_u24_e32 v8, 0x10001, v231
	v_and_b32_e32 v56, 0xffff, v56
	v_lshrrev_b32_e32 v51, 16, v57
	v_and_b32_e32 v57, 0xffff, v57
	v_pk_fma_f16 v48, v4, v47, v48
	v_pk_fma_f16 v50, v5, v47, v50
	;; [unrolled: 1-line block ×4, first 2 shown]
	v_mul_u32_u24_e32 v47, 0x10001, v232
	v_pk_fma_f16 v40, v4, v8, v40
	v_pk_fma_f16 v44, v6, v8, v44
	;; [unrolled: 1-line block ×8, first 2 shown]
	v_mul_u32_u24_e32 v47, 0x10001, v230
	v_mul_u32_u24_e32 v207, 0x10001, v207
	v_lshrrev_b32_e32 v215, 16, v58
	v_and_b32_e32 v58, 0xffff, v58
	v_lshrrev_b32_e32 v216, 16, v59
	v_pk_fma_f16 v193, v4, v47, v193
	v_pk_fma_f16 v194, v5, v47, v194
	;; [unrolled: 1-line block ×4, first 2 shown]
	v_mul_u32_u24_e32 v47, 0x10001, v208
	v_mul_u32_u24_e32 v4, 0x10001, v52
	v_and_b32_e32 v59, 0xffff, v59
	s_wait_dscnt 0x14
	v_lshrrev_b32_e32 v206, 16, v60
	v_and_b32_e32 v60, 0xffff, v60
	s_wait_dscnt 0xa
	v_pk_fma_f16 v48, v209, v47, v48
	v_pk_fma_f16 v50, v210, v47, v50
	;; [unrolled: 1-line block ×4, first 2 shown]
	v_mul_u32_u24_e32 v47, 0x10001, v53
	v_pk_fma_f16 v44, v211, v4, v44
	v_pk_fma_f16 v40, v209, v4, v40
	;; [unrolled: 1-line block ×8, first 2 shown]
	v_mul_u32_u24_e32 v41, 0x10001, v200
	v_lshrrev_b32_e32 v217, 16, v61
	v_and_b32_e32 v61, 0xffff, v61
	v_lshrrev_b32_e32 v197, 16, v62
	v_lshrrev_b32_e32 v218, 16, v63
	v_pk_fma_f16 v195, v211, v41, v195
	v_mul_u32_u24_e32 v211, 0x10001, v213
	v_pk_fma_f16 v193, v209, v41, v193
	v_pk_fma_f16 v194, v210, v41, v194
	;; [unrolled: 1-line block ×3, first 2 shown]
	v_mul_u32_u24_e32 v41, 0x10001, v54
	s_wait_dscnt 0x9
	v_pk_fma_f16 v48, v136, v211, v48
	v_pk_fma_f16 v50, v137, v211, v50
	;; [unrolled: 1-line block ×4, first 2 shown]
	v_mul_u32_u24_e32 v46, 0x10001, v55
	v_pk_fma_f16 v54, v136, v41, v40
	v_pk_fma_f16 v210, v137, v41, v42
	;; [unrolled: 1-line block ×8, first 2 shown]
	v_mul_u32_u24_e32 v46, 0x10001, v214
	s_wait_dscnt 0x8
	v_pk_fma_f16 v214, v133, v207, v50
	v_pk_fma_f16 v52, v134, v207, v52
	v_and_b32_e32 v62, 0xffff, v62
	v_and_b32_e32 v63, 0xffff, v63
	v_pk_fma_f16 v136, v136, v46, v193
	v_pk_fma_f16 v137, v137, v46, v194
	;; [unrolled: 1-line block ×4, first 2 shown]
	v_mul_u32_u24_e32 v46, 0x10001, v56
	v_mul_u32_u24_e32 v61, 0x10001, v61
	v_lshrrev_b32_e32 v205, 16, v64
	v_lshrrev_b32_e32 v219, 16, v65
	v_and_b32_e32 v64, 0xffff, v64
	v_pk_fma_f16 v56, v133, v46, v210
	v_pk_fma_f16 v210, v132, v207, v48
	v_mul_u32_u24_e32 v48, 0x10001, v57
	v_pk_fma_f16 v54, v132, v46, v54
	v_pk_fma_f16 v195, v134, v46, v44
	;; [unrolled: 1-line block ×8, first 2 shown]
	v_mul_u32_u24_e32 v48, 0x10001, v51
	v_and_b32_e32 v65, 0xffff, v65
	v_mul_u32_u24_e32 v62, 0x10001, v62
	v_mul_u32_u24_e32 v197, 0x10001, v197
	;; [unrolled: 1-line block ×3, first 2 shown]
	v_pk_fma_f16 v132, v132, v48, v136
	v_pk_fma_f16 v133, v133, v48, v137
	;; [unrolled: 1-line block ×4, first 2 shown]
	v_mul_u32_u24_e32 v48, 0x10001, v58
	v_mul_u32_u24_e32 v139, 0x10001, v215
	v_lshrrev_b32_e32 v220, 16, v66
	v_lshrrev_b32_e32 v233, 16, v67
	v_and_b32_e32 v66, 0xffff, v66
	s_wait_dscnt 0x7
	v_pk_fma_f16 v58, v130, v48, v195
	v_pk_fma_f16 v195, v128, v139, v210
	;; [unrolled: 1-line block ×3, first 2 shown]
	v_mul_u32_u24_e32 v52, 0x10001, v59
	v_pk_fma_f16 v138, v131, v48, v200
	v_pk_fma_f16 v200, v129, v139, v214
	v_pk_fma_f16 v54, v128, v48, v54
	v_pk_fma_f16 v56, v129, v48, v56
	v_pk_fma_f16 v57, v128, v52, v57
	v_pk_fma_f16 v59, v129, v52, v53
	v_pk_fma_f16 v214, v130, v52, v55
	v_pk_fma_f16 v196, v131, v52, v196
	v_mul_u32_u24_e32 v52, 0x10001, v216
	v_pk_fma_f16 v139, v131, v139, v207
	s_wait_dscnt 0x6
	v_pk_fma_f16 v57, v120, v61, v57
	v_pk_fma_f16 v59, v121, v61, v59
	v_and_b32_e32 v67, 0xffff, v67
	v_pk_fma_f16 v128, v128, v52, v132
	v_pk_fma_f16 v129, v129, v52, v133
	;; [unrolled: 1-line block ×4, first 2 shown]
	v_mul_u32_u24_e32 v52, 0x10001, v60
	v_mul_u32_u24_e32 v135, 0x10001, v206
	v_mul_u32_u24_e32 v206, 0x10001, v218
	v_mul_u32_u24_e32 v64, 0x10001, v64
	v_mul_u32_u24_e32 v205, 0x10001, v205
	v_pk_fma_f16 v134, v123, v52, v138
	v_mul_u32_u24_e32 v138, 0x10001, v217
	v_pk_fma_f16 v60, v120, v52, v54
	v_pk_fma_f16 v56, v121, v52, v56
	;; [unrolled: 1-line block ×13, first 2 shown]
	v_mul_u32_u24_e32 v65, 0x10001, v65
	v_mul_u32_u24_e32 v216, 0x10001, v219
	s_wait_dscnt 0x5
	v_pk_fma_f16 v60, v116, v62, v60
	v_pk_fma_f16 v131, v116, v197, v195
	;; [unrolled: 1-line block ×16, first 2 shown]
	v_lshrrev_b32_e32 v202, 16, v68
	v_lshrrev_b32_e32 v204, 16, v69
	v_and_b32_e32 v68, 0xffff, v68
	v_and_b32_e32 v69, 0xffff, v69
	v_mul_u32_u24_e32 v66, 0x10001, v66
	v_mul_u32_u24_e32 v217, 0x10001, v220
	;; [unrolled: 1-line block ×4, first 2 shown]
	s_wait_dscnt 0x4
	v_pk_fma_f16 v60, v112, v64, v60
	v_pk_fma_f16 v119, v112, v205, v131
	;; [unrolled: 1-line block ×16, first 2 shown]
	ds_load_2addr_b64 v[36:39], v185 offset0:192 offset1:224
	v_lshrrev_b32_e32 v221, 16, v70
	v_lshrrev_b32_e32 v222, 16, v71
	v_and_b32_e32 v70, 0xffff, v70
	v_and_b32_e32 v71, 0xffff, v71
	v_mul_u32_u24_e32 v68, 0x10001, v68
	v_mul_u32_u24_e32 v202, 0x10001, v202
	;; [unrolled: 1-line block ×4, first 2 shown]
	s_wait_dscnt 0x4
	v_pk_fma_f16 v60, v104, v66, v60
	v_pk_fma_f16 v65, v104, v217, v119
	;; [unrolled: 1-line block ×16, first 2 shown]
	ds_load_2addr_b64 v[32:35], v186 offset1:32
	v_lshrrev_b32_e32 v201, 16, v76
	v_lshrrev_b32_e32 v203, 16, v77
	v_and_b32_e32 v76, 0xffff, v76
	v_and_b32_e32 v77, 0xffff, v77
	v_mul_u32_u24_e32 v70, 0x10001, v70
	v_mul_u32_u24_e32 v219, 0x10001, v221
	v_mul_u32_u24_e32 v71, 0x10001, v71
	v_mul_u32_u24_e32 v220, 0x10001, v222
	s_wait_dscnt 0x4
	v_pk_fma_f16 v60, v100, v68, v60
	v_pk_fma_f16 v65, v100, v202, v65
	v_pk_fma_f16 v57, v100, v69, v57
	v_pk_fma_f16 v66, v100, v204, v104
	v_pk_fma_f16 v56, v101, v68, v56
	v_pk_fma_f16 v67, v101, v202, v112
	v_pk_fma_f16 v59, v101, v69, v59
	v_pk_fma_f16 v100, v101, v204, v105
	v_pk_fma_f16 v58, v102, v68, v58
	v_pk_fma_f16 v101, v102, v202, v113
	v_pk_fma_f16 v104, v102, v69, v115
	v_pk_fma_f16 v102, v102, v204, v106
	v_pk_fma_f16 v62, v103, v68, v62
	v_pk_fma_f16 v64, v103, v202, v64
	v_pk_fma_f16 v61, v103, v69, v61
	v_pk_fma_f16 v63, v103, v204, v63
	ds_load_2addr_b64 v[28:31], v186 offset0:64 offset1:96
	v_lshrrev_b32_e32 v223, 16, v78
	v_lshrrev_b32_e32 v224, 16, v79
	v_and_b32_e32 v78, 0xffff, v78
	v_and_b32_e32 v79, 0xffff, v79
	v_mul_u32_u24_e32 v76, 0x10001, v76
	v_mul_u32_u24_e32 v201, 0x10001, v201
	v_mul_u32_u24_e32 v77, 0x10001, v77
	v_mul_u32_u24_e32 v203, 0x10001, v203
	s_wait_dscnt 0x4
	v_pk_fma_f16 v60, v96, v70, v60
	v_pk_fma_f16 v65, v96, v219, v65
	v_pk_fma_f16 v57, v96, v71, v57
	v_pk_fma_f16 v66, v96, v220, v66
	v_pk_fma_f16 v56, v97, v70, v56
	v_pk_fma_f16 v67, v97, v219, v67
	v_pk_fma_f16 v59, v97, v71, v59
	v_pk_fma_f16 v68, v97, v220, v100
	v_pk_fma_f16 v58, v98, v70, v58
	v_pk_fma_f16 v69, v98, v219, v101
	v_pk_fma_f16 v96, v98, v71, v104
	v_pk_fma_f16 v97, v98, v220, v102
	v_pk_fma_f16 v62, v99, v70, v62
	v_pk_fma_f16 v64, v99, v219, v64
	v_pk_fma_f16 v61, v99, v71, v61
	v_pk_fma_f16 v63, v99, v220, v63
	ds_load_2addr_b64 v[24:27], v186 offset0:128 offset1:160
	v_lshrrev_b32_e32 v225, 16, v80
	v_lshrrev_b32_e32 v227, 16, v81
	v_and_b32_e32 v80, 0xffff, v80
	v_and_b32_e32 v81, 0xffff, v81
	v_mul_u32_u24_e32 v78, 0x10001, v78
	v_mul_u32_u24_e32 v221, 0x10001, v223
	v_mul_u32_u24_e32 v79, 0x10001, v79
	v_mul_u32_u24_e32 v222, 0x10001, v224
	s_wait_dscnt 0x4
	v_pk_fma_f16 v60, v88, v76, v60
	v_pk_fma_f16 v65, v88, v201, v65
	v_pk_fma_f16 v57, v88, v77, v57
	v_pk_fma_f16 v66, v88, v203, v66
	v_pk_fma_f16 v56, v89, v76, v56
	v_pk_fma_f16 v67, v89, v201, v67
	v_pk_fma_f16 v59, v89, v77, v59
	v_pk_fma_f16 v68, v89, v203, v68
	v_pk_fma_f16 v58, v90, v76, v58
	v_pk_fma_f16 v69, v90, v201, v69
	v_pk_fma_f16 v70, v90, v77, v96
	v_pk_fma_f16 v71, v90, v203, v97
	v_pk_fma_f16 v62, v91, v76, v62
	v_pk_fma_f16 v64, v91, v201, v64
	v_pk_fma_f16 v61, v91, v77, v61
	v_pk_fma_f16 v63, v91, v203, v63
	ds_load_2addr_b64 v[20:23], v186 offset0:192 offset1:224
	v_lshrrev_b32_e32 v226, 16, v82
	v_lshrrev_b32_e32 v228, 16, v83
	v_and_b32_e32 v82, 0xffff, v82
	v_and_b32_e32 v83, 0xffff, v83
	v_mul_u32_u24_e32 v80, 0x10001, v80
	v_mul_u32_u24_e32 v223, 0x10001, v225
	;; [unrolled: 1-line block ×4, first 2 shown]
	s_wait_dscnt 0x4
	v_pk_fma_f16 v60, v36, v78, v60
	v_pk_fma_f16 v65, v36, v221, v65
	;; [unrolled: 1-line block ×16, first 2 shown]
	ds_load_2addr_b64 v[16:19], v187 offset1:32
	v_lshrrev_b32_e32 v229, 16, v84
	v_lshrrev_b32_e32 v231, 16, v85
	v_and_b32_e32 v84, 0xffff, v84
	v_and_b32_e32 v85, 0xffff, v85
	v_mul_u32_u24_e32 v82, 0x10001, v82
	v_mul_u32_u24_e32 v225, 0x10001, v226
	v_mul_u32_u24_e32 v83, 0x10001, v83
	v_mul_u32_u24_e32 v226, 0x10001, v228
	s_wait_dscnt 0x4
	v_pk_fma_f16 v60, v32, v80, v60
	v_pk_fma_f16 v63, v32, v223, v65
	v_pk_fma_f16 v57, v32, v81, v57
	v_pk_fma_f16 v32, v32, v224, v36
	v_pk_fma_f16 v36, v33, v80, v56
	v_pk_fma_f16 v56, v33, v223, v66
	v_pk_fma_f16 v59, v33, v81, v59
	v_pk_fma_f16 v33, v33, v224, v37
	v_pk_fma_f16 v37, v34, v80, v58
	v_pk_fma_f16 v58, v34, v223, v67
	v_pk_fma_f16 v65, v34, v81, v68
	v_pk_fma_f16 v34, v34, v224, v38
	v_pk_fma_f16 v38, v35, v80, v62
	v_pk_fma_f16 v62, v35, v223, v64
	v_pk_fma_f16 v61, v35, v81, v61
	v_pk_fma_f16 v35, v35, v224, v39
	ds_load_2addr_b64 v[12:15], v187 offset0:64 offset1:96
	v_lshrrev_b32_e32 v230, 16, v86
	v_lshrrev_b32_e32 v232, 16, v87
	v_and_b32_e32 v86, 0xffff, v86
	v_and_b32_e32 v87, 0xffff, v87
	v_mul_u32_u24_e32 v84, 0x10001, v84
	v_mul_u32_u24_e32 v227, 0x10001, v229
	v_mul_u32_u24_e32 v85, 0x10001, v85
	v_mul_u32_u24_e32 v228, 0x10001, v231
	s_wait_dscnt 0x4
	v_pk_fma_f16 v39, v28, v82, v60
	v_pk_fma_f16 v60, v28, v225, v63
	v_pk_fma_f16 v57, v28, v83, v57
	v_pk_fma_f16 v28, v28, v226, v32
	v_pk_fma_f16 v32, v29, v82, v36
	v_pk_fma_f16 v36, v29, v225, v56
	v_pk_fma_f16 v56, v29, v83, v59
	v_pk_fma_f16 v29, v29, v226, v33
	v_pk_fma_f16 v33, v30, v82, v37
	v_pk_fma_f16 v37, v30, v225, v58
	v_pk_fma_f16 v58, v30, v83, v65
	v_pk_fma_f16 v30, v30, v226, v34
	v_pk_fma_f16 v34, v31, v82, v38
	v_pk_fma_f16 v38, v31, v225, v62
	v_pk_fma_f16 v59, v31, v83, v61
	v_pk_fma_f16 v31, v31, v226, v35
	ds_load_2addr_b64 v[8:11], v187 offset0:128 offset1:160
	;; [unrolled: 26-line block ×3, first 2 shown]
	v_lshrrev_b32_e32 v208, 16, v94
	v_lshrrev_b32_e32 v209, 16, v95
	v_and_b32_e32 v94, 0xffff, v94
	v_and_b32_e32 v95, 0xffff, v95
	v_mul_u32_u24_e32 v92, 0x10001, v92
	v_mul_u32_u24_e32 v199, 0x10001, v199
	v_mul_u32_u24_e32 v93, 0x10001, v93
	v_mul_u32_u24_e32 v198, 0x10001, v198
	s_wait_dscnt 0x4
	v_pk_fma_f16 v31, v20, v86, v35
	v_pk_fma_f16 v35, v20, v229, v39
	;; [unrolled: 1-line block ×16, first 2 shown]
	ds_load_2addr_b64 v[40:43], v188 offset1:32
	v_lshrrev_b32_e32 v212, 16, v108
	v_lshrrev_b32_e32 v213, 16, v109
	v_and_b32_e32 v108, 0xffff, v108
	v_and_b32_e32 v109, 0xffff, v109
	v_mul_u32_u24_e32 v94, 0x10001, v94
	v_mul_u32_u24_e32 v208, 0x10001, v208
	;; [unrolled: 1-line block ×4, first 2 shown]
	s_wait_dscnt 0x4
	v_pk_fma_f16 v27, v16, v92, v31
	v_pk_fma_f16 v31, v16, v199, v35
	;; [unrolled: 1-line block ×16, first 2 shown]
	v_lshrrev_b32_e32 v193, 16, v110
	v_lshrrev_b32_e32 v194, 16, v111
	v_and_b32_e32 v110, 0xffff, v110
	v_and_b32_e32 v111, 0xffff, v111
	ds_load_2addr_b64 v[44:47], v188 offset0:64 offset1:96
	v_mul_u32_u24_e32 v108, 0x10001, v108
	v_mul_u32_u24_e32 v212, 0x10001, v212
	;; [unrolled: 1-line block ×4, first 2 shown]
	s_wait_dscnt 0x4
	v_pk_fma_f16 v23, v12, v94, v27
	v_pk_fma_f16 v27, v12, v208, v31
	;; [unrolled: 1-line block ×16, first 2 shown]
	v_lshrrev_b32_e32 v211, 16, v124
	v_lshrrev_b32_e32 v234, 16, v125
	v_and_b32_e32 v124, 0xffff, v124
	v_and_b32_e32 v125, 0xffff, v125
	ds_load_2addr_b64 v[48:51], v188 offset0:128 offset1:160
	v_mul_u32_u24_e32 v110, 0x10001, v110
	v_mul_u32_u24_e32 v193, 0x10001, v193
	;; [unrolled: 1-line block ×4, first 2 shown]
	s_wait_dscnt 0x4
	v_pk_fma_f16 v19, v8, v108, v23
	v_pk_fma_f16 v23, v8, v212, v27
	;; [unrolled: 1-line block ×16, first 2 shown]
	ds_load_2addr_b64 v[52:55], v188 offset0:192 offset1:224
	s_wait_loadcnt_dscnt 0x0
	s_barrier_signal -1
	s_barrier_wait -1
	global_inv scope:SCOPE_SE
	s_load_b32 s2, s[54:55], 0x4
	v_lshrrev_b32_e32 v136, 16, v126
	v_lshrrev_b32_e32 v137, 16, v127
	v_and_b32_e32 v126, 0xffff, v126
	v_and_b32_e32 v127, 0xffff, v127
	v_mul_u32_u24_e32 v124, 0x10001, v124
	v_mul_u32_u24_e32 v211, 0x10001, v211
	v_mul_u32_u24_e32 v125, 0x10001, v125
	v_mul_u32_u24_e32 v231, 0x10001, v234
	v_pk_fma_f16 v15, v4, v110, v19
	v_pk_fma_f16 v19, v4, v193, v23
	v_pk_fma_f16 v23, v4, v111, v27
	v_pk_fma_f16 v4, v4, v194, v8
	v_pk_fma_f16 v8, v5, v110, v12
	v_pk_fma_f16 v12, v5, v193, v16
	v_pk_fma_f16 v16, v5, v111, v20
	v_pk_fma_f16 v5, v5, v194, v9
	v_pk_fma_f16 v9, v6, v110, v13
	v_pk_fma_f16 v13, v6, v193, v17
	v_pk_fma_f16 v17, v6, v111, v21
	v_pk_fma_f16 v6, v6, v194, v10
	v_pk_fma_f16 v10, v7, v110, v14
	v_pk_fma_f16 v14, v7, v193, v18
	v_pk_fma_f16 v18, v7, v111, v22
	v_pk_fma_f16 v7, v7, v194, v11
	v_lshrrev_b32_e32 v207, 16, v72
	v_lshrrev_b32_e32 v215, 16, v73
	v_and_b32_e32 v72, 0xffff, v72
	v_and_b32_e32 v73, 0xffff, v73
	v_mul_u32_u24_e32 v126, 0x10001, v126
	v_mul_u32_u24_e32 v136, 0x10001, v136
	v_mul_u32_u24_e32 v127, 0x10001, v127
	v_mul_u32_u24_e32 v137, 0x10001, v137
	v_pk_fma_f16 v11, v40, v124, v15
	v_pk_fma_f16 v15, v40, v211, v19
	v_pk_fma_f16 v19, v40, v125, v23
	v_pk_fma_f16 v4, v40, v231, v4
	v_pk_fma_f16 v8, v41, v124, v8
	v_pk_fma_f16 v12, v41, v211, v12
	v_pk_fma_f16 v16, v41, v125, v16
	v_pk_fma_f16 v5, v41, v231, v5
	v_pk_fma_f16 v9, v42, v124, v9
	v_pk_fma_f16 v13, v42, v211, v13
	v_pk_fma_f16 v17, v42, v125, v17
	v_pk_fma_f16 v6, v42, v231, v6
	v_pk_fma_f16 v10, v43, v124, v10
	v_pk_fma_f16 v14, v43, v211, v14
	v_pk_fma_f16 v18, v43, v125, v18
	v_pk_fma_f16 v7, v43, v231, v7
	;; [unrolled: 24-line block ×3, first 2 shown]
	v_mul_u32_u24_e32 v74, 0x10001, v74
	v_mul_u32_u24_e32 v132, 0x10001, v132
	;; [unrolled: 1-line block ×4, first 2 shown]
	v_pk_fma_f16 v11, v48, v72, v11
	v_pk_fma_f16 v15, v48, v207, v15
	;; [unrolled: 1-line block ×16, first 2 shown]
	s_wait_kmcnt 0x0
	s_lshl_b32 s2, s2, 6
	v_pk_fma_f16 v44, v52, v74, v11
	v_pk_fma_f16 v31, v52, v132, v15
	;; [unrolled: 1-line block ×16, first 2 shown]
	s_wait_alu 0xfffe
	s_add_co_i32 s36, s2, s36
	s_wait_alu 0xfffe
	s_cmp_ge_i32 s36, s34
	s_cbranch_scc0 .LBB0_9
; %bb.10:
	v_dual_mov_b32 v4, 32 :: v_dual_mov_b32 v5, v162
.LBB0_11:
	s_delay_alu instid0(VALU_DEP_1)
	v_cmp_lt_i32_e32 vcc_lo, v167, v4
	s_cmp_lg_u64 s[44:45], 0
	s_cselect_b32 s2, -1, 0
	s_cmp_eq_u32 s30, 0
	s_wait_alu 0xfffd
	v_cndmask_b32_e32 v6, v5, v167, vcc_lo
	v_cmp_lt_i32_e32 vcc_lo, v166, v4
	s_cselect_b32 s3, -1, 0
	s_wait_alu 0xfffe
	s_and_b32 s2, s3, s2
	v_lshlrev_b32_e32 v6, 2, v6
	ds_bpermute_b32 v7, v6, v190
	s_wait_dscnt 0x0
	v_add_f32_e32 v7, v190, v7
	ds_bpermute_b32 v9, v6, v192
	s_wait_alu 0xfffd
	v_cndmask_b32_e32 v10, v5, v166, vcc_lo
	ds_bpermute_b32 v8, v6, v191
	v_cmp_lt_i32_e32 vcc_lo, v165, v4
	ds_bpermute_b32 v6, v6, v189
	s_wait_dscnt 0x2
	v_dual_add_f32 v9, v192, v9 :: v_dual_lshlrev_b32 v10, 2, v10
	s_wait_dscnt 0x1
	v_add_f32_e32 v8, v191, v8
	ds_bpermute_b32 v13, v10, v9
	s_wait_dscnt 0x0
	v_add_f32_e32 v9, v9, v13
	ds_bpermute_b32 v11, v10, v7
	ds_bpermute_b32 v12, v10, v8
	s_wait_dscnt 0x1
	s_wait_alu 0xfffd
	v_dual_add_f32 v7, v7, v11 :: v_dual_cndmask_b32 v14, v5, v165
	s_wait_dscnt 0x0
	v_add_f32_e32 v8, v8, v12
	v_cmp_lt_i32_e32 vcc_lo, v164, v4
	s_delay_alu instid0(VALU_DEP_3)
	v_lshlrev_b32_e32 v14, 2, v14
	ds_bpermute_b32 v12, v14, v9
	s_wait_dscnt 0x0
	v_add_f32_e32 v9, v9, v12
	ds_bpermute_b32 v11, v14, v8
	s_wait_dscnt 0x0
	v_add_f32_e32 v8, v8, v11
	v_add_f32_e32 v6, v189, v6
	ds_bpermute_b32 v10, v10, v6
	s_wait_dscnt 0x0
	v_add_f32_e32 v6, v6, v10
	ds_bpermute_b32 v10, v14, v7
	ds_bpermute_b32 v13, v14, v6
	s_wait_alu 0xfffd
	v_cndmask_b32_e32 v14, v5, v164, vcc_lo
	v_cmp_lt_i32_e32 vcc_lo, v163, v4
	s_delay_alu instid0(VALU_DEP_2)
	v_lshlrev_b32_e32 v14, 2, v14
	s_wait_alu 0xfffd
	v_cndmask_b32_e32 v4, v5, v163, vcc_lo
	s_wait_alu 0xfffe
	s_and_b32 vcc_lo, exec_lo, s2
	ds_bpermute_b32 v11, v14, v8
	ds_bpermute_b32 v12, v14, v9
	s_wait_dscnt 0x3
	v_dual_add_f32 v7, v7, v10 :: v_dual_lshlrev_b32 v4, 2, v4
	s_wait_dscnt 0x2
	v_add_f32_e32 v6, v6, v13
	ds_bpermute_b32 v10, v14, v7
	ds_bpermute_b32 v13, v14, v6
	s_wait_dscnt 0x1
	v_add_f32_e32 v5, v7, v10
	v_dual_add_f32 v7, v8, v11 :: v_dual_add_f32 v8, v9, v12
	s_wait_dscnt 0x0
	v_add_f32_e32 v9, v6, v13
	ds_bpermute_b32 v6, v4, v5
	ds_bpermute_b32 v10, v4, v7
	;; [unrolled: 1-line block ×4, first 2 shown]
	s_wait_dscnt 0x3
	v_add_f32_e32 v4, v5, v6
	s_wait_dscnt 0x1
	v_dual_add_f32 v5, v7, v10 :: v_dual_add_f32 v6, v8, v11
	s_wait_dscnt 0x0
	v_add_f32_e32 v7, v9, v12
	s_wait_alu 0xfffe
	s_cbranch_vccz .LBB0_14
; %bb.12:
	v_dual_max_num_f32 v13, v1, v1 :: v_dual_add_nc_u32 v8, s31, v160
	s_delay_alu instid0(VALU_DEP_1) | instskip(NEXT) | instid1(VALU_DEP_1)
	v_ashrrev_i32_e32 v9, 31, v8
	v_lshlrev_b64_e32 v[8:9], 2, v[8:9]
	s_delay_alu instid0(VALU_DEP_1) | instskip(SKIP_1) | instid1(VALU_DEP_2)
	v_add_co_u32 v8, vcc_lo, s44, v8
	s_wait_alu 0xfffd
	v_add_co_ci_u32_e64 v9, null, s45, v9, vcc_lo
	global_load_b128 v[8:11], v[8:9], off
	v_max_num_f32_e32 v12, v0, v0
	s_wait_loadcnt 0x0
	v_dual_max_num_f32 v14, v2, v2 :: v_dual_max_num_f32 v15, v8, v8
	v_dual_max_num_f32 v17, v9, v9 :: v_dual_max_num_f32 v18, v10, v10
	v_max_num_f32_e32 v19, v11, v11
	s_delay_alu instid0(VALU_DEP_2) | instskip(NEXT) | instid1(VALU_DEP_4)
	v_dual_max_num_f32 v16, v3, v3 :: v_dual_max_num_f32 v13, v13, v17
	v_max_num_f32_e32 v12, v12, v15
	s_delay_alu instid0(VALU_DEP_2) | instskip(NEXT) | instid1(VALU_DEP_2)
	v_dual_max_num_f32 v14, v14, v18 :: v_dual_max_num_f32 v15, v16, v19
	v_dual_sub_f32 v17, v1, v13 :: v_dual_sub_f32 v16, v0, v12
	s_delay_alu instid0(VALU_DEP_2) | instskip(NEXT) | instid1(VALU_DEP_3)
	v_dual_sub_f32 v9, v9, v13 :: v_dual_sub_f32 v18, v2, v14
	v_dual_sub_f32 v11, v11, v15 :: v_dual_sub_f32 v10, v10, v14
	;; [unrolled: 1-line block ×3, first 2 shown]
	v_dual_mov_b32 v0, v12 :: v_dual_mov_b32 v3, v15
	v_dual_mov_b32 v1, v13 :: v_dual_mov_b32 v2, v14
	s_delay_alu instid0(VALU_DEP_3) | instskip(SKIP_3) | instid1(VALU_DEP_3)
	v_mul_f32_e32 v13, 0x3fb8aa3b, v8
	v_dual_mul_f32 v12, 0x3fb8aa3b, v16 :: v_dual_mul_f32 v15, 0x3fb8aa3b, v9
	v_dual_mul_f32 v14, 0x3fb8aa3b, v17 :: v_dual_mul_f32 v21, 0x3fb8aa3b, v10
	;; [unrolled: 1-line block ×3, first 2 shown]
	v_fma_f32 v39, 0x3fb8aa3b, v16, -v12
	v_rndne_f32_e32 v40, v12
	s_delay_alu instid0(VALU_DEP_4) | instskip(NEXT) | instid1(VALU_DEP_4)
	v_fma_f32 v50, 0x3fb8aa3b, v10, -v21
	v_rndne_f32_e32 v49, v20
	v_rndne_f32_e32 v51, v21
	v_fma_f32 v41, 0x3fb8aa3b, v8, -v13
	v_rndne_f32_e32 v42, v13
	v_mul_f32_e32 v22, 0x3fb8aa3b, v19
	v_fma_f32 v43, 0x3fb8aa3b, v17, -v14
	v_rndne_f32_e32 v45, v14
	v_fma_f32 v48, 0x3fb8aa3b, v18, -v20
	v_fma_f32 v54, 0x3fb8aa3b, v11, -v23
	v_rndne_f32_e32 v55, v23
	s_delay_alu instid0(VALU_DEP_4) | instskip(SKIP_2) | instid1(VALU_DEP_4)
	v_dual_fmac_f32 v39, 0x32a5705f, v16 :: v_dual_sub_f32 v14, v14, v45
	v_dual_sub_f32 v12, v12, v40 :: v_dual_fmac_f32 v43, 0x32a5705f, v17
	v_dual_sub_f32 v20, v20, v49 :: v_dual_sub_f32 v21, v21, v51
	v_dual_fmac_f32 v50, 0x32a5705f, v10 :: v_dual_sub_f32 v23, v23, v55
	v_fma_f32 v46, 0x3fb8aa3b, v9, -v15
	v_fmac_f32_e32 v41, 0x32a5705f, v8
	v_sub_f32_e32 v13, v13, v42
	v_fma_f32 v52, 0x3fb8aa3b, v19, -v22
	v_dual_fmac_f32 v54, 0x32a5705f, v11 :: v_dual_add_f32 v21, v21, v50
	v_add_f32_e32 v12, v12, v39
	v_fmac_f32_e32 v46, 0x32a5705f, v9
	s_delay_alu instid0(VALU_DEP_4) | instskip(NEXT) | instid1(VALU_DEP_4)
	v_dual_fmac_f32 v52, 0x32a5705f, v19 :: v_dual_add_f32 v13, v13, v41
	v_add_f32_e32 v23, v23, v54
	s_delay_alu instid0(VALU_DEP_4)
	v_exp_f32_e32 v12, v12
	v_cvt_i32_f32_e32 v40, v40
	v_rndne_f32_e32 v47, v15
	v_exp_f32_e32 v13, v13
	v_exp_f32_e32 v23, v23
	v_cvt_i32_f32_e32 v42, v42
	v_cvt_i32_f32_e32 v41, v55
	v_cmp_ngt_f32_e32 vcc_lo, 0xc2ce8ed0, v16
	v_rndne_f32_e32 v53, v22
	v_dual_sub_f32 v15, v15, v47 :: v_dual_fmac_f32 v48, 0x32a5705f, v18
	v_ldexp_f32 v12, v12, v40
	v_cvt_i32_f32_e32 v45, v45
	s_delay_alu instid0(TRANS32_DEP_2) | instskip(NEXT) | instid1(TRANS32_DEP_1)
	v_ldexp_f32 v13, v13, v42
	v_ldexp_f32 v23, v23, v41
	v_dual_sub_f32 v22, v22, v53 :: v_dual_add_f32 v15, v15, v46
	s_wait_alu 0xfffd
	v_cndmask_b32_e32 v12, 0, v12, vcc_lo
	v_cmp_ngt_f32_e32 vcc_lo, 0xc2ce8ed0, v8
	v_add_f32_e32 v14, v14, v43
	v_cvt_i32_f32_e32 v47, v47
	v_exp_f32_e32 v15, v15
	v_cvt_i32_f32_e32 v49, v49
	s_wait_alu 0xfffd
	v_cndmask_b32_e32 v13, 0, v13, vcc_lo
	v_exp_f32_e32 v14, v14
	v_cmp_ngt_f32_e32 vcc_lo, 0xc2ce8ed0, v17
	v_exp_f32_e32 v21, v21
	v_cvt_i32_f32_e32 v51, v51
	v_cvt_i32_f32_e32 v39, v53
	s_delay_alu instid0(TRANS32_DEP_3) | instskip(NEXT) | instid1(TRANS32_DEP_2)
	v_ldexp_f32 v15, v15, v47
	v_ldexp_f32 v14, v14, v45
	s_delay_alu instid0(TRANS32_DEP_1) | instid1(VALU_DEP_4)
	v_ldexp_f32 v21, v21, v51
	s_wait_alu 0xfffd
	s_delay_alu instid0(VALU_DEP_2) | instskip(SKIP_3) | instid1(VALU_DEP_1)
	v_cndmask_b32_e32 v14, 0, v14, vcc_lo
	v_cmp_ngt_f32_e32 vcc_lo, 0xc2ce8ed0, v9
	s_wait_alu 0xfffd
	v_dual_add_f32 v20, v20, v48 :: v_dual_cndmask_b32 v15, 0, v15
	v_exp_f32_e32 v20, v20
	v_cmp_ngt_f32_e32 vcc_lo, 0xc2ce8ed0, v18
	s_delay_alu instid0(TRANS32_DEP_1) | instskip(SKIP_1) | instid1(VALU_DEP_1)
	v_ldexp_f32 v20, v20, v49
	s_wait_alu 0xfffd
	v_cndmask_b32_e32 v20, 0, v20, vcc_lo
	v_cmp_ngt_f32_e32 vcc_lo, 0xc2ce8ed0, v10
	s_wait_alu 0xfffd
	v_dual_add_f32 v22, v22, v52 :: v_dual_cndmask_b32 v21, 0, v21
	s_delay_alu instid0(VALU_DEP_1) | instskip(SKIP_1) | instid1(TRANS32_DEP_1)
	v_exp_f32_e32 v22, v22
	v_cmp_ngt_f32_e32 vcc_lo, 0xc2ce8ed0, v19
	v_ldexp_f32 v22, v22, v39
	s_wait_alu 0xfffd
	s_delay_alu instid0(VALU_DEP_1)
	v_cndmask_b32_e32 v22, 0, v22, vcc_lo
	v_cmp_ngt_f32_e32 vcc_lo, 0xc2ce8ed0, v11
	s_wait_alu 0xfffd
	v_cndmask_b32_e32 v23, 0, v23, vcc_lo
	v_cmp_nlt_f32_e32 vcc_lo, 0x42b17218, v16
	s_wait_alu 0xfffd
	v_cndmask_b32_e32 v12, 0x7f800000, v12, vcc_lo
	v_cmp_nlt_f32_e32 vcc_lo, 0x42b17218, v8
	;; [unrolled: 3-line block ×7, first 2 shown]
	s_delay_alu instid0(VALU_DEP_2) | instskip(SKIP_2) | instid1(VALU_DEP_2)
	v_dual_fmac_f32 v10, v6, v14 :: v_dual_fmac_f32 v9, v5, v13
	v_cvt_f16_f32_e32 v5, v13
	v_cvt_f16_f32_e32 v6, v14
	v_and_b32_e32 v13, 0xffff, v5
	s_delay_alu instid0(VALU_DEP_4)
	v_dual_mov_b32 v5, v9 :: v_dual_fmac_f32 v8, v4, v12
	s_wait_alu 0xfffd
	v_cndmask_b32_e32 v15, 0x7f800000, v22, vcc_lo
	v_cmp_nlt_f32_e32 vcc_lo, 0x42b17218, v11
	v_cvt_f16_f32_e32 v4, v12
	v_and_b32_e32 v14, 0xffff, v6
	v_mov_b32_e32 v6, v10
	v_mul_u32_u24_e32 v13, 0x10001, v13
	s_wait_alu 0xfffd
	v_cndmask_b32_e32 v11, 0x7f800000, v23, vcc_lo
	v_mul_u32_u24_e32 v14, 0x10001, v14
	s_delay_alu instid0(VALU_DEP_3) | instskip(NEXT) | instid1(VALU_DEP_3)
	v_pk_mul_f16 v31, v31, v13
	v_fmac_f32_e32 v11, v7, v15
	v_dual_mov_b32 v4, v8 :: v_dual_and_b32 v7, 0xffff, v4
	v_cvt_f16_f32_e32 v12, v15
	v_pk_mul_f16 v35, v35, v13
	v_pk_mul_f16 v33, v33, v13
	s_delay_alu instid0(VALU_DEP_4)
	v_mul_u32_u24_e32 v7, 0x10001, v7
	v_pk_mul_f16 v34, v34, v13
	v_and_b32_e32 v12, 0xffff, v12
	v_pk_mul_f16 v32, v32, v14
	v_pk_mul_f16 v30, v30, v14
	;; [unrolled: 1-line block ×4, first 2 shown]
	v_mul_u32_u24_e32 v12, 0x10001, v12
	v_pk_mul_f16 v36, v36, v7
	v_pk_mul_f16 v37, v37, v7
	v_pk_mul_f16 v28, v28, v14
	v_pk_mul_f16 v29, v29, v14
	v_pk_mul_f16 v26, v26, v12
	v_pk_mul_f16 v27, v27, v12
	v_pk_mul_f16 v25, v25, v12
	v_pk_mul_f16 v24, v24, v12
	v_mov_b32_e32 v7, v11
	s_mov_b32 s2, exec_lo
	v_cmpx_gt_i32_e64 s26, v140
	s_cbranch_execnz .LBB0_15
.LBB0_13:
	s_nop 0
	s_sendmsg sendmsg(MSG_DEALLOC_VGPRS)
	s_endpgm
.LBB0_14:
	s_delay_alu instid0(VALU_DEP_1)
	v_dual_mov_b32 v11, v7 :: v_dual_mov_b32 v10, v6
	v_dual_mov_b32 v9, v5 :: v_dual_mov_b32 v8, v4
	s_mov_b32 s2, exec_lo
	v_cmpx_gt_i32_e64 s26, v140
	s_cbranch_execz .LBB0_13
.LBB0_15:
	s_load_b32 s1, s[0:1], 0xd4
	v_mov_b32_e32 v14, 1.0
	s_wait_kmcnt 0x0
	s_cmp_lg_u32 s1, 1
	s_cselect_b32 s3, -1, 0
	s_cmp_eq_u32 s1, 1
	s_cselect_b32 s2, -1, 0
	s_wait_alu 0xfffe
	s_and_b32 vcc_lo, exec_lo, s3
	s_wait_alu 0xfffe
	s_cbranch_vccnz .LBB0_17
; %bb.16:
	v_div_scale_f32 v12, null, v4, v4, 1.0
	s_delay_alu instid0(VALU_DEP_1) | instskip(NEXT) | instid1(TRANS32_DEP_1)
	v_rcp_f32_e32 v13, v12
	v_fma_f32 v14, -v12, v13, 1.0
	s_delay_alu instid0(VALU_DEP_1) | instskip(SKIP_1) | instid1(VALU_DEP_1)
	v_fmac_f32_e32 v13, v14, v13
	v_div_scale_f32 v14, vcc_lo, 1.0, v4, 1.0
	v_mul_f32_e32 v15, v14, v13
	s_delay_alu instid0(VALU_DEP_1) | instskip(NEXT) | instid1(VALU_DEP_1)
	v_fma_f32 v16, -v12, v15, v14
	v_fmac_f32_e32 v15, v16, v13
	s_delay_alu instid0(VALU_DEP_1) | instskip(SKIP_1) | instid1(VALU_DEP_1)
	v_fma_f32 v12, -v12, v15, v14
	s_wait_alu 0xfffd
	v_div_fmas_f32 v12, v12, v13, v15
	s_delay_alu instid0(VALU_DEP_1)
	v_div_fixup_f32 v14, v12, v4, 1.0
.LBB0_17:
	v_mad_co_u64_u32 v[12:13], null, s28, s26, v[140:141]
	v_lshrrev_b32_e32 v15, 16, v38
	v_cvt_f32_f16_e32 v16, v38
	v_lshrrev_b32_e32 v18, 16, v44
	v_mov_b32_e32 v38, 0
	v_lshrrev_b32_e32 v20, 16, v37
	v_cvt_f32_f16_e32 v19, v44
	v_mul_lo_u32 v4, v12, s27
	v_cvt_f32_f16_e32 v22, v36
	v_cvt_f32_f16_e32 v23, v15
	v_mul_f32_e32 v17, v14, v16
	v_cvt_f32_f16_e32 v16, v18
	v_cvt_f32_f16_e32 v20, v20
	v_mul_f32_e32 v15, v14, v19
	v_mul_f32_e32 v19, v14, v22
	v_add3_u32 v4, s31, v160, v4
	v_mul_f32_e32 v16, v14, v16
	v_mul_f32_e32 v22, v14, v20
	v_cmp_eq_u32_e32 vcc_lo, 0, v141
	v_mul_f32_e32 v18, v14, v23
	v_mad_co_u64_u32 v[12:13], null, s1, v4, s[30:31]
	v_cvt_f32_f16_e32 v4, v37
	v_lshrrev_b32_e32 v13, 16, v36
	s_delay_alu instid0(VALU_DEP_2) | instskip(NEXT) | instid1(VALU_DEP_4)
	v_mul_f32_e32 v21, v14, v4
	v_lshl_add_u32 v37, v12, 8, v159
	s_delay_alu instid0(VALU_DEP_3) | instskip(NEXT) | instid1(VALU_DEP_2)
	v_cvt_f32_f16_e32 v4, v13
	v_lshlrev_b64_e32 v[39:40], 2, v[37:38]
	s_delay_alu instid0(VALU_DEP_2) | instskip(NEXT) | instid1(VALU_DEP_1)
	v_dual_mul_f32 v20, v14, v4 :: v_dual_add_nc_u32 v37, 0x80, v37
	v_lshlrev_b64_e32 v[13:14], 2, v[37:38]
	s_delay_alu instid0(VALU_DEP_3) | instskip(SKIP_1) | instid1(VALU_DEP_4)
	v_add_co_u32 v36, s0, s48, v39
	s_wait_alu 0xf1ff
	v_add_co_ci_u32_e64 v37, null, s49, v40, s0
	s_delay_alu instid0(VALU_DEP_3)
	v_add_co_u32 v13, s0, s48, v13
	s_wait_alu 0xf1ff
	v_add_co_ci_u32_e64 v14, null, s49, v14, s0
	s_and_b32 s0, vcc_lo, s3
	s_clause 0x1
	global_store_b128 v[36:37], v[15:18], off
	global_store_b128 v[13:14], v[19:22], off
	s_wait_alu 0xfffe
	s_and_saveexec_b32 s3, s0
	s_cbranch_execz .LBB0_19
; %bb.18:
	v_ashrrev_i32_e32 v13, 31, v12
	v_dual_mov_b32 v15, v0 :: v_dual_mov_b32 v16, v8
	s_delay_alu instid0(VALU_DEP_2) | instskip(NEXT) | instid1(VALU_DEP_1)
	v_lshlrev_b64_e32 v[13:14], 3, v[12:13]
	v_add_co_u32 v13, vcc_lo, s50, v13
	s_wait_alu 0xfffd
	s_delay_alu instid0(VALU_DEP_2)
	v_add_co_ci_u32_e64 v14, null, s51, v14, vcc_lo
	global_store_b64 v[13:14], v[15:16], off
.LBB0_19:
	s_wait_alu 0xfffe
	s_or_b32 exec_lo, exec_lo, s3
	v_cndmask_b32_e64 v13, 0, 1, s2
	v_mov_b32_e32 v0, 1.0
	s_and_not1_b32 vcc_lo, exec_lo, s2
	s_wait_alu 0xfffe
	s_cbranch_vccnz .LBB0_21
; %bb.20:
	v_div_scale_f32 v0, null, v5, v5, 1.0
	s_delay_alu instid0(VALU_DEP_1) | instskip(NEXT) | instid1(TRANS32_DEP_1)
	v_rcp_f32_e32 v4, v0
	v_fma_f32 v8, -v0, v4, 1.0
	s_delay_alu instid0(VALU_DEP_1) | instskip(SKIP_1) | instid1(VALU_DEP_1)
	v_fmac_f32_e32 v4, v8, v4
	v_div_scale_f32 v8, vcc_lo, 1.0, v5, 1.0
	v_mul_f32_e32 v14, v8, v4
	s_delay_alu instid0(VALU_DEP_1) | instskip(NEXT) | instid1(VALU_DEP_1)
	v_fma_f32 v15, -v0, v14, v8
	v_fmac_f32_e32 v14, v15, v4
	s_delay_alu instid0(VALU_DEP_1) | instskip(SKIP_1) | instid1(VALU_DEP_1)
	v_fma_f32 v0, -v0, v14, v8
	s_wait_alu 0xfffd
	v_div_fmas_f32 v0, v0, v4, v14
	s_delay_alu instid0(VALU_DEP_1)
	v_div_fixup_f32 v0, v0, v5, 1.0
.LBB0_21:
	v_lshrrev_b32_e32 v5, 16, v35
	v_dual_mov_b32 v19, 0 :: v_dual_add_nc_u32 v4, s1, v12
	v_lshrrev_b32_e32 v8, 16, v31
	v_cvt_f32_f16_e32 v12, v35
	s_delay_alu instid0(VALU_DEP_4) | instskip(NEXT) | instid1(VALU_DEP_4)
	v_cvt_f32_f16_e32 v5, v5
	v_lshl_add_u32 v18, v4, 8, v159
	v_cvt_f32_f16_e32 v14, v31
	v_cvt_f32_f16_e32 v8, v8
	v_mul_f32_e32 v16, v0, v12
	v_mul_f32_e32 v17, v0, v5
	v_lshlrev_b64_e32 v[20:21], 2, v[18:19]
	s_delay_alu instid0(VALU_DEP_4)
	v_dual_mul_f32 v15, v0, v8 :: v_dual_add_nc_u32 v18, 0x80, v18
	v_lshrrev_b32_e32 v5, 16, v34
	v_lshrrev_b32_e32 v8, 16, v33
	v_cvt_f32_f16_e32 v12, v34
	v_cvt_f32_f16_e32 v31, v33
	v_lshlrev_b64_e32 v[33:34], 2, v[18:19]
	v_cvt_f32_f16_e32 v5, v5
	v_cvt_f32_f16_e32 v8, v8
	v_add_co_u32 v22, vcc_lo, s48, v20
	s_wait_alu 0xfffd
	v_add_co_ci_u32_e64 v23, null, s49, v21, vcc_lo
	v_add_co_u32 v33, vcc_lo, s48, v33
	v_mul_f32_e32 v14, v0, v14
	v_mul_f32_e32 v21, v0, v5
	;; [unrolled: 1-line block ×5, first 2 shown]
	s_wait_alu 0xfffd
	v_add_co_ci_u32_e64 v34, null, s49, v34, vcc_lo
	s_clause 0x1
	global_store_b128 v[22:23], v[14:17], off
	global_store_b128 v[33:34], v[18:21], off
	s_and_saveexec_b32 s2, s0
	s_cbranch_execz .LBB0_23
; %bb.22:
	v_ashrrev_i32_e32 v5, 31, v4
	v_mov_b32_e32 v8, v1
	s_delay_alu instid0(VALU_DEP_2) | instskip(NEXT) | instid1(VALU_DEP_1)
	v_lshlrev_b64_e32 v[14:15], 3, v[4:5]
	v_add_co_u32 v14, vcc_lo, s50, v14
	s_wait_alu 0xfffd
	s_delay_alu instid0(VALU_DEP_2)
	v_add_co_ci_u32_e64 v15, null, s51, v15, vcc_lo
	global_store_b64 v[14:15], v[8:9], off
.LBB0_23:
	s_wait_alu 0xfffe
	s_or_b32 exec_lo, exec_lo, s2
	v_cmp_ne_u32_e32 vcc_lo, 1, v13
	v_mov_b32_e32 v1, 1.0
	s_cbranch_vccnz .LBB0_25
; %bb.24:
	v_div_scale_f32 v0, null, v6, v6, 1.0
	s_delay_alu instid0(VALU_DEP_1) | instskip(NEXT) | instid1(TRANS32_DEP_1)
	v_rcp_f32_e32 v1, v0
	v_fma_f32 v5, -v0, v1, 1.0
	s_delay_alu instid0(VALU_DEP_1) | instskip(SKIP_1) | instid1(VALU_DEP_1)
	v_fmac_f32_e32 v1, v5, v1
	v_div_scale_f32 v5, vcc_lo, 1.0, v6, 1.0
	v_mul_f32_e32 v8, v5, v1
	s_delay_alu instid0(VALU_DEP_1) | instskip(NEXT) | instid1(VALU_DEP_1)
	v_fma_f32 v9, -v0, v8, v5
	v_fmac_f32_e32 v8, v9, v1
	s_delay_alu instid0(VALU_DEP_1) | instskip(SKIP_1) | instid1(VALU_DEP_1)
	v_fma_f32 v0, -v0, v8, v5
	s_wait_alu 0xfffd
	v_div_fmas_f32 v0, v0, v1, v8
	s_delay_alu instid0(VALU_DEP_1)
	v_div_fixup_f32 v1, v0, v6, 1.0
.LBB0_25:
	v_lshrrev_b32_e32 v6, 16, v30
	v_dual_mov_b32 v5, 0 :: v_dual_add_nc_u32 v0, s1, v4
	v_lshrrev_b32_e32 v8, 16, v32
	v_cvt_f32_f16_e32 v9, v30
	s_delay_alu instid0(VALU_DEP_4) | instskip(NEXT) | instid1(VALU_DEP_4)
	v_cvt_f32_f16_e32 v6, v6
	v_lshl_add_u32 v4, v0, 8, v159
	v_cvt_f32_f16_e32 v14, v32
	v_cvt_f32_f16_e32 v12, v8
	v_mul_f32_e32 v16, v1, v9
	v_mul_f32_e32 v17, v1, v6
	v_lshlrev_b64_e32 v[8:9], 2, v[4:5]
	v_add_nc_u32_e32 v4, 0x80, v4
	v_mul_f32_e32 v15, v1, v12
	v_lshrrev_b32_e32 v6, 16, v29
	v_lshrrev_b32_e32 v12, 16, v28
	v_cvt_f32_f16_e32 v18, v29
	v_lshlrev_b64_e32 v[4:5], 2, v[4:5]
	v_cvt_f32_f16_e32 v22, v28
	v_cvt_f32_f16_e32 v6, v6
	;; [unrolled: 1-line block ×3, first 2 shown]
	v_add_co_u32 v8, vcc_lo, s48, v8
	s_wait_alu 0xfffd
	v_add_co_ci_u32_e64 v9, null, s49, v9, vcc_lo
	v_add_co_u32 v4, vcc_lo, s48, v4
	v_mul_f32_e32 v14, v1, v14
	v_mul_f32_e32 v21, v1, v6
	;; [unrolled: 1-line block ×5, first 2 shown]
	s_wait_alu 0xfffd
	v_add_co_ci_u32_e64 v5, null, s49, v5, vcc_lo
	s_clause 0x1
	global_store_b128 v[8:9], v[14:17], off
	global_store_b128 v[4:5], v[18:21], off
	s_and_saveexec_b32 s2, s0
	s_cbranch_execz .LBB0_27
; %bb.26:
	v_ashrrev_i32_e32 v1, 31, v0
	v_mov_b32_e32 v9, v2
	s_delay_alu instid0(VALU_DEP_2) | instskip(NEXT) | instid1(VALU_DEP_1)
	v_lshlrev_b64_e32 v[4:5], 3, v[0:1]
	v_add_co_u32 v4, vcc_lo, s50, v4
	s_wait_alu 0xfffd
	s_delay_alu instid0(VALU_DEP_2)
	v_add_co_ci_u32_e64 v5, null, s51, v5, vcc_lo
	global_store_b64 v[4:5], v[9:10], off
.LBB0_27:
	s_wait_alu 0xfffe
	s_or_b32 exec_lo, exec_lo, s2
	v_cmp_ne_u32_e32 vcc_lo, 1, v13
	v_mov_b32_e32 v1, 1.0
	s_cbranch_vccnz .LBB0_29
; %bb.28:
	v_div_scale_f32 v1, null, v7, v7, 1.0
	s_delay_alu instid0(VALU_DEP_1) | instskip(NEXT) | instid1(TRANS32_DEP_1)
	v_rcp_f32_e32 v2, v1
	v_fma_f32 v4, -v1, v2, 1.0
	s_delay_alu instid0(VALU_DEP_1) | instskip(SKIP_1) | instid1(VALU_DEP_1)
	v_fmac_f32_e32 v2, v4, v2
	v_div_scale_f32 v4, vcc_lo, 1.0, v7, 1.0
	v_mul_f32_e32 v5, v4, v2
	s_delay_alu instid0(VALU_DEP_1) | instskip(NEXT) | instid1(VALU_DEP_1)
	v_fma_f32 v6, -v1, v5, v4
	v_fmac_f32_e32 v5, v6, v2
	s_delay_alu instid0(VALU_DEP_1) | instskip(SKIP_1) | instid1(VALU_DEP_1)
	v_fma_f32 v1, -v1, v5, v4
	s_wait_alu 0xfffd
	v_div_fmas_f32 v1, v1, v2, v5
	s_delay_alu instid0(VALU_DEP_1)
	v_div_fixup_f32 v1, v1, v7, 1.0
.LBB0_29:
	v_lshrrev_b32_e32 v2, 16, v27
	v_dual_mov_b32 v9, 0 :: v_dual_add_nc_u32 v0, s1, v0
	v_lshrrev_b32_e32 v4, 16, v26
	v_cvt_f32_f16_e32 v5, v27
	s_delay_alu instid0(VALU_DEP_4) | instskip(NEXT) | instid1(VALU_DEP_4)
	v_cvt_f32_f16_e32 v2, v2
	v_lshl_add_u32 v8, v0, 8, v159
	v_cvt_f32_f16_e32 v10, v26
	v_cvt_f32_f16_e32 v4, v4
	v_mul_f32_e32 v6, v1, v5
	v_mul_f32_e32 v7, v1, v2
	v_lshlrev_b64_e32 v[12:13], 2, v[8:9]
	v_add_nc_u32_e32 v8, 0x80, v8
	v_mul_f32_e32 v5, v1, v4
	v_mul_f32_e32 v4, v1, v10
	v_lshrrev_b32_e32 v2, 16, v24
	v_lshrrev_b32_e32 v10, 16, v25
	v_lshlrev_b64_e32 v[8:9], 2, v[8:9]
	v_add_co_u32 v16, vcc_lo, s48, v12
	s_delay_alu instid0(VALU_DEP_4)
	v_cvt_f32_f16_e32 v2, v2
	v_cvt_f32_f16_e32 v12, v24
	;; [unrolled: 1-line block ×4, first 2 shown]
	s_wait_alu 0xfffd
	v_add_co_ci_u32_e64 v17, null, s49, v13, vcc_lo
	v_mul_f32_e32 v15, v1, v2
	v_mul_f32_e32 v14, v1, v12
	;; [unrolled: 1-line block ×4, first 2 shown]
	v_add_co_u32 v1, vcc_lo, s48, v8
	s_wait_alu 0xfffd
	v_add_co_ci_u32_e64 v2, null, s49, v9, vcc_lo
	s_clause 0x1
	global_store_b128 v[16:17], v[4:7], off
	global_store_b128 v[1:2], v[12:15], off
	s_and_b32 exec_lo, exec_lo, s0
	s_cbranch_execz .LBB0_13
; %bb.30:
	v_ashrrev_i32_e32 v1, 31, v0
	v_mov_b32_e32 v10, v3
	s_delay_alu instid0(VALU_DEP_2) | instskip(NEXT) | instid1(VALU_DEP_1)
	v_lshlrev_b64_e32 v[0:1], 3, v[0:1]
	v_add_co_u32 v0, vcc_lo, s50, v0
	s_wait_alu 0xfffd
	s_delay_alu instid0(VALU_DEP_2)
	v_add_co_ci_u32_e64 v1, null, s51, v1, vcc_lo
	global_store_b64 v[0:1], v[10:11], off
	s_nop 0
	s_sendmsg sendmsg(MSG_DEALLOC_VGPRS)
	s_endpgm
	.section	.rodata,"a",@progbits
	.p2align	6, 0x0
	.amdhsa_kernel _ZL15flash_attn_tileILi256ELi256ELi4ELi8ELb0EEvPKcS1_S1_S1_S1_PKiPfP15HIP_vector_typeIfLj2EEffffjfiS5_IjLj3EEiiiiiiiiiiiliiliiiiil
		.amdhsa_group_segment_fixed_size 37888
		.amdhsa_private_segment_fixed_size 0
		.amdhsa_kernarg_size 464
		.amdhsa_user_sgpr_count 2
		.amdhsa_user_sgpr_dispatch_ptr 0
		.amdhsa_user_sgpr_queue_ptr 0
		.amdhsa_user_sgpr_kernarg_segment_ptr 1
		.amdhsa_user_sgpr_dispatch_id 0
		.amdhsa_user_sgpr_private_segment_size 0
		.amdhsa_wavefront_size32 1
		.amdhsa_uses_dynamic_stack 0
		.amdhsa_enable_private_segment 0
		.amdhsa_system_sgpr_workgroup_id_x 1
		.amdhsa_system_sgpr_workgroup_id_y 1
		.amdhsa_system_sgpr_workgroup_id_z 1
		.amdhsa_system_sgpr_workgroup_info 0
		.amdhsa_system_vgpr_workitem_id 1
		.amdhsa_next_free_vgpr 238
		.amdhsa_next_free_sgpr 56
		.amdhsa_reserve_vcc 1
		.amdhsa_float_round_mode_32 0
		.amdhsa_float_round_mode_16_64 0
		.amdhsa_float_denorm_mode_32 3
		.amdhsa_float_denorm_mode_16_64 3
		.amdhsa_fp16_overflow 0
		.amdhsa_workgroup_processor_mode 1
		.amdhsa_memory_ordered 1
		.amdhsa_forward_progress 1
		.amdhsa_inst_pref_size 192
		.amdhsa_round_robin_scheduling 0
		.amdhsa_exception_fp_ieee_invalid_op 0
		.amdhsa_exception_fp_denorm_src 0
		.amdhsa_exception_fp_ieee_div_zero 0
		.amdhsa_exception_fp_ieee_overflow 0
		.amdhsa_exception_fp_ieee_underflow 0
		.amdhsa_exception_fp_ieee_inexact 0
		.amdhsa_exception_int_div_zero 0
	.end_amdhsa_kernel
	.section	.text._ZL15flash_attn_tileILi256ELi256ELi4ELi8ELb0EEvPKcS1_S1_S1_S1_PKiPfP15HIP_vector_typeIfLj2EEffffjfiS5_IjLj3EEiiiiiiiiiiiliiliiiiil,"axG",@progbits,_ZL15flash_attn_tileILi256ELi256ELi4ELi8ELb0EEvPKcS1_S1_S1_S1_PKiPfP15HIP_vector_typeIfLj2EEffffjfiS5_IjLj3EEiiiiiiiiiiiliiliiiiil,comdat
.Lfunc_end0:
	.size	_ZL15flash_attn_tileILi256ELi256ELi4ELi8ELb0EEvPKcS1_S1_S1_S1_PKiPfP15HIP_vector_typeIfLj2EEffffjfiS5_IjLj3EEiiiiiiiiiiiliiliiiiil, .Lfunc_end0-_ZL15flash_attn_tileILi256ELi256ELi4ELi8ELb0EEvPKcS1_S1_S1_S1_PKiPfP15HIP_vector_typeIfLj2EEffffjfiS5_IjLj3EEiiiiiiiiiiiliiliiiiil
                                        ; -- End function
	.set _ZL15flash_attn_tileILi256ELi256ELi4ELi8ELb0EEvPKcS1_S1_S1_S1_PKiPfP15HIP_vector_typeIfLj2EEffffjfiS5_IjLj3EEiiiiiiiiiiiliiliiiiil.num_vgpr, 238
	.set _ZL15flash_attn_tileILi256ELi256ELi4ELi8ELb0EEvPKcS1_S1_S1_S1_PKiPfP15HIP_vector_typeIfLj2EEffffjfiS5_IjLj3EEiiiiiiiiiiiliiliiiiil.num_agpr, 0
	.set _ZL15flash_attn_tileILi256ELi256ELi4ELi8ELb0EEvPKcS1_S1_S1_S1_PKiPfP15HIP_vector_typeIfLj2EEffffjfiS5_IjLj3EEiiiiiiiiiiiliiliiiiil.numbered_sgpr, 56
	.set _ZL15flash_attn_tileILi256ELi256ELi4ELi8ELb0EEvPKcS1_S1_S1_S1_PKiPfP15HIP_vector_typeIfLj2EEffffjfiS5_IjLj3EEiiiiiiiiiiiliiliiiiil.num_named_barrier, 0
	.set _ZL15flash_attn_tileILi256ELi256ELi4ELi8ELb0EEvPKcS1_S1_S1_S1_PKiPfP15HIP_vector_typeIfLj2EEffffjfiS5_IjLj3EEiiiiiiiiiiiliiliiiiil.private_seg_size, 0
	.set _ZL15flash_attn_tileILi256ELi256ELi4ELi8ELb0EEvPKcS1_S1_S1_S1_PKiPfP15HIP_vector_typeIfLj2EEffffjfiS5_IjLj3EEiiiiiiiiiiiliiliiiiil.uses_vcc, 1
	.set _ZL15flash_attn_tileILi256ELi256ELi4ELi8ELb0EEvPKcS1_S1_S1_S1_PKiPfP15HIP_vector_typeIfLj2EEffffjfiS5_IjLj3EEiiiiiiiiiiiliiliiiiil.uses_flat_scratch, 0
	.set _ZL15flash_attn_tileILi256ELi256ELi4ELi8ELb0EEvPKcS1_S1_S1_S1_PKiPfP15HIP_vector_typeIfLj2EEffffjfiS5_IjLj3EEiiiiiiiiiiiliiliiiiil.has_dyn_sized_stack, 0
	.set _ZL15flash_attn_tileILi256ELi256ELi4ELi8ELb0EEvPKcS1_S1_S1_S1_PKiPfP15HIP_vector_typeIfLj2EEffffjfiS5_IjLj3EEiiiiiiiiiiiliiliiiiil.has_recursion, 0
	.set _ZL15flash_attn_tileILi256ELi256ELi4ELi8ELb0EEvPKcS1_S1_S1_S1_PKiPfP15HIP_vector_typeIfLj2EEffffjfiS5_IjLj3EEiiiiiiiiiiiliiliiiiil.has_indirect_call, 0
	.section	.AMDGPU.csdata,"",@progbits
; Kernel info:
; codeLenInByte = 24472
; TotalNumSgprs: 58
; NumVgprs: 238
; ScratchSize: 0
; MemoryBound: 0
; FloatMode: 240
; IeeeMode: 1
; LDSByteSize: 37888 bytes/workgroup (compile time only)
; SGPRBlocks: 0
; VGPRBlocks: 29
; NumSGPRsForWavesPerEU: 58
; NumVGPRsForWavesPerEU: 238
; Occupancy: 6
; WaveLimiterHint : 1
; COMPUTE_PGM_RSRC2:SCRATCH_EN: 0
; COMPUTE_PGM_RSRC2:USER_SGPR: 2
; COMPUTE_PGM_RSRC2:TRAP_HANDLER: 0
; COMPUTE_PGM_RSRC2:TGID_X_EN: 1
; COMPUTE_PGM_RSRC2:TGID_Y_EN: 1
; COMPUTE_PGM_RSRC2:TGID_Z_EN: 1
; COMPUTE_PGM_RSRC2:TIDIG_COMP_CNT: 1
	.section	.text._ZL25flash_attn_mask_to_KV_maxILi4EEvPK7__half2Piiii,"axG",@progbits,_ZL25flash_attn_mask_to_KV_maxILi4EEvPK7__half2Piiii,comdat
	.globl	_ZL25flash_attn_mask_to_KV_maxILi4EEvPK7__half2Piiii ; -- Begin function _ZL25flash_attn_mask_to_KV_maxILi4EEvPK7__half2Piiii
	.p2align	8
	.type	_ZL25flash_attn_mask_to_KV_maxILi4EEvPK7__half2Piiii,@function
_ZL25flash_attn_mask_to_KV_maxILi4EEvPK7__half2Piiii: ; @_ZL25flash_attn_mask_to_KV_maxILi4EEvPK7__half2Piiii
; %bb.0:
	s_load_b64 s[8:9], s[0:1], 0x0
	s_mov_b32 s2, exec_lo
	v_cmpx_gt_u32_e32 32, v0
; %bb.1:
	v_dual_mov_b32 v2, 1 :: v_dual_lshlrev_b32 v1, 2, v0
	ds_store_b32 v1, v2
; %bb.2:
	s_or_b32 exec_lo, exec_lo, s2
	s_clause 0x2
	s_load_b96 s[4:6], s[0:1], 0x10
	s_load_b64 s[2:3], s[0:1], 0x8
	s_load_b32 s1, s[0:1], 0x20
	v_dual_mov_b32 v2, 0 :: v_dual_and_b32 v1, 31, v0
	v_lshrrev_b32_e32 v5, 3, v0
	s_wait_dscnt 0x0
	s_barrier_signal -1
	s_delay_alu instid0(VALU_DEP_2)
	v_lshlrev_b32_e32 v6, 2, v1
	s_barrier_wait -1
	global_inv scope:SCOPE_SE
	s_wait_kmcnt 0x0
	s_mul_i32 s0, ttmp9, s5
	s_mul_i32 s6, s6, ttmp7
	s_lshl_b32 s0, s0, 2
	s_delay_alu instid0(SALU_CYCLE_1) | instskip(SKIP_2) | instid1(SALU_CYCLE_1)
	s_add_co_i32 s6, s6, s0
	v_cmp_eq_u32_e64 s0, 0, v1
	s_ashr_i32 s7, s6, 31
	s_lshl_b64 s[6:7], s[6:7], 2
	s_delay_alu instid0(SALU_CYCLE_1)
	s_add_nc_u64 s[6:7], s[8:9], s[6:7]
	s_lshl_b32 s8, s4, 8
	s_branch .LBB1_4
.LBB1_3:                                ;   in Loop: Header=BB1_4 Depth=1
	s_wait_alu 0xfffe
	s_or_b32 exec_lo, exec_lo, s9
	s_wait_dscnt 0x0
	s_barrier_signal -1
	s_barrier_wait -1
	global_inv scope:SCOPE_SE
	ds_load_b32 v1, v6
	s_wait_loadcnt_dscnt 0x0
	s_barrier_signal -1
	s_barrier_wait -1
	global_inv scope:SCOPE_SE
	v_cmp_ne_u32_e32 vcc_lo, 0, v1
	s_cmp_lg_u32 vcc_lo, exec_lo
	s_cselect_b32 s9, -1, 0
	s_wait_alu 0xfffe
	s_and_b32 vcc_lo, exec_lo, s9
	s_wait_alu 0xfffe
	s_cbranch_vccnz .LBB1_20
.LBB1_4:                                ; =>This Inner Loop Header: Depth=1
	s_mov_b32 s4, s8
	s_addk_co_i32 s8, 0xff00
	s_wait_alu 0xfffe
	s_cmp_lt_i32 s8, 0
	s_cbranch_scc1 .LBB1_19
; %bb.5:                                ;   in Loop: Header=BB1_4 Depth=1
	s_lshr_b32 s9, s8, 1
	s_wait_alu 0xfffe
	v_add_nc_u32_e32 v1, s9, v0
	s_delay_alu instid0(VALU_DEP_1) | instskip(NEXT) | instid1(VALU_DEP_1)
	v_lshlrev_b64_e32 v[3:4], 2, v[1:2]
	v_add_co_u32 v3, vcc_lo, s6, v3
	s_wait_alu 0xfffd
	s_delay_alu instid0(VALU_DEP_2) | instskip(SKIP_4) | instid1(VALU_DEP_2)
	v_add_co_ci_u32_e64 v4, null, s7, v4, vcc_lo
	global_load_b32 v3, v[3:4], off
	s_wait_loadcnt 0x0
	v_lshrrev_b32_e32 v4, 16, v3
	v_cmp_class_f16_e64 s9, v3, 0x204
	v_cmp_class_f16_e64 s10, v4, 0x204
	s_and_b32 s11, s9, s10
	s_mov_b32 s10, 0
	s_wait_alu 0xfffe
	s_and_saveexec_b32 s9, s11
	s_cbranch_execz .LBB1_17
; %bb.6:                                ;   in Loop: Header=BB1_4 Depth=1
	v_add_nc_u32_e32 v3, s5, v1
	s_mov_b32 s11, 0
	s_delay_alu instid0(VALU_DEP_1) | instskip(NEXT) | instid1(VALU_DEP_1)
	v_ashrrev_i32_e32 v4, 31, v3
	v_lshlrev_b64_e32 v[7:8], 2, v[3:4]
	s_delay_alu instid0(VALU_DEP_1) | instskip(SKIP_1) | instid1(VALU_DEP_2)
	v_add_co_u32 v7, vcc_lo, s6, v7
	s_wait_alu 0xfffd
	v_add_co_ci_u32_e64 v8, null, s7, v8, vcc_lo
	global_load_b32 v1, v[7:8], off
	s_wait_loadcnt 0x0
	v_cmp_class_f16_e64 s12, v1, 0x204
	s_and_saveexec_b32 s10, s12
	s_cbranch_execz .LBB1_16
; %bb.7:                                ;   in Loop: Header=BB1_4 Depth=1
	v_lshrrev_b32_e32 v1, 16, v1
	s_mov_b32 s12, 0
	s_delay_alu instid0(VALU_DEP_1)
	v_cmp_class_f16_e64 s13, v1, 0x204
	s_and_saveexec_b32 s11, s13
	s_cbranch_execz .LBB1_15
; %bb.8:                                ;   in Loop: Header=BB1_4 Depth=1
	v_add_nc_u32_e32 v3, s5, v3
	s_mov_b32 s13, 0
	s_delay_alu instid0(VALU_DEP_1) | instskip(NEXT) | instid1(VALU_DEP_1)
	v_ashrrev_i32_e32 v4, 31, v3
	v_lshlrev_b64_e32 v[7:8], 2, v[3:4]
	s_delay_alu instid0(VALU_DEP_1) | instskip(SKIP_1) | instid1(VALU_DEP_2)
	v_add_co_u32 v7, vcc_lo, s6, v7
	s_wait_alu 0xfffd
	v_add_co_ci_u32_e64 v8, null, s7, v8, vcc_lo
	global_load_b32 v1, v[7:8], off
	s_wait_loadcnt 0x0
	v_cmp_class_f16_e64 s14, v1, 0x204
	s_and_saveexec_b32 s12, s14
	s_cbranch_execz .LBB1_14
; %bb.9:                                ;   in Loop: Header=BB1_4 Depth=1
	v_lshrrev_b32_e32 v1, 16, v1
	s_mov_b32 s14, 0
	s_delay_alu instid0(VALU_DEP_1)
	v_cmp_class_f16_e64 s15, v1, 0x204
	s_and_saveexec_b32 s13, s15
	s_cbranch_execz .LBB1_13
; %bb.10:                               ;   in Loop: Header=BB1_4 Depth=1
	v_add_nc_u32_e32 v3, s5, v3
	s_delay_alu instid0(VALU_DEP_1) | instskip(NEXT) | instid1(VALU_DEP_1)
	v_ashrrev_i32_e32 v4, 31, v3
	v_lshlrev_b64_e32 v[3:4], 2, v[3:4]
	s_delay_alu instid0(VALU_DEP_1) | instskip(SKIP_1) | instid1(VALU_DEP_2)
	v_add_co_u32 v3, vcc_lo, s6, v3
	s_wait_alu 0xfffd
	v_add_co_ci_u32_e64 v4, null, s7, v4, vcc_lo
	global_load_b32 v1, v[3:4], off
	s_wait_loadcnt 0x0
	v_cmp_class_f16_e64 s16, v1, 0x204
	s_and_saveexec_b32 s15, s16
; %bb.11:                               ;   in Loop: Header=BB1_4 Depth=1
	v_lshrrev_b32_e32 v1, 16, v1
	s_delay_alu instid0(VALU_DEP_1)
	v_cmp_class_f16_e64 s14, v1, 0x204
	s_and_b32 s14, s14, exec_lo
; %bb.12:                               ;   in Loop: Header=BB1_4 Depth=1
	s_or_b32 exec_lo, exec_lo, s15
	s_delay_alu instid0(SALU_CYCLE_1)
	s_and_b32 s14, s14, exec_lo
.LBB1_13:                               ;   in Loop: Header=BB1_4 Depth=1
	s_or_b32 exec_lo, exec_lo, s13
	s_delay_alu instid0(SALU_CYCLE_1)
	s_and_b32 s13, s14, exec_lo
.LBB1_14:                               ;   in Loop: Header=BB1_4 Depth=1
	s_or_b32 exec_lo, exec_lo, s12
	s_delay_alu instid0(SALU_CYCLE_1)
	s_and_b32 s12, s13, exec_lo
.LBB1_15:                               ;   in Loop: Header=BB1_4 Depth=1
	s_wait_alu 0xfffe
	s_or_b32 exec_lo, exec_lo, s11
	s_delay_alu instid0(SALU_CYCLE_1)
	s_and_b32 s11, s12, exec_lo
.LBB1_16:                               ;   in Loop: Header=BB1_4 Depth=1
	s_wait_alu 0xfffe
	s_or_b32 exec_lo, exec_lo, s10
	s_delay_alu instid0(SALU_CYCLE_1)
	s_and_b32 s10, s11, exec_lo
.LBB1_17:                               ;   in Loop: Header=BB1_4 Depth=1
	s_wait_alu 0xfffe
	s_or_b32 exec_lo, exec_lo, s9
	v_cndmask_b32_e64 v1, 0, 1, s10
	s_mov_b32 s11, exec_lo
	s_delay_alu instid0(VALU_DEP_1)
	v_cmp_ne_u32_e32 vcc_lo, 0, v1
	s_and_saveexec_b32 s9, s0
	s_cbranch_execz .LBB1_3
; %bb.18:                               ;   in Loop: Header=BB1_4 Depth=1
	s_wait_alu 0xfffe
	s_cmp_eq_u32 vcc_lo, s11
	s_cselect_b32 s10, -1, 0
	s_wait_alu 0xfffe
	v_cndmask_b32_e64 v1, 0, 1, s10
	ds_store_b32 v5, v1
	s_branch .LBB1_3
.LBB1_19:                               ;   in Loop: Header=BB1_4 Depth=1
	s_cbranch_execz .LBB1_4
.LBB1_20:
	s_mov_b32 s0, exec_lo
	v_cmpx_eq_u32_e32 0, v0
	s_cbranch_execz .LBB1_22
; %bb.21:
	s_mul_i32 s0, s1, ttmp7
	v_dual_mov_b32 v0, 0 :: v_dual_mov_b32 v1, s4
	s_add_co_i32 s0, s0, ttmp9
	s_delay_alu instid0(SALU_CYCLE_1) | instskip(NEXT) | instid1(SALU_CYCLE_1)
	s_ashr_i32 s1, s0, 31
	s_lshl_b64 s[0:1], s[0:1], 2
	s_delay_alu instid0(SALU_CYCLE_1)
	s_add_nc_u64 s[0:1], s[2:3], s[0:1]
	global_store_b32 v0, v1, s[0:1]
.LBB1_22:
	s_endpgm
	.section	.rodata,"a",@progbits
	.p2align	6, 0x0
	.amdhsa_kernel _ZL25flash_attn_mask_to_KV_maxILi4EEvPK7__half2Piiii
		.amdhsa_group_segment_fixed_size 128
		.amdhsa_private_segment_fixed_size 0
		.amdhsa_kernarg_size 288
		.amdhsa_user_sgpr_count 2
		.amdhsa_user_sgpr_dispatch_ptr 0
		.amdhsa_user_sgpr_queue_ptr 0
		.amdhsa_user_sgpr_kernarg_segment_ptr 1
		.amdhsa_user_sgpr_dispatch_id 0
		.amdhsa_user_sgpr_private_segment_size 0
		.amdhsa_wavefront_size32 1
		.amdhsa_uses_dynamic_stack 0
		.amdhsa_enable_private_segment 0
		.amdhsa_system_sgpr_workgroup_id_x 1
		.amdhsa_system_sgpr_workgroup_id_y 1
		.amdhsa_system_sgpr_workgroup_id_z 0
		.amdhsa_system_sgpr_workgroup_info 0
		.amdhsa_system_vgpr_workitem_id 0
		.amdhsa_next_free_vgpr 9
		.amdhsa_next_free_sgpr 17
		.amdhsa_reserve_vcc 1
		.amdhsa_float_round_mode_32 0
		.amdhsa_float_round_mode_16_64 0
		.amdhsa_float_denorm_mode_32 3
		.amdhsa_float_denorm_mode_16_64 3
		.amdhsa_fp16_overflow 0
		.amdhsa_workgroup_processor_mode 1
		.amdhsa_memory_ordered 1
		.amdhsa_forward_progress 1
		.amdhsa_inst_pref_size 8
		.amdhsa_round_robin_scheduling 0
		.amdhsa_exception_fp_ieee_invalid_op 0
		.amdhsa_exception_fp_denorm_src 0
		.amdhsa_exception_fp_ieee_div_zero 0
		.amdhsa_exception_fp_ieee_overflow 0
		.amdhsa_exception_fp_ieee_underflow 0
		.amdhsa_exception_fp_ieee_inexact 0
		.amdhsa_exception_int_div_zero 0
	.end_amdhsa_kernel
	.section	.text._ZL25flash_attn_mask_to_KV_maxILi4EEvPK7__half2Piiii,"axG",@progbits,_ZL25flash_attn_mask_to_KV_maxILi4EEvPK7__half2Piiii,comdat
.Lfunc_end1:
	.size	_ZL25flash_attn_mask_to_KV_maxILi4EEvPK7__half2Piiii, .Lfunc_end1-_ZL25flash_attn_mask_to_KV_maxILi4EEvPK7__half2Piiii
                                        ; -- End function
	.set _ZL25flash_attn_mask_to_KV_maxILi4EEvPK7__half2Piiii.num_vgpr, 9
	.set _ZL25flash_attn_mask_to_KV_maxILi4EEvPK7__half2Piiii.num_agpr, 0
	.set _ZL25flash_attn_mask_to_KV_maxILi4EEvPK7__half2Piiii.numbered_sgpr, 17
	.set _ZL25flash_attn_mask_to_KV_maxILi4EEvPK7__half2Piiii.num_named_barrier, 0
	.set _ZL25flash_attn_mask_to_KV_maxILi4EEvPK7__half2Piiii.private_seg_size, 0
	.set _ZL25flash_attn_mask_to_KV_maxILi4EEvPK7__half2Piiii.uses_vcc, 1
	.set _ZL25flash_attn_mask_to_KV_maxILi4EEvPK7__half2Piiii.uses_flat_scratch, 0
	.set _ZL25flash_attn_mask_to_KV_maxILi4EEvPK7__half2Piiii.has_dyn_sized_stack, 0
	.set _ZL25flash_attn_mask_to_KV_maxILi4EEvPK7__half2Piiii.has_recursion, 0
	.set _ZL25flash_attn_mask_to_KV_maxILi4EEvPK7__half2Piiii.has_indirect_call, 0
	.section	.AMDGPU.csdata,"",@progbits
; Kernel info:
; codeLenInByte = 912
; TotalNumSgprs: 19
; NumVgprs: 9
; ScratchSize: 0
; MemoryBound: 0
; FloatMode: 240
; IeeeMode: 1
; LDSByteSize: 128 bytes/workgroup (compile time only)
; SGPRBlocks: 0
; VGPRBlocks: 1
; NumSGPRsForWavesPerEU: 19
; NumVGPRsForWavesPerEU: 9
; Occupancy: 16
; WaveLimiterHint : 0
; COMPUTE_PGM_RSRC2:SCRATCH_EN: 0
; COMPUTE_PGM_RSRC2:USER_SGPR: 2
; COMPUTE_PGM_RSRC2:TRAP_HANDLER: 0
; COMPUTE_PGM_RSRC2:TGID_X_EN: 1
; COMPUTE_PGM_RSRC2:TGID_Y_EN: 1
; COMPUTE_PGM_RSRC2:TGID_Z_EN: 0
; COMPUTE_PGM_RSRC2:TIDIG_COMP_CNT: 0
	.section	.text._ZL33flash_attn_stream_k_fixup_uniformILi256ELi4ELi8EEvPfPK15HIP_vector_typeIfLj2EEiiiiiiS1_IjLj3EES5_S5_,"axG",@progbits,_ZL33flash_attn_stream_k_fixup_uniformILi256ELi4ELi8EEvPfPK15HIP_vector_typeIfLj2EEiiiiiiS1_IjLj3EES5_S5_,comdat
	.globl	_ZL33flash_attn_stream_k_fixup_uniformILi256ELi4ELi8EEvPfPK15HIP_vector_typeIfLj2EEiiiiiiS1_IjLj3EES5_S5_ ; -- Begin function _ZL33flash_attn_stream_k_fixup_uniformILi256ELi4ELi8EEvPfPK15HIP_vector_typeIfLj2EEiiiiiiS1_IjLj3EES5_S5_
	.p2align	8
	.type	_ZL33flash_attn_stream_k_fixup_uniformILi256ELi4ELi8EEvPfPK15HIP_vector_typeIfLj2EEiiiiiiS1_IjLj3EES5_S5_,@function
_ZL33flash_attn_stream_k_fixup_uniformILi256ELi4ELi8EEvPfPK15HIP_vector_typeIfLj2EEiiiiiiS1_IjLj3EES5_S5_: ; @_ZL33flash_attn_stream_k_fixup_uniformILi256ELi4ELi8EEvPfPK15HIP_vector_typeIfLj2EEiiiiiiS1_IjLj3EES5_S5_
; %bb.0:
	s_clause 0x1
	s_load_b256 s[4:11], s[0:1], 0x1c
	s_load_b128 s[12:15], s[0:1], 0x3c
	s_wait_kmcnt 0x0
	s_mul_hi_u32 s2, s7, ttmp9
	s_delay_alu instid0(SALU_CYCLE_1) | instskip(NEXT) | instid1(SALU_CYCLE_1)
	s_add_co_i32 s2, ttmp9, s2
	s_lshr_b32 s2, s2, s8
	s_delay_alu instid0(SALU_CYCLE_1) | instskip(SKIP_2) | instid1(SALU_CYCLE_1)
	s_mul_i32 s3, s2, s9
	s_load_b64 s[8:9], s[0:1], 0x10
	s_sub_co_i32 s7, ttmp9, s3
	s_mul_hi_u32 s3, s7, s10
	s_delay_alu instid0(SALU_CYCLE_1) | instskip(NEXT) | instid1(SALU_CYCLE_1)
	s_add_co_i32 s3, s7, s3
	s_lshr_b32 s3, s3, s11
	s_delay_alu instid0(SALU_CYCLE_1) | instskip(NEXT) | instid1(SALU_CYCLE_1)
	s_mul_i32 s10, s3, s12
	s_sub_co_i32 s7, s7, s10
	s_delay_alu instid0(SALU_CYCLE_1) | instskip(NEXT) | instid1(SALU_CYCLE_1)
	s_mul_hi_u32 s10, s7, s13
	s_add_co_i32 s10, s7, s10
	s_delay_alu instid0(SALU_CYCLE_1) | instskip(NEXT) | instid1(SALU_CYCLE_1)
	s_lshr_b32 s12, s10, s14
	s_mul_i32 s10, s12, s15
	s_lshl_b32 s12, s12, 3
	s_sub_co_i32 s11, s7, s10
	s_and_b32 s7, ttmp7, 0xffff
	s_lshl_b32 s13, s11, 2
	s_lshr_b32 s10, ttmp7, 16
	s_add_co_i32 s13, s13, s7
	s_wait_kmcnt 0x0
	s_cmp_lt_i32 s13, s8
	s_cselect_b32 s13, -1, 0
	s_add_co_i32 s14, s12, s10
	s_delay_alu instid0(SALU_CYCLE_1) | instskip(SKIP_1) | instid1(SALU_CYCLE_1)
	s_cmp_lt_i32 s14, s5
	s_cselect_b32 s14, -1, 0
	s_and_b32 s13, s13, s14
	s_delay_alu instid0(SALU_CYCLE_1)
	s_and_not1_b32 vcc_lo, exec_lo, s13
	s_cbranch_vccnz .LBB2_6
; %bb.1:
	s_mul_i32 s2, s2, s8
	s_mul_i32 s5, s3, s5
	s_add_co_i32 s2, s2, s7
	s_delay_alu instid0(SALU_CYCLE_1) | instskip(NEXT) | instid1(SALU_CYCLE_1)
	s_mul_i32 s2, s2, s9
	s_add_co_i32 s8, s2, s10
	s_load_b128 s[0:3], s[0:1], 0x0
	s_add_co_i32 s5, s8, s5
	s_mul_i32 s8, s9, s11
	s_add_co_i32 s5, s5, s12
	s_lshl_b32 s8, s8, 10
	s_lshl_b32 s5, s5, 8
	s_delay_alu instid0(SALU_CYCLE_1)
	s_add_co_i32 s8, s8, s5
	s_lshl_b32 s5, s7, 3
	v_or_b32_e32 v1, s8, v0
	s_mul_i32 s8, s6, ttmp9
	s_wait_alu 0xfffe
	s_add_co_i32 s9, s8, s6
	s_wait_alu 0xfffe
	s_add_co_i32 s12, s9, -2
	v_ashrrev_i32_e32 v2, 31, v1
	s_delay_alu instid0(VALU_DEP_1) | instskip(SKIP_1) | instid1(VALU_DEP_1)
	v_lshlrev_b64_e32 v[1:2], 2, v[1:2]
	s_wait_kmcnt 0x0
	v_add_co_u32 v1, vcc_lo, s0, v1
	s_delay_alu instid0(VALU_DEP_1)
	v_add_co_ci_u32_e64 v2, null, s1, v2, vcc_lo
	s_add_co_i32 s0, s5, s10
	s_lshl_b32 s1, s9, 5
	global_load_b32 v5, v[1:2], off
	s_wait_alu 0xfffe
	s_add_co_i32 s0, s0, s1
	s_wait_alu 0xfffe
	s_sub_co_i32 s0, s0, 32
	s_wait_alu 0xfffe
	s_ashr_i32 s1, s0, 31
	s_wait_alu 0xfffe
	s_lshl_b64 s[0:1], s[0:1], 3
	s_cmp_lt_i32 s12, s8
	s_wait_alu 0xfffe
	s_add_nc_u64 s[0:1], s[2:3], s[0:1]
	s_load_b32 s11, s[0:1], 0x4
	s_cbranch_scc1 .LBB2_4
; %bb.2:
	s_load_b32 s0, s[0:1], 0x0
	s_add_co_i32 s13, ttmp9, 1
	s_lshl_b32 s12, s4, 7
	s_mul_i32 s1, s6, s13
	s_lshl_b32 s6, s7, 11
	s_lshl_b32 s7, s10, 8
	s_wait_alu 0xfffe
	s_lshl_b32 s14, s1, 13
	s_add_co_i32 s6, s7, s6
	s_lshl_b32 s1, s1, 5
	s_add_co_i32 s14, s6, s14
	s_wait_alu 0xfffe
	s_add_co_i32 s1, s10, s1
	v_or_b32_e32 v0, s14, v0
	s_lshl_b32 s4, s4, 5
	s_ashr_i32 s13, s12, 31
	s_wait_alu 0xfffe
	s_add_co_i32 s1, s1, s4
	s_wait_kmcnt 0x0
	v_dual_mov_b32 v6, s11 :: v_dual_add_nc_u32 v3, 0xffffc000, v0
	s_lshl_b64 s[6:7], s[12:13], 2
	s_wait_alu 0xfffe
	s_add_co_i32 s4, s1, s5
	s_add_nc_u64 s[6:7], s[2:3], s[6:7]
	s_add_co_i32 s1, s9, -1
	s_sub_co_i32 s4, s4, 64
.LBB2_3:                                ; =>This Inner Loop Header: Depth=1
	v_ashrrev_i32_e32 v4, 31, v3
	s_ashr_i32 s5, s4, 31
	v_mov_b32_e32 v10, v6
	s_lshl_b64 s[10:11], s[4:5], 3
	s_wait_loadcnt 0x0
	v_mov_b32_e32 v9, v5
	v_lshlrev_b64_e32 v[7:8], 2, v[3:4]
	s_wait_alu 0xfffe
	s_add_nc_u64 s[10:11], s[2:3], s[10:11]
	v_max_num_f32_e64 v4, s0, s0
	s_load_b64 s[10:11], s[10:11], 0x0
	v_add_nc_u32_e32 v3, 0xffffe000, v3
	v_add_co_u32 v7, vcc_lo, s6, v7
	s_wait_alu 0xfffd
	v_add_co_ci_u32_e64 v8, null, s7, v8, vcc_lo
	v_readfirstlane_b32 s5, v4
	global_load_b32 v0, v[7:8], off
	s_wait_kmcnt 0x0
	v_max_num_f32_e64 v4, s10, s10
	s_delay_alu instid0(VALU_DEP_1) | instskip(SKIP_1) | instid1(SALU_CYCLE_3)
	v_readfirstlane_b32 s9, v4
	s_max_num_f32 s5, s5, s9
	s_sub_f32 s0, s0, s5
	s_sub_f32 s9, s10, s5
	s_wait_alu 0xfffe
	s_delay_alu instid0(SALU_CYCLE_1) | instskip(NEXT) | instid1(SALU_CYCLE_1)
	s_mul_f32 s10, s0, 0x3fb8aa3b
	s_mul_f32 s12, s9, 0x3fb8aa3b
	s_wait_alu 0xfffe
	s_delay_alu instid0(SALU_CYCLE_1)
	s_xor_b32 s13, s10, 0x80000000
	s_rndne_f32 s14, s10
	s_fmamk_f32 s13, s0, 0x3fb8aa3b, s13
	s_cmp_nlt_f32 s0, 0xc2ce8ed0
	s_rndne_f32 s15, s12
	s_wait_alu 0xfffe
	s_sub_f32 s10, s10, s14
	s_fmamk_f32 s13, s0, 0x32a5705f, s13
	s_cvt_i32_f32 s14, s14
	s_cselect_b32 vcc_lo, -1, 0
	s_cmp_ngt_f32 s0, 0x42b17218
	s_wait_alu 0xfffe
	s_add_f32 s10, s10, s13
	s_sub_f32 s13, s12, s15
	s_wait_alu 0xfffe
	s_delay_alu instid0(SALU_CYCLE_1) | instskip(SKIP_1) | instid1(TRANS32_DEP_1)
	v_s_exp_f32 s10, s10
	s_wait_alu 0xf1ff
	v_ldexp_f32 v4, s10, s14
	s_cvt_i32_f32 s10, s15
	s_delay_alu instid0(VALU_DEP_1) | instskip(SKIP_3) | instid1(VALU_DEP_1)
	v_cndmask_b32_e32 v4, 0, v4, vcc_lo
	s_cselect_b32 vcc_lo, -1, 0
	s_cmp_ge_f32 s0, 0xc1a00000
	s_wait_alu 0xfffe
	v_cndmask_b32_e32 v4, 0x7f800000, v4, vcc_lo
	s_cselect_b32 vcc_lo, -1, 0
	s_xor_b32 s0, s12, 0x80000000
	s_cmp_nlt_f32 s9, 0xc2ce8ed0
	s_wait_alu 0xfffe
	s_fmamk_f32 s0, s9, 0x3fb8aa3b, s0
	s_wait_alu 0xfffe
	s_delay_alu instid0(SALU_CYCLE_2) | instskip(SKIP_1) | instid1(SALU_CYCLE_2)
	s_fmamk_f32 s0, s9, 0x32a5705f, s0
	s_wait_alu 0xfffe
	s_add_f32 s0, s13, s0
	s_wait_alu 0xfffe
	s_delay_alu instid0(SALU_CYCLE_2) | instskip(SKIP_1) | instid1(TRANS32_DEP_1)
	v_s_exp_f32 s0, s0
	s_wait_alu 0xf1ff
	v_ldexp_f32 v7, s0, s10
	s_cselect_b32 s0, -1, 0
	s_cmp_ngt_f32 s9, 0x42b17218
	s_wait_alu 0xfffe
	s_delay_alu instid0(VALU_DEP_1) | instskip(SKIP_3) | instid1(VALU_DEP_1)
	v_cndmask_b32_e64 v7, 0, v7, s0
	s_cselect_b32 s0, -1, 0
	s_cmp_ge_f32 s9, 0xc1a00000
	s_wait_alu 0xfffe
	v_cndmask_b32_e64 v7, 0x7f800000, v7, s0
	s_cselect_b32 s0, -1, 0
	s_add_co_i32 s1, s1, -1
	s_sub_co_i32 s4, s4, 32
	s_wait_alu 0xfffe
	s_cmp_le_i32 s1, s8
	v_cndmask_b32_e64 v7, 0, v7, s0
	s_mov_b32 s0, s5
	s_wait_loadcnt 0x0
	s_delay_alu instid0(VALU_DEP_1) | instskip(NEXT) | instid1(VALU_DEP_1)
	v_dual_mul_f32 v5, v0, v7 :: v_dual_cndmask_b32 v4, 0, v4
	v_dual_mul_f32 v8, s11, v7 :: v_dual_fmac_f32 v5, v9, v4
	s_delay_alu instid0(VALU_DEP_1) | instskip(NEXT) | instid1(VALU_DEP_1)
	v_mov_b32_e32 v6, v8
	v_fmac_f32_e32 v6, v10, v4
	s_cbranch_scc0 .LBB2_3
	s_branch .LBB2_5
.LBB2_4:
	s_wait_kmcnt 0x0
	v_mov_b32_e32 v6, s11
.LBB2_5:
	s_wait_loadcnt 0x0
	s_delay_alu instid0(VALU_DEP_1) | instskip(NEXT) | instid1(VALU_DEP_1)
	v_div_scale_f32 v0, null, v6, v6, v5
	v_rcp_f32_e32 v3, v0
	s_delay_alu instid0(TRANS32_DEP_1) | instskip(NEXT) | instid1(VALU_DEP_1)
	v_fma_f32 v4, -v0, v3, 1.0
	v_fmac_f32_e32 v3, v4, v3
	v_div_scale_f32 v4, vcc_lo, v5, v6, v5
	s_delay_alu instid0(VALU_DEP_1) | instskip(NEXT) | instid1(VALU_DEP_1)
	v_mul_f32_e32 v7, v4, v3
	v_fma_f32 v8, -v0, v7, v4
	s_delay_alu instid0(VALU_DEP_1) | instskip(NEXT) | instid1(VALU_DEP_1)
	v_fmac_f32_e32 v7, v8, v3
	v_fma_f32 v0, -v0, v7, v4
	s_wait_alu 0xfffd
	s_delay_alu instid0(VALU_DEP_1) | instskip(NEXT) | instid1(VALU_DEP_1)
	v_div_fmas_f32 v0, v0, v3, v7
	v_div_fixup_f32 v0, v0, v6, v5
	global_store_b32 v[1:2], v0, off
.LBB2_6:
	s_endpgm
	.section	.rodata,"a",@progbits
	.p2align	6, 0x0
	.amdhsa_kernel _ZL33flash_attn_stream_k_fixup_uniformILi256ELi4ELi8EEvPfPK15HIP_vector_typeIfLj2EEiiiiiiS1_IjLj3EES5_S5_
		.amdhsa_group_segment_fixed_size 0
		.amdhsa_private_segment_fixed_size 0
		.amdhsa_kernarg_size 76
		.amdhsa_user_sgpr_count 2
		.amdhsa_user_sgpr_dispatch_ptr 0
		.amdhsa_user_sgpr_queue_ptr 0
		.amdhsa_user_sgpr_kernarg_segment_ptr 1
		.amdhsa_user_sgpr_dispatch_id 0
		.amdhsa_user_sgpr_private_segment_size 0
		.amdhsa_wavefront_size32 1
		.amdhsa_uses_dynamic_stack 0
		.amdhsa_enable_private_segment 0
		.amdhsa_system_sgpr_workgroup_id_x 1
		.amdhsa_system_sgpr_workgroup_id_y 1
		.amdhsa_system_sgpr_workgroup_id_z 1
		.amdhsa_system_sgpr_workgroup_info 0
		.amdhsa_system_vgpr_workitem_id 0
		.amdhsa_next_free_vgpr 11
		.amdhsa_next_free_sgpr 16
		.amdhsa_reserve_vcc 1
		.amdhsa_float_round_mode_32 0
		.amdhsa_float_round_mode_16_64 0
		.amdhsa_float_denorm_mode_32 3
		.amdhsa_float_denorm_mode_16_64 3
		.amdhsa_fp16_overflow 0
		.amdhsa_workgroup_processor_mode 1
		.amdhsa_memory_ordered 1
		.amdhsa_forward_progress 1
		.amdhsa_inst_pref_size 9
		.amdhsa_round_robin_scheduling 0
		.amdhsa_exception_fp_ieee_invalid_op 0
		.amdhsa_exception_fp_denorm_src 0
		.amdhsa_exception_fp_ieee_div_zero 0
		.amdhsa_exception_fp_ieee_overflow 0
		.amdhsa_exception_fp_ieee_underflow 0
		.amdhsa_exception_fp_ieee_inexact 0
		.amdhsa_exception_int_div_zero 0
	.end_amdhsa_kernel
	.section	.text._ZL33flash_attn_stream_k_fixup_uniformILi256ELi4ELi8EEvPfPK15HIP_vector_typeIfLj2EEiiiiiiS1_IjLj3EES5_S5_,"axG",@progbits,_ZL33flash_attn_stream_k_fixup_uniformILi256ELi4ELi8EEvPfPK15HIP_vector_typeIfLj2EEiiiiiiS1_IjLj3EES5_S5_,comdat
.Lfunc_end2:
	.size	_ZL33flash_attn_stream_k_fixup_uniformILi256ELi4ELi8EEvPfPK15HIP_vector_typeIfLj2EEiiiiiiS1_IjLj3EES5_S5_, .Lfunc_end2-_ZL33flash_attn_stream_k_fixup_uniformILi256ELi4ELi8EEvPfPK15HIP_vector_typeIfLj2EEiiiiiiS1_IjLj3EES5_S5_
                                        ; -- End function
	.set _ZL33flash_attn_stream_k_fixup_uniformILi256ELi4ELi8EEvPfPK15HIP_vector_typeIfLj2EEiiiiiiS1_IjLj3EES5_S5_.num_vgpr, 11
	.set _ZL33flash_attn_stream_k_fixup_uniformILi256ELi4ELi8EEvPfPK15HIP_vector_typeIfLj2EEiiiiiiS1_IjLj3EES5_S5_.num_agpr, 0
	.set _ZL33flash_attn_stream_k_fixup_uniformILi256ELi4ELi8EEvPfPK15HIP_vector_typeIfLj2EEiiiiiiS1_IjLj3EES5_S5_.numbered_sgpr, 16
	.set _ZL33flash_attn_stream_k_fixup_uniformILi256ELi4ELi8EEvPfPK15HIP_vector_typeIfLj2EEiiiiiiS1_IjLj3EES5_S5_.num_named_barrier, 0
	.set _ZL33flash_attn_stream_k_fixup_uniformILi256ELi4ELi8EEvPfPK15HIP_vector_typeIfLj2EEiiiiiiS1_IjLj3EES5_S5_.private_seg_size, 0
	.set _ZL33flash_attn_stream_k_fixup_uniformILi256ELi4ELi8EEvPfPK15HIP_vector_typeIfLj2EEiiiiiiS1_IjLj3EES5_S5_.uses_vcc, 1
	.set _ZL33flash_attn_stream_k_fixup_uniformILi256ELi4ELi8EEvPfPK15HIP_vector_typeIfLj2EEiiiiiiS1_IjLj3EES5_S5_.uses_flat_scratch, 0
	.set _ZL33flash_attn_stream_k_fixup_uniformILi256ELi4ELi8EEvPfPK15HIP_vector_typeIfLj2EEiiiiiiS1_IjLj3EES5_S5_.has_dyn_sized_stack, 0
	.set _ZL33flash_attn_stream_k_fixup_uniformILi256ELi4ELi8EEvPfPK15HIP_vector_typeIfLj2EEiiiiiiS1_IjLj3EES5_S5_.has_recursion, 0
	.set _ZL33flash_attn_stream_k_fixup_uniformILi256ELi4ELi8EEvPfPK15HIP_vector_typeIfLj2EEiiiiiiS1_IjLj3EES5_S5_.has_indirect_call, 0
	.section	.AMDGPU.csdata,"",@progbits
; Kernel info:
; codeLenInByte = 1140
; TotalNumSgprs: 18
; NumVgprs: 11
; ScratchSize: 0
; MemoryBound: 0
; FloatMode: 240
; IeeeMode: 1
; LDSByteSize: 0 bytes/workgroup (compile time only)
; SGPRBlocks: 0
; VGPRBlocks: 1
; NumSGPRsForWavesPerEU: 18
; NumVGPRsForWavesPerEU: 11
; Occupancy: 16
; WaveLimiterHint : 0
; COMPUTE_PGM_RSRC2:SCRATCH_EN: 0
; COMPUTE_PGM_RSRC2:USER_SGPR: 2
; COMPUTE_PGM_RSRC2:TRAP_HANDLER: 0
; COMPUTE_PGM_RSRC2:TGID_X_EN: 1
; COMPUTE_PGM_RSRC2:TGID_Y_EN: 1
; COMPUTE_PGM_RSRC2:TGID_Z_EN: 1
; COMPUTE_PGM_RSRC2:TIDIG_COMP_CNT: 0
	.section	.text._ZL33flash_attn_stream_k_fixup_generalILi256ELi4ELi8EEvPfPK15HIP_vector_typeIfLj2EEiiiiS1_IjLj3EES5_S5_S5_,"axG",@progbits,_ZL33flash_attn_stream_k_fixup_generalILi256ELi4ELi8EEvPfPK15HIP_vector_typeIfLj2EEiiiiS1_IjLj3EES5_S5_S5_,comdat
	.globl	_ZL33flash_attn_stream_k_fixup_generalILi256ELi4ELi8EEvPfPK15HIP_vector_typeIfLj2EEiiiiS1_IjLj3EES5_S5_S5_ ; -- Begin function _ZL33flash_attn_stream_k_fixup_generalILi256ELi4ELi8EEvPfPK15HIP_vector_typeIfLj2EEiiiiS1_IjLj3EES5_S5_S5_
	.p2align	8
	.type	_ZL33flash_attn_stream_k_fixup_generalILi256ELi4ELi8EEvPfPK15HIP_vector_typeIfLj2EEiiiiS1_IjLj3EES5_S5_S5_,@function
_ZL33flash_attn_stream_k_fixup_generalILi256ELi4ELi8EEvPfPK15HIP_vector_typeIfLj2EEiiiiS1_IjLj3EES5_S5_S5_: ; @_ZL33flash_attn_stream_k_fixup_generalILi256ELi4ELi8EEvPfPK15HIP_vector_typeIfLj2EEiiiiS1_IjLj3EES5_S5_S5_
; %bb.0:
	s_clause 0x1
	s_load_b128 s[4:7], s[0:1], 0x10
	s_load_b32 s16, s[0:1], 0x50
	s_mov_b32 s2, ttmp9
	s_ashr_i32 s3, ttmp9, 31
	s_mov_b32 s17, 0
	s_delay_alu instid0(SALU_CYCLE_1) | instskip(SKIP_3) | instid1(SALU_CYCLE_1)
	s_mov_b32 s8, s17
	s_wait_kmcnt 0x0
	s_ashr_i32 s19, s7, 31
	s_mov_b32 s18, s7
	s_mul_u64 s[2:3], s[18:19], s[2:3]
	s_delay_alu instid0(SALU_CYCLE_1) | instskip(NEXT) | instid1(SALU_CYCLE_1)
	s_mov_b32 s9, s3
	s_cmp_lg_u64 s[8:9], 0
	s_cbranch_scc0 .LBB3_21
; %bb.1:
	s_add_nc_u64 s[8:9], s[16:17], 0
	s_mov_b32 s15, s17
	s_xor_b64 s[8:9], s[8:9], 0
	s_mov_b32 s23, s17
	s_cvt_f32_u32 s7, s8
	s_cvt_f32_u32 s10, s9
	s_sub_nc_u64 s[12:13], 0, s[8:9]
	s_delay_alu instid0(SALU_CYCLE_2) | instskip(NEXT) | instid1(SALU_CYCLE_3)
	s_fmamk_f32 s7, s10, 0x4f800000, s7
	v_s_rcp_f32 s7, s7
	s_delay_alu instid0(TRANS32_DEP_1) | instskip(SKIP_1) | instid1(SALU_CYCLE_2)
	s_mul_f32 s7, s7, 0x5f7ffffc
	s_wait_alu 0xfffe
	s_mul_f32 s10, s7, 0x2f800000
	s_delay_alu instid0(SALU_CYCLE_3) | instskip(NEXT) | instid1(SALU_CYCLE_3)
	s_trunc_f32 s10, s10
	s_fmamk_f32 s7, s10, 0xcf800000, s7
	s_cvt_u32_f32 s11, s10
	s_wait_alu 0xfffe
	s_delay_alu instid0(SALU_CYCLE_1) | instskip(NEXT) | instid1(SALU_CYCLE_3)
	s_cvt_u32_f32 s10, s7
	s_mul_u64 s[20:21], s[12:13], s[10:11]
	s_delay_alu instid0(SALU_CYCLE_1)
	s_mul_hi_u32 s25, s10, s21
	s_mul_i32 s24, s10, s21
	s_mul_hi_u32 s14, s10, s20
	s_mul_i32 s22, s11, s20
	s_add_nc_u64 s[14:15], s[14:15], s[24:25]
	s_mul_hi_u32 s7, s11, s20
	s_mul_hi_u32 s26, s11, s21
	s_add_co_u32 s14, s14, s22
	s_wait_alu 0xfffe
	s_add_co_ci_u32 s22, s15, s7
	s_mul_i32 s20, s11, s21
	s_add_co_ci_u32 s21, s26, 0
	s_delay_alu instid0(SALU_CYCLE_1)
	s_add_nc_u64 s[14:15], s[22:23], s[20:21]
	s_mov_b32 s21, s17
	s_add_co_u32 s10, s10, s14
	s_cselect_b32 s7, -1, 0
	s_wait_alu 0xfffe
	s_cmp_lg_u32 s7, 0
	s_add_co_ci_u32 s11, s11, s15
	s_mov_b32 s15, s17
	s_mul_u64 s[12:13], s[12:13], s[10:11]
	s_delay_alu instid0(SALU_CYCLE_1)
	s_mul_hi_u32 s23, s10, s13
	s_mul_i32 s22, s10, s13
	s_mul_hi_u32 s14, s10, s12
	s_mul_i32 s20, s11, s12
	s_add_nc_u64 s[14:15], s[14:15], s[22:23]
	s_mul_hi_u32 s7, s11, s12
	s_mul_hi_u32 s24, s11, s13
	s_mul_i32 s12, s11, s13
	s_add_co_u32 s13, s14, s20
	s_wait_alu 0xfffe
	s_add_co_ci_u32 s20, s15, s7
	s_add_co_ci_u32 s13, s24, 0
	s_mov_b32 s15, s17
	s_add_nc_u64 s[12:13], s[20:21], s[12:13]
	s_delay_alu instid0(SALU_CYCLE_1) | instskip(SKIP_1) | instid1(SALU_CYCLE_1)
	s_add_co_u32 s7, s10, s12
	s_cselect_b32 s10, -1, 0
	s_cmp_lg_u32 s10, 0
	s_add_co_ci_u32 s20, s11, s13
	s_ashr_i32 s10, s3, 31
	s_delay_alu instid0(SALU_CYCLE_1) | instskip(NEXT) | instid1(SALU_CYCLE_1)
	s_mov_b32 s11, s10
	s_add_nc_u64 s[12:13], s[2:3], s[10:11]
	s_delay_alu instid0(SALU_CYCLE_1) | instskip(NEXT) | instid1(SALU_CYCLE_1)
	s_xor_b64 s[12:13], s[12:13], s[10:11]
	s_mul_hi_u32 s23, s12, s20
	s_mul_i32 s22, s12, s20
	s_wait_alu 0xfffe
	s_mul_hi_u32 s14, s12, s7
	s_mul_hi_u32 s24, s13, s7
	s_mul_i32 s7, s13, s7
	s_add_nc_u64 s[14:15], s[14:15], s[22:23]
	s_mul_hi_u32 s3, s13, s20
	s_wait_alu 0xfffe
	s_add_co_u32 s7, s14, s7
	s_mul_i32 s22, s13, s20
	s_add_co_ci_u32 s20, s15, s24
	s_add_co_ci_u32 s23, s3, 0
	s_delay_alu instid0(SALU_CYCLE_1) | instskip(NEXT) | instid1(SALU_CYCLE_1)
	s_add_nc_u64 s[14:15], s[20:21], s[22:23]
	s_mul_u64 s[20:21], s[8:9], s[14:15]
	s_delay_alu instid0(SALU_CYCLE_1)
	s_sub_co_u32 s3, s12, s20
	s_cselect_b32 s7, -1, 0
	s_sub_co_i32 s12, s13, s21
	s_wait_alu 0xfffe
	s_cmp_lg_u32 s7, 0
	s_sub_co_ci_u32 s12, s12, s9
	s_sub_co_u32 s20, s3, s8
	s_cselect_b32 s22, -1, 0
	s_delay_alu instid0(SALU_CYCLE_1) | instskip(SKIP_2) | instid1(SALU_CYCLE_1)
	s_cmp_lg_u32 s22, 0
	s_add_nc_u64 s[22:23], s[14:15], 1
	s_sub_co_ci_u32 s12, s12, 0
	s_cmp_ge_u32 s12, s9
	s_cselect_b32 s24, -1, 0
	s_cmp_ge_u32 s20, s8
	s_cselect_b32 s20, -1, 0
	s_cmp_eq_u32 s12, s9
	s_cselect_b32 s12, s20, s24
	s_add_nc_u64 s[24:25], s[14:15], 2
	s_cmp_lg_u32 s12, 0
	s_cselect_b32 s12, s24, s22
	s_cselect_b32 s20, s25, s23
	s_cmp_lg_u32 s7, 0
	s_sub_co_ci_u32 s7, s13, s21
	s_wait_alu 0xfffe
	s_cmp_ge_u32 s7, s9
	s_cselect_b32 s13, -1, 0
	s_cmp_ge_u32 s3, s8
	s_cselect_b32 s3, -1, 0
	s_cmp_eq_u32 s7, s9
	s_cselect_b32 s3, s3, s13
	s_delay_alu instid0(SALU_CYCLE_1) | instskip(SKIP_4) | instid1(SALU_CYCLE_1)
	s_cmp_lg_u32 s3, 0
	s_mov_b32 s3, s17
	s_cselect_b32 s9, s20, s15
	s_cselect_b32 s8, s12, s14
	s_xor_b64 s[10:11], s[10:11], 0
	s_xor_b64 s[8:9], s[8:9], s[10:11]
	s_delay_alu instid0(SALU_CYCLE_1)
	s_sub_nc_u64 s[20:21], s[8:9], s[10:11]
	s_and_not1_b32 vcc_lo, exec_lo, s3
	s_cbranch_vccnz .LBB3_3
.LBB3_2:
	v_cvt_f32_u32_e32 v1, s16
	s_sub_co_i32 s7, 0, s16
	s_delay_alu instid0(VALU_DEP_1) | instskip(NEXT) | instid1(TRANS32_DEP_1)
	v_rcp_iflag_f32_e32 v1, v1
	v_mul_f32_e32 v1, 0x4f7ffffe, v1
	s_delay_alu instid0(VALU_DEP_1) | instskip(NEXT) | instid1(VALU_DEP_1)
	v_cvt_u32_f32_e32 v1, v1
	v_readfirstlane_b32 s3, v1
	s_wait_alu 0xfffe
	s_mul_i32 s7, s7, s3
	s_wait_alu 0xfffe
	s_mul_hi_u32 s7, s3, s7
	s_wait_alu 0xfffe
	s_add_co_i32 s3, s3, s7
	s_delay_alu instid0(SALU_CYCLE_1) | instskip(NEXT) | instid1(SALU_CYCLE_1)
	s_mul_hi_u32 s3, s2, s3
	s_mul_i32 s7, s3, s16
	s_wait_alu 0xfffe
	s_sub_co_i32 s2, s2, s7
	s_add_co_i32 s7, s3, 1
	s_sub_co_i32 s8, s2, s16
	s_cmp_ge_u32 s2, s16
	s_wait_alu 0xfffe
	s_cselect_b32 s3, s7, s3
	s_cselect_b32 s2, s8, s2
	s_add_co_i32 s7, s3, 1
	s_cmp_ge_u32 s2, s16
	s_wait_alu 0xfffe
	s_cselect_b32 s20, s7, s3
.LBB3_3:
	s_add_co_i32 s2, ttmp9, 1
	s_mov_b32 s8, 0
	s_ashr_i32 s3, s2, 31
	s_delay_alu instid0(SALU_CYCLE_1) | instskip(NEXT) | instid1(SALU_CYCLE_1)
	s_mul_u64 s[2:3], s[18:19], s[2:3]
	s_mov_b32 s9, s3
	s_delay_alu instid0(SALU_CYCLE_1)
	s_cmp_lg_u64 s[8:9], 0
	s_cbranch_scc0 .LBB3_22
; %bb.4:
	s_add_nc_u64 s[10:11], s[16:17], 0
	s_mov_b32 s23, s8
	s_xor_b64 s[10:11], s[10:11], 0
	s_mov_b32 s27, s8
	s_cvt_f32_u32 s7, s10
	s_cvt_f32_u32 s9, s11
	s_sub_nc_u64 s[14:15], 0, s[10:11]
	s_wait_alu 0xfffe
	s_delay_alu instid0(SALU_CYCLE_1) | instskip(SKIP_1) | instid1(SALU_CYCLE_2)
	s_fmamk_f32 s7, s9, 0x4f800000, s7
	s_wait_alu 0xfffe
	v_s_rcp_f32 s7, s7
	s_delay_alu instid0(TRANS32_DEP_1) | instskip(SKIP_1) | instid1(SALU_CYCLE_2)
	s_mul_f32 s7, s7, 0x5f7ffffc
	s_wait_alu 0xfffe
	s_mul_f32 s9, s7, 0x2f800000
	s_delay_alu instid0(SALU_CYCLE_3) | instskip(NEXT) | instid1(SALU_CYCLE_3)
	s_trunc_f32 s9, s9
	s_fmamk_f32 s7, s9, 0xcf800000, s7
	s_cvt_u32_f32 s13, s9
	s_wait_alu 0xfffe
	s_delay_alu instid0(SALU_CYCLE_1) | instskip(NEXT) | instid1(SALU_CYCLE_3)
	s_cvt_u32_f32 s12, s7
	s_mul_u64 s[24:25], s[14:15], s[12:13]
	s_delay_alu instid0(SALU_CYCLE_1)
	s_mul_hi_u32 s29, s12, s25
	s_mul_i32 s28, s12, s25
	s_mul_hi_u32 s22, s12, s24
	s_mul_i32 s9, s13, s24
	s_add_nc_u64 s[22:23], s[22:23], s[28:29]
	s_mul_hi_u32 s7, s13, s24
	s_mul_hi_u32 s21, s13, s25
	s_add_co_u32 s9, s22, s9
	s_wait_alu 0xfffe
	s_add_co_ci_u32 s26, s23, s7
	s_mul_i32 s24, s13, s25
	s_add_co_ci_u32 s25, s21, 0
	s_delay_alu instid0(SALU_CYCLE_1)
	s_add_nc_u64 s[22:23], s[26:27], s[24:25]
	s_mov_b32 s25, s8
	s_add_co_u32 s12, s12, s22
	s_cselect_b32 s7, -1, 0
	s_wait_alu 0xfffe
	s_cmp_lg_u32 s7, 0
	s_add_co_ci_u32 s13, s13, s23
	s_mov_b32 s23, s8
	s_mul_u64 s[14:15], s[14:15], s[12:13]
	s_delay_alu instid0(SALU_CYCLE_1)
	s_mul_hi_u32 s27, s12, s15
	s_mul_i32 s26, s12, s15
	s_mul_hi_u32 s22, s12, s14
	s_mul_i32 s9, s13, s14
	s_add_nc_u64 s[22:23], s[22:23], s[26:27]
	s_mul_hi_u32 s7, s13, s14
	s_mul_hi_u32 s21, s13, s15
	s_add_co_u32 s9, s22, s9
	s_wait_alu 0xfffe
	s_add_co_ci_u32 s24, s23, s7
	s_mul_i32 s14, s13, s15
	s_add_co_ci_u32 s15, s21, 0
	s_mov_b32 s23, s8
	s_add_nc_u64 s[14:15], s[24:25], s[14:15]
	s_delay_alu instid0(SALU_CYCLE_1) | instskip(SKIP_1) | instid1(SALU_CYCLE_1)
	s_add_co_u32 s7, s12, s14
	s_cselect_b32 s9, -1, 0
	s_cmp_lg_u32 s9, 0
	s_add_co_ci_u32 s9, s13, s15
	s_ashr_i32 s12, s3, 31
	s_delay_alu instid0(SALU_CYCLE_1) | instskip(NEXT) | instid1(SALU_CYCLE_1)
	s_mov_b32 s13, s12
	s_add_nc_u64 s[14:15], s[2:3], s[12:13]
	s_delay_alu instid0(SALU_CYCLE_1) | instskip(NEXT) | instid1(SALU_CYCLE_1)
	s_xor_b64 s[14:15], s[14:15], s[12:13]
	s_mul_hi_u32 s27, s14, s9
	s_mul_i32 s26, s14, s9
	s_wait_alu 0xfffe
	s_mul_hi_u32 s22, s14, s7
	s_mul_hi_u32 s21, s15, s7
	s_mul_i32 s7, s15, s7
	s_add_nc_u64 s[22:23], s[22:23], s[26:27]
	s_mul_hi_u32 s3, s15, s9
	s_wait_alu 0xfffe
	s_add_co_u32 s7, s22, s7
	s_add_co_ci_u32 s24, s23, s21
	s_mul_i32 s26, s15, s9
	s_add_co_ci_u32 s27, s3, 0
	s_delay_alu instid0(SALU_CYCLE_1) | instskip(NEXT) | instid1(SALU_CYCLE_1)
	s_add_nc_u64 s[22:23], s[24:25], s[26:27]
	s_mul_u64 s[24:25], s[10:11], s[22:23]
	s_add_nc_u64 s[26:27], s[22:23], 1
	s_sub_co_u32 s3, s14, s24
	s_cselect_b32 s7, -1, 0
	s_sub_co_i32 s9, s15, s25
	s_wait_alu 0xfffe
	s_cmp_lg_u32 s7, 0
	s_add_nc_u64 s[28:29], s[22:23], 2
	s_sub_co_ci_u32 s9, s9, s11
	s_sub_co_u32 s14, s3, s10
	s_cselect_b32 s21, -1, 0
	s_delay_alu instid0(SALU_CYCLE_1) | instskip(SKIP_1) | instid1(SALU_CYCLE_1)
	s_cmp_lg_u32 s21, 0
	s_sub_co_ci_u32 s9, s9, 0
	s_cmp_ge_u32 s9, s11
	s_cselect_b32 s21, -1, 0
	s_cmp_ge_u32 s14, s10
	s_cselect_b32 s14, -1, 0
	s_cmp_eq_u32 s9, s11
	s_cselect_b32 s9, s14, s21
	s_delay_alu instid0(SALU_CYCLE_1)
	s_cmp_lg_u32 s9, 0
	s_cselect_b32 s9, s28, s26
	s_cselect_b32 s14, s29, s27
	s_cmp_lg_u32 s7, 0
	s_sub_co_ci_u32 s7, s15, s25
	s_wait_alu 0xfffe
	s_cmp_ge_u32 s7, s11
	s_cselect_b32 s15, -1, 0
	s_cmp_ge_u32 s3, s10
	s_cselect_b32 s3, -1, 0
	s_cmp_eq_u32 s7, s11
	s_cselect_b32 s3, s3, s15
	s_delay_alu instid0(SALU_CYCLE_1) | instskip(SKIP_3) | instid1(SALU_CYCLE_1)
	s_cmp_lg_u32 s3, 0
	s_cselect_b32 s11, s14, s23
	s_cselect_b32 s10, s9, s22
	s_xor_b64 s[12:13], s[12:13], 0
	s_xor_b64 s[10:11], s[10:11], s[12:13]
	s_delay_alu instid0(SALU_CYCLE_1)
	s_sub_nc_u64 s[10:11], s[10:11], s[12:13]
	s_load_b96 s[12:14], s[0:1], 0x44
	s_and_not1_b32 vcc_lo, exec_lo, s8
	s_cbranch_vccnz .LBB3_6
.LBB3_5:
	v_cvt_f32_u32_e32 v1, s16
	s_sub_co_i32 s7, 0, s16
	s_delay_alu instid0(VALU_DEP_1) | instskip(NEXT) | instid1(TRANS32_DEP_1)
	v_rcp_iflag_f32_e32 v1, v1
	v_mul_f32_e32 v1, 0x4f7ffffe, v1
	s_delay_alu instid0(VALU_DEP_1) | instskip(NEXT) | instid1(VALU_DEP_1)
	v_cvt_u32_f32_e32 v1, v1
	v_readfirstlane_b32 s3, v1
	s_wait_alu 0xfffe
	s_mul_i32 s7, s7, s3
	s_wait_alu 0xfffe
	s_mul_hi_u32 s7, s3, s7
	s_wait_alu 0xfffe
	s_add_co_i32 s3, s3, s7
	s_delay_alu instid0(SALU_CYCLE_1) | instskip(NEXT) | instid1(SALU_CYCLE_1)
	s_mul_hi_u32 s3, s2, s3
	s_mul_i32 s7, s3, s16
	s_wait_alu 0xfffe
	s_sub_co_i32 s2, s2, s7
	s_add_co_i32 s7, s3, 1
	s_sub_co_i32 s8, s2, s16
	s_cmp_ge_u32 s2, s16
	s_wait_alu 0xfffe
	s_cselect_b32 s3, s7, s3
	s_cselect_b32 s2, s8, s2
	s_add_co_i32 s7, s3, 1
	s_cmp_ge_u32 s2, s16
	s_wait_alu 0xfffe
	s_cselect_b32 s10, s7, s3
.LBB3_6:
	s_mov_b32 s21, 0
	s_wait_kmcnt 0x0
	s_mov_b32 s22, s12
	s_mov_b32 s23, s21
	s_cmp_eq_u32 s20, s10
	s_mul_u64 s[2:3], s[20:21], s[22:23]
	s_cselect_b32 s7, -1, 0
	s_add_co_i32 s2, s3, s20
	s_mov_b32 s11, s21
	s_lshr_b32 s12, s2, s13
	s_mul_u64 s[2:3], s[10:11], s[22:23]
	s_mul_i32 s2, s12, s14
	s_delay_alu instid0(SALU_CYCLE_1) | instskip(SKIP_2) | instid1(SALU_CYCLE_1)
	s_cmp_eq_u32 s2, s20
	s_cselect_b32 s2, -1, 0
	s_add_co_i32 s3, s3, s10
	s_lshr_b32 s3, s3, s13
	s_delay_alu instid0(SALU_CYCLE_1)
	s_cmp_eq_u32 s12, s3
	s_mul_i32 s3, s3, s14
	s_cselect_b32 s8, -1, 0
	s_cmp_lg_u32 s3, s10
	s_cselect_b32 s3, -1, 0
	s_wait_alu 0xfffe
	s_or_b32 s2, s7, s2
	s_and_b32 s3, s8, s3
	s_delay_alu instid0(SALU_CYCLE_1) | instskip(NEXT) | instid1(SALU_CYCLE_1)
	s_or_b32 s2, s2, s3
	s_and_b32 vcc_lo, exec_lo, s2
	s_cbranch_vccnz .LBB3_24
; %bb.7:
	s_load_b256 s[24:31], s[0:1], 0x20
	s_mov_b32 s3, s21
	s_wait_kmcnt 0x0
	s_mov_b32 s2, s24
	s_delay_alu instid0(SALU_CYCLE_1) | instskip(NEXT) | instid1(SALU_CYCLE_1)
	s_mul_u64 s[2:3], s[20:21], s[2:3]
	s_add_co_i32 s2, s3, s20
	s_delay_alu instid0(SALU_CYCLE_1) | instskip(SKIP_2) | instid1(SALU_CYCLE_1)
	s_lshr_b32 s7, s2, s25
	s_load_b32 s2, s[0:1], 0x40
	s_mul_i32 s3, s7, s26
	s_sub_co_i32 s3, s20, s3
	s_delay_alu instid0(SALU_CYCLE_1) | instskip(NEXT) | instid1(SALU_CYCLE_1)
	s_mul_hi_u32 s8, s3, s27
	s_add_co_i32 s8, s3, s8
	s_delay_alu instid0(SALU_CYCLE_1) | instskip(NEXT) | instid1(SALU_CYCLE_1)
	s_lshr_b32 s8, s8, s28
	s_mul_i32 s9, s8, s29
	s_delay_alu instid0(SALU_CYCLE_1) | instskip(NEXT) | instid1(SALU_CYCLE_1)
	s_sub_co_i32 s9, s3, s9
	s_mul_hi_u32 s3, s9, s30
	s_delay_alu instid0(SALU_CYCLE_1) | instskip(NEXT) | instid1(SALU_CYCLE_1)
	s_add_co_i32 s3, s9, s3
	s_lshr_b32 s24, s3, s31
	s_mov_b32 s3, s21
	s_wait_kmcnt 0x0
	s_mul_i32 s2, s24, s2
	s_lshl_b32 s21, s24, 3
	s_sub_co_i32 s2, s9, s2
	s_delay_alu instid0(SALU_CYCLE_1) | instskip(SKIP_2) | instid1(SALU_CYCLE_1)
	s_mul_u64 s[10:11], s[2:3], s[22:23]
	s_lshr_b32 s3, ttmp7, 16
	s_add_co_i32 s2, s2, s11
	s_lshr_b32 s15, s2, s13
	s_and_b32 s2, ttmp7, 0xffff
	s_lshl_b32 s9, s15, 2
	s_delay_alu instid0(SALU_CYCLE_1) | instskip(NEXT) | instid1(SALU_CYCLE_1)
	s_add_co_i32 s9, s9, s2
	s_cmp_lt_i32 s9, s4
	s_cselect_b32 s9, -1, 0
	s_add_co_i32 s10, s21, s3
	s_delay_alu instid0(SALU_CYCLE_1) | instskip(SKIP_1) | instid1(SALU_CYCLE_1)
	s_cmp_lt_i32 s10, s6
	s_cselect_b32 s10, -1, 0
	s_and_b32 s9, s9, s10
	s_delay_alu instid0(SALU_CYCLE_1)
	s_and_not1_b32 vcc_lo, exec_lo, s9
	s_cbranch_vccnz .LBB3_24
; %bb.8:
	s_mul_i32 s4, s7, s4
	s_mul_i32 s6, s8, s6
	s_add_co_i32 s4, s4, s2
	s_load_b128 s[8:11], s[0:1], 0x0
	s_mul_i32 s4, s4, s5
	s_mul_i32 s1, s5, s15
	s_add_co_i32 s4, s4, s3
	s_lshl_b32 s1, s1, 10
	s_add_co_i32 s0, s4, s6
	s_lshl_b32 s15, s2, 3
	s_add_co_i32 s0, s0, s21
	s_add_co_i32 s15, s15, s3
	s_lshl_b32 s0, s0, 8
	v_cvt_f32_u32_e32 v4, s16
	s_add_co_i32 s1, s1, s0
	s_add_co_i32 s34, ttmp9, -1
	v_or_b32_e32 v1, s1, v0
	s_add_nc_u64 s[0:1], s[16:17], 0
	v_rcp_iflag_f32_e32 v4, v4
	s_wait_alu 0xfffe
	s_xor_b64 s[6:7], s[0:1], 0
	s_lshl_b32 s0, ttmp9, 5
	v_ashrrev_i32_e32 v2, 31, v1
	s_wait_alu 0xfffe
	s_cvt_f32_u32 s1, s6
	s_cvt_f32_u32 s2, s7
	s_add_co_i32 s0, s15, s0
	v_lshl_or_b32 v0, s15, 8, v0
	v_lshlrev_b64_e32 v[1:2], 2, v[1:2]
	s_wait_alu 0xfffe
	s_fmamk_f32 s2, s2, 0x4f800000, s1
	s_ashr_i32 s1, s0, 31
	s_sub_nc_u64 s[30:31], 0, s[6:7]
	s_wait_alu 0xfffe
	s_lshl_b64 s[0:1], s[0:1], 3
	v_s_rcp_f32 s2, s2
	s_wait_kmcnt 0x0
	v_add_co_u32 v1, vcc_lo, s8, v1
	s_delay_alu instid0(VALU_DEP_1)
	v_add_co_ci_u32_e64 v2, null, s9, v2, vcc_lo
	s_wait_alu 0xfffe
	s_add_nc_u64 s[0:1], s[10:11], s[0:1]
	s_mov_b32 s8, 0
	s_load_b64 s[26:27], s[0:1], 0x0
	global_load_b32 v3, v[1:2], off
	s_mul_f32 s2, s2, 0x5f7ffffc
	v_mul_f32_e32 v4, 0x4f7ffffe, v4
	s_lshl_b32 s0, s16, 7
	s_wait_alu 0xfffe
	s_mul_f32 s1, s2, 0x2f800000
	s_wait_alu 0xfffe
	s_delay_alu instid0(SALU_CYCLE_2)
	s_trunc_f32 s3, s1
	s_mov_b32 s1, s8
	s_wait_alu 0xfffe
	s_lshl_b64 s[0:1], s[0:1], 2
	s_fmamk_f32 s2, s3, 0xcf800000, s2
	s_cvt_u32_f32 s29, s3
	s_wait_alu 0xfffe
	s_add_nc_u64 s[24:25], s[10:11], s[0:1]
	s_cvt_u32_f32 s28, s2
	s_wait_kmcnt 0x0
	v_mov_b32_e32 v5, s27
	v_cvt_u32_f32_e32 v4, v4
.LBB3_9:                                ; =>This Inner Loop Header: Depth=1
	s_wait_alu 0xfffe
	s_ashr_i32 s35, s34, 31
	s_mov_b32 s2, -1
	s_wait_alu 0xfffe
	s_mul_u64 s[0:1], s[34:35], s[18:19]
                                        ; implicit-def: $sgpr38_sgpr39
	s_wait_alu 0xfffe
	s_mov_b32 s9, s1
	s_wait_alu 0xfffe
	s_cmp_lg_u64 s[8:9], 0
	s_cbranch_scc0 .LBB3_11
; %bb.10:                               ;   in Loop: Header=BB3_9 Depth=1
	s_mul_u64 s[2:3], s[30:31], s[28:29]
	s_mov_b32 s37, s8
	s_wait_alu 0xfffe
	s_mul_hi_u32 s5, s28, s3
	s_mul_i32 s4, s28, s3
	s_mul_hi_u32 s36, s28, s2
	s_mul_hi_u32 s9, s29, s2
	s_wait_alu 0xfffe
	s_add_nc_u64 s[4:5], s[36:37], s[4:5]
	s_mul_i32 s2, s29, s2
	s_mul_hi_u32 s17, s29, s3
	s_wait_alu 0xfffe
	s_add_co_u32 s2, s4, s2
	s_add_co_ci_u32 s2, s5, s9
	s_add_co_ci_u32 s5, s17, 0
	s_mul_i32 s4, s29, s3
	s_mov_b32 s3, s8
	s_mov_b32 s39, s8
	s_wait_alu 0xfffe
	s_add_nc_u64 s[2:3], s[2:3], s[4:5]
	s_wait_alu 0xfffe
	s_add_co_u32 s2, s28, s2
	s_cselect_b32 s4, -1, 0
	s_wait_alu 0xfffe
	s_cmp_lg_u32 s4, 0
	s_add_co_ci_u32 s3, s29, s3
	s_wait_alu 0xfffe
	s_mul_u64 s[4:5], s[30:31], s[2:3]
	s_wait_alu 0xfffe
	s_mul_hi_u32 s37, s2, s5
	s_mul_i32 s36, s2, s5
	s_mul_hi_u32 s38, s2, s4
	s_mul_hi_u32 s9, s3, s4
	s_mul_i32 s4, s3, s4
	s_wait_alu 0xfffe
	s_add_nc_u64 s[36:37], s[38:39], s[36:37]
	s_mul_hi_u32 s17, s3, s5
	s_wait_alu 0xfffe
	s_add_co_u32 s4, s36, s4
	s_add_co_ci_u32 s4, s37, s9
	s_add_co_ci_u32 s37, s17, 0
	s_mul_i32 s36, s3, s5
	s_mov_b32 s5, s8
	s_wait_alu 0xfffe
	s_add_nc_u64 s[4:5], s[4:5], s[36:37]
	s_mov_b32 s37, s8
	s_wait_alu 0xfffe
	s_add_co_u32 s9, s2, s4
	s_cselect_b32 s2, -1, 0
	s_wait_alu 0xfffe
	s_cmp_lg_u32 s2, 0
	s_add_co_ci_u32 s17, s3, s5
	s_ashr_i32 s2, s1, 31
	s_wait_alu 0xfffe
	s_mov_b32 s3, s2
	s_wait_alu 0xfffe
	s_add_nc_u64 s[4:5], s[0:1], s[2:3]
	s_wait_alu 0xfffe
	s_xor_b64 s[4:5], s[4:5], s[2:3]
	s_wait_alu 0xfffe
	s_mul_hi_u32 s39, s4, s17
	s_mul_i32 s38, s4, s17
	s_mul_hi_u32 s36, s4, s9
	s_mul_i32 s21, s5, s9
	s_wait_alu 0xfffe
	s_add_nc_u64 s[36:37], s[36:37], s[38:39]
	s_mul_hi_u32 s9, s5, s9
	s_mul_hi_u32 s1, s5, s17
	s_wait_alu 0xfffe
	s_add_co_u32 s21, s36, s21
	s_add_co_ci_u32 s36, s37, s9
	s_add_co_ci_u32 s39, s1, 0
	s_mul_i32 s38, s5, s17
	s_mov_b32 s37, s8
	s_wait_alu 0xfffe
	s_add_nc_u64 s[36:37], s[36:37], s[38:39]
	s_wait_alu 0xfffe
	s_mul_u64 s[38:39], s[6:7], s[36:37]
	s_add_nc_u64 s[40:41], s[36:37], 1
	s_sub_co_u32 s1, s4, s38
	s_cselect_b32 s4, -1, 0
	s_sub_co_i32 s9, s5, s39
	s_wait_alu 0xfffe
	s_cmp_lg_u32 s4, 0
	s_add_nc_u64 s[42:43], s[36:37], 2
	s_sub_co_ci_u32 s9, s9, s7
	s_sub_co_u32 s17, s1, s6
	s_cselect_b32 s21, -1, 0
	s_delay_alu instid0(SALU_CYCLE_1)
	s_cmp_lg_u32 s21, 0
	s_wait_alu 0xfffe
	s_sub_co_ci_u32 s9, s9, 0
	s_wait_alu 0xfffe
	s_cmp_ge_u32 s9, s7
	s_cselect_b32 s21, -1, 0
	s_cmp_ge_u32 s17, s6
	s_cselect_b32 s17, -1, 0
	s_cmp_eq_u32 s9, s7
	s_wait_alu 0xfffe
	s_cselect_b32 s9, s17, s21
	s_wait_alu 0xfffe
	s_cmp_lg_u32 s9, 0
	s_cselect_b32 s9, s42, s40
	s_cselect_b32 s17, s43, s41
	s_cmp_lg_u32 s4, 0
	s_sub_co_ci_u32 s4, s5, s39
	s_wait_alu 0xfffe
	s_cmp_ge_u32 s4, s7
	s_cselect_b32 s5, -1, 0
	s_cmp_ge_u32 s1, s6
	s_cselect_b32 s1, -1, 0
	s_cmp_eq_u32 s4, s7
	s_wait_alu 0xfffe
	s_cselect_b32 s1, s1, s5
	s_wait_alu 0xfffe
	s_cmp_lg_u32 s1, 0
	s_cselect_b32 s5, s17, s37
	s_cselect_b32 s4, s9, s36
	s_xor_b64 s[2:3], s[2:3], 0
	s_wait_alu 0xfffe
	s_xor_b64 s[4:5], s[4:5], s[2:3]
	s_wait_alu 0xfffe
	s_sub_nc_u64 s[38:39], s[4:5], s[2:3]
	s_mov_b32 s2, 0
.LBB3_11:                               ;   in Loop: Header=BB3_9 Depth=1
	s_wait_alu 0xfffe
	s_and_not1_b32 vcc_lo, exec_lo, s2
	s_wait_alu 0xfffe
	s_cbranch_vccnz .LBB3_13
; %bb.12:                               ;   in Loop: Header=BB3_9 Depth=1
	v_readfirstlane_b32 s1, v4
	s_sub_co_i32 s2, 0, s16
	s_wait_alu 0xfffe
	s_mul_i32 s2, s2, s1
	s_wait_alu 0xfffe
	s_mul_hi_u32 s2, s1, s2
	s_wait_alu 0xfffe
	s_add_co_i32 s1, s1, s2
	s_wait_alu 0xfffe
	s_mul_hi_u32 s1, s0, s1
	s_wait_alu 0xfffe
	s_mul_i32 s2, s1, s16
	s_wait_alu 0xfffe
	s_sub_co_i32 s0, s0, s2
	s_add_co_i32 s2, s1, 1
	s_wait_alu 0xfffe
	s_sub_co_i32 s3, s0, s16
	s_cmp_ge_u32 s0, s16
	s_cselect_b32 s1, s2, s1
	s_wait_alu 0xfffe
	s_cselect_b32 s0, s3, s0
	s_add_co_i32 s2, s1, 1
	s_wait_alu 0xfffe
	s_cmp_ge_u32 s0, s16
	s_cselect_b32 s38, s2, s1
.LBB3_13:                               ;   in Loop: Header=BB3_9 Depth=1
	v_readfirstlane_b32 s9, v0
	s_cmp_lg_u32 s20, s38
	s_mov_b32 s0, -1
                                        ; implicit-def: $sgpr21
                                        ; implicit-def: $vgpr6
                                        ; implicit-def: $vgpr7
                                        ; implicit-def: $sgpr17
                                        ; implicit-def: $sgpr27
	s_cbranch_scc1 .LBB3_16
; %bb.14:                               ;   in Loop: Header=BB3_9 Depth=1
	s_wait_alu 0xfffe
	s_and_not1_b32 vcc_lo, exec_lo, s0
	s_wait_alu 0xfffe
	s_cbranch_vccz .LBB3_19
.LBB3_15:                               ;   in Loop: Header=BB3_9 Depth=1
	s_and_not1_b32 vcc_lo, exec_lo, s21
	s_wait_alu 0xfffe
	s_cbranch_vccnz .LBB3_20
	s_branch .LBB3_23
.LBB3_16:                               ;   in Loop: Header=BB3_9 Depth=1
	s_add_co_i32 s0, s34, s16
	s_mov_b32 s1, s8
	s_wait_alu 0xfffe
	s_lshl_b32 s0, s0, 5
	v_max_num_f32_e64 v6, s26, s26
	s_wait_alu 0xfffe
	s_add_co_i32 s0, s0, s15
	s_mov_b32 s39, s8
	s_wait_alu 0xfffe
	s_lshl_b64 s[0:1], s[0:1], 3
	s_mul_u64 s[40:41], s[38:39], s[22:23]
	s_wait_alu 0xfffe
	s_add_nc_u64 s[0:1], s[10:11], s[0:1]
	s_mov_b32 s27, s20
	s_load_b64 s[36:37], s[0:1], 0x0
	v_readfirstlane_b32 s0, v6
	s_wait_kmcnt 0x0
	v_max_num_f32_e64 v7, s36, s36
	s_delay_alu instid0(VALU_DEP_1) | instskip(SKIP_2) | instid1(SALU_CYCLE_2)
	v_readfirstlane_b32 s1, v7
	s_max_num_f32 s9, s0, s1
	s_wait_alu 0xfffe
	s_sub_f32 s33, s26, s9
	s_sub_f32 s35, s36, s9
	s_wait_alu 0xfffe
	s_delay_alu instid0(SALU_CYCLE_1)
	s_cmp_nlt_f32 s33, 0xc2ce8ed0
	s_cselect_b32 s0, -1, 0
	s_cmp_ngt_f32 s33, 0x42b17218
	s_cselect_b32 s1, -1, 0
	s_cmp_ge_f32 s33, 0xc1a00000
	s_cselect_b32 s2, -1, 0
	s_cmp_nlt_f32 s35, 0xc2ce8ed0
	s_cselect_b32 s3, -1, 0
	s_cmp_ngt_f32 s35, 0x42b17218
	s_cselect_b32 s4, -1, 0
	s_cmp_ge_f32 s35, 0xc1a00000
	s_cselect_b32 s5, -1, 0
	s_add_co_i32 s17, s41, s38
	s_wait_alu 0xfffe
	s_lshr_b32 s17, s17, s13
	s_wait_alu 0xfffe
	s_mul_i32 s21, s17, s14
	s_delay_alu instid0(SALU_CYCLE_1)
	s_cmp_eq_u32 s21, s38
	s_cselect_b32 s21, -1, 0
	s_cmp_lt_u32 s17, s12
	s_cselect_b32 s17, -1, 0
	s_wait_alu 0xfffe
	s_or_b32 s17, s17, s21
	s_mov_b32 s21, -1
	s_wait_alu 0xfffe
	s_and_b32 vcc_lo, exec_lo, s17
	s_mov_b32 s17, s34
	s_wait_alu 0xfffe
	s_cbranch_vccnz .LBB3_18
; %bb.17:                               ;   in Loop: Header=BB3_9 Depth=1
	s_add_co_i32 s17, s34, -1
	s_mov_b32 s21, 0
	s_mov_b32 s27, s38
.LBB3_18:                               ;   in Loop: Header=BB3_9 Depth=1
	v_lshl_add_u32 v6, s34, 13, v0
	s_mul_f32 s36, s35, 0x3fb8aa3b
	s_mul_f32 s38, s33, 0x3fb8aa3b
	s_wait_alu 0xfffe
	s_delay_alu instid0(SALU_CYCLE_1)
	s_xor_b32 s39, s36, 0x80000000
	v_ashrrev_i32_e32 v7, 31, v6
	s_rndne_f32 s40, s36
	s_fmamk_f32 s39, s35, 0x3fb8aa3b, s39
	s_xor_b32 s41, s38, 0x80000000
	s_rndne_f32 s42, s38
	v_lshlrev_b64_e32 v[6:7], 2, v[6:7]
	s_sub_f32 s36, s36, s40
	s_fmamk_f32 s35, s35, 0x32a5705f, s39
	s_fmamk_f32 s39, s33, 0x3fb8aa3b, s41
	s_sub_f32 s38, s38, s42
	s_delay_alu instid0(VALU_DEP_1)
	v_add_co_u32 v6, vcc_lo, s24, v6
	s_wait_alu 0xfffd
	v_add_co_ci_u32_e64 v7, null, s25, v7, vcc_lo
	s_wait_alu 0xfffe
	s_add_f32 s35, s36, s35
	s_fmamk_f32 s33, s33, 0x32a5705f, s39
	s_cvt_i32_f32 s36, s40
	global_load_b32 v6, v[6:7], off
	s_wait_alu 0xfffe
	v_s_exp_f32 s35, s35
	s_add_f32 s33, s38, s33
	s_wait_alu 0xfffe
	s_delay_alu instid0(SALU_CYCLE_2) | instskip(NEXT) | instid1(TRANS32_DEP_2)
	v_s_exp_f32 s33, s33
	v_ldexp_f32 v7, s35, s36
	s_cvt_i32_f32 s35, s42
	s_wait_alu 0xf1fe
	s_delay_alu instid0(TRANS32_DEP_1) | instid1(SALU_CYCLE_2)
	v_ldexp_f32 v8, s33, s35
	s_delay_alu instid0(VALU_DEP_2) | instskip(NEXT) | instid1(VALU_DEP_2)
	v_cndmask_b32_e64 v7, 0, v7, s3
	v_cndmask_b32_e64 v8, 0, v8, s0
	s_delay_alu instid0(VALU_DEP_2) | instskip(NEXT) | instid1(VALU_DEP_2)
	v_cndmask_b32_e64 v7, 0x7f800000, v7, s4
	v_cndmask_b32_e64 v8, 0x7f800000, v8, s1
	;; [unrolled: 3-line block ×3, first 2 shown]
	s_wait_loadcnt 0x0
	s_delay_alu instid0(VALU_DEP_2) | instskip(SKIP_1) | instid1(VALU_DEP_1)
	v_mul_f32_e32 v6, v6, v7
	v_mul_f32_e32 v7, s37, v7
	v_fmac_f32_e32 v7, v5, v8
	s_delay_alu instid0(VALU_DEP_3)
	v_fmac_f32_e32 v6, v3, v8
	s_cbranch_execnz .LBB3_15
.LBB3_19:                               ;   in Loop: Header=BB3_9 Depth=1
	s_wait_loadcnt 0x0
	v_dual_mov_b32 v7, v5 :: v_dual_mov_b32 v6, v3
	s_add_co_i32 s17, s34, -1
	s_mov_b32 s27, s20
	s_mov_b32 s9, s26
	s_cbranch_execz .LBB3_23
.LBB3_20:                               ;   in Loop: Header=BB3_9 Depth=1
	v_mov_b32_e32 v5, v7
	s_wait_loadcnt 0x0
	v_mov_b32_e32 v3, v6
	s_wait_alu 0xfffe
	s_mov_b32 s20, s27
	s_mov_b32 s34, s17
	;; [unrolled: 1-line block ×3, first 2 shown]
	s_branch .LBB3_9
.LBB3_21:
                                        ; implicit-def: $sgpr20_sgpr21
	s_branch .LBB3_2
.LBB3_22:
                                        ; implicit-def: $sgpr10_sgpr11
	s_load_b96 s[12:14], s[0:1], 0x44
	s_branch .LBB3_5
.LBB3_23:
	v_div_scale_f32 v0, null, v7, v7, v6
	s_wait_loadcnt 0x0
	s_delay_alu instid0(VALU_DEP_1) | instskip(NEXT) | instid1(TRANS32_DEP_1)
	v_rcp_f32_e32 v3, v0
	v_fma_f32 v4, -v0, v3, 1.0
	s_delay_alu instid0(VALU_DEP_1) | instskip(SKIP_1) | instid1(VALU_DEP_1)
	v_fmac_f32_e32 v3, v4, v3
	v_div_scale_f32 v4, vcc_lo, v6, v7, v6
	v_mul_f32_e32 v5, v4, v3
	s_delay_alu instid0(VALU_DEP_1) | instskip(NEXT) | instid1(VALU_DEP_1)
	v_fma_f32 v8, -v0, v5, v4
	v_fmac_f32_e32 v5, v8, v3
	s_delay_alu instid0(VALU_DEP_1) | instskip(SKIP_1) | instid1(VALU_DEP_1)
	v_fma_f32 v0, -v0, v5, v4
	s_wait_alu 0xfffd
	v_div_fmas_f32 v0, v0, v3, v5
	s_delay_alu instid0(VALU_DEP_1)
	v_div_fixup_f32 v0, v0, v7, v6
	global_store_b32 v[1:2], v0, off
.LBB3_24:
	s_endpgm
	.section	.rodata,"a",@progbits
	.p2align	6, 0x0
	.amdhsa_kernel _ZL33flash_attn_stream_k_fixup_generalILi256ELi4ELi8EEvPfPK15HIP_vector_typeIfLj2EEiiiiS1_IjLj3EES5_S5_S5_
		.amdhsa_group_segment_fixed_size 0
		.amdhsa_private_segment_fixed_size 0
		.amdhsa_kernarg_size 336
		.amdhsa_user_sgpr_count 2
		.amdhsa_user_sgpr_dispatch_ptr 0
		.amdhsa_user_sgpr_queue_ptr 0
		.amdhsa_user_sgpr_kernarg_segment_ptr 1
		.amdhsa_user_sgpr_dispatch_id 0
		.amdhsa_user_sgpr_private_segment_size 0
		.amdhsa_wavefront_size32 1
		.amdhsa_uses_dynamic_stack 0
		.amdhsa_enable_private_segment 0
		.amdhsa_system_sgpr_workgroup_id_x 1
		.amdhsa_system_sgpr_workgroup_id_y 1
		.amdhsa_system_sgpr_workgroup_id_z 1
		.amdhsa_system_sgpr_workgroup_info 0
		.amdhsa_system_vgpr_workitem_id 0
		.amdhsa_next_free_vgpr 9
		.amdhsa_next_free_sgpr 44
		.amdhsa_reserve_vcc 1
		.amdhsa_float_round_mode_32 0
		.amdhsa_float_round_mode_16_64 0
		.amdhsa_float_denorm_mode_32 3
		.amdhsa_float_denorm_mode_16_64 3
		.amdhsa_fp16_overflow 0
		.amdhsa_workgroup_processor_mode 1
		.amdhsa_memory_ordered 1
		.amdhsa_forward_progress 1
		.amdhsa_inst_pref_size 28
		.amdhsa_round_robin_scheduling 0
		.amdhsa_exception_fp_ieee_invalid_op 0
		.amdhsa_exception_fp_denorm_src 0
		.amdhsa_exception_fp_ieee_div_zero 0
		.amdhsa_exception_fp_ieee_overflow 0
		.amdhsa_exception_fp_ieee_underflow 0
		.amdhsa_exception_fp_ieee_inexact 0
		.amdhsa_exception_int_div_zero 0
	.end_amdhsa_kernel
	.section	.text._ZL33flash_attn_stream_k_fixup_generalILi256ELi4ELi8EEvPfPK15HIP_vector_typeIfLj2EEiiiiS1_IjLj3EES5_S5_S5_,"axG",@progbits,_ZL33flash_attn_stream_k_fixup_generalILi256ELi4ELi8EEvPfPK15HIP_vector_typeIfLj2EEiiiiS1_IjLj3EES5_S5_S5_,comdat
.Lfunc_end3:
	.size	_ZL33flash_attn_stream_k_fixup_generalILi256ELi4ELi8EEvPfPK15HIP_vector_typeIfLj2EEiiiiS1_IjLj3EES5_S5_S5_, .Lfunc_end3-_ZL33flash_attn_stream_k_fixup_generalILi256ELi4ELi8EEvPfPK15HIP_vector_typeIfLj2EEiiiiS1_IjLj3EES5_S5_S5_
                                        ; -- End function
	.set _ZL33flash_attn_stream_k_fixup_generalILi256ELi4ELi8EEvPfPK15HIP_vector_typeIfLj2EEiiiiS1_IjLj3EES5_S5_S5_.num_vgpr, 9
	.set _ZL33flash_attn_stream_k_fixup_generalILi256ELi4ELi8EEvPfPK15HIP_vector_typeIfLj2EEiiiiS1_IjLj3EES5_S5_S5_.num_agpr, 0
	.set _ZL33flash_attn_stream_k_fixup_generalILi256ELi4ELi8EEvPfPK15HIP_vector_typeIfLj2EEiiiiS1_IjLj3EES5_S5_S5_.numbered_sgpr, 44
	.set _ZL33flash_attn_stream_k_fixup_generalILi256ELi4ELi8EEvPfPK15HIP_vector_typeIfLj2EEiiiiS1_IjLj3EES5_S5_S5_.num_named_barrier, 0
	.set _ZL33flash_attn_stream_k_fixup_generalILi256ELi4ELi8EEvPfPK15HIP_vector_typeIfLj2EEiiiiS1_IjLj3EES5_S5_S5_.private_seg_size, 0
	.set _ZL33flash_attn_stream_k_fixup_generalILi256ELi4ELi8EEvPfPK15HIP_vector_typeIfLj2EEiiiiS1_IjLj3EES5_S5_S5_.uses_vcc, 1
	.set _ZL33flash_attn_stream_k_fixup_generalILi256ELi4ELi8EEvPfPK15HIP_vector_typeIfLj2EEiiiiS1_IjLj3EES5_S5_S5_.uses_flat_scratch, 0
	.set _ZL33flash_attn_stream_k_fixup_generalILi256ELi4ELi8EEvPfPK15HIP_vector_typeIfLj2EEiiiiS1_IjLj3EES5_S5_S5_.has_dyn_sized_stack, 0
	.set _ZL33flash_attn_stream_k_fixup_generalILi256ELi4ELi8EEvPfPK15HIP_vector_typeIfLj2EEiiiiS1_IjLj3EES5_S5_S5_.has_recursion, 0
	.set _ZL33flash_attn_stream_k_fixup_generalILi256ELi4ELi8EEvPfPK15HIP_vector_typeIfLj2EEiiiiS1_IjLj3EES5_S5_S5_.has_indirect_call, 0
	.section	.AMDGPU.csdata,"",@progbits
; Kernel info:
; codeLenInByte = 3548
; TotalNumSgprs: 46
; NumVgprs: 9
; ScratchSize: 0
; MemoryBound: 0
; FloatMode: 240
; IeeeMode: 1
; LDSByteSize: 0 bytes/workgroup (compile time only)
; SGPRBlocks: 0
; VGPRBlocks: 1
; NumSGPRsForWavesPerEU: 46
; NumVGPRsForWavesPerEU: 9
; Occupancy: 16
; WaveLimiterHint : 0
; COMPUTE_PGM_RSRC2:SCRATCH_EN: 0
; COMPUTE_PGM_RSRC2:USER_SGPR: 2
; COMPUTE_PGM_RSRC2:TRAP_HANDLER: 0
; COMPUTE_PGM_RSRC2:TGID_X_EN: 1
; COMPUTE_PGM_RSRC2:TGID_Y_EN: 1
; COMPUTE_PGM_RSRC2:TGID_Z_EN: 1
; COMPUTE_PGM_RSRC2:TIDIG_COMP_CNT: 0
	.section	.text._ZL26flash_attn_combine_resultsILi256EEvPKfPK15HIP_vector_typeIfLj2EEPfi,"axG",@progbits,_ZL26flash_attn_combine_resultsILi256EEvPKfPK15HIP_vector_typeIfLj2EEPfi,comdat
	.globl	_ZL26flash_attn_combine_resultsILi256EEvPKfPK15HIP_vector_typeIfLj2EEPfi ; -- Begin function _ZL26flash_attn_combine_resultsILi256EEvPKfPK15HIP_vector_typeIfLj2EEPfi
	.p2align	8
	.type	_ZL26flash_attn_combine_resultsILi256EEvPKfPK15HIP_vector_typeIfLj2EEPfi,@function
_ZL26flash_attn_combine_resultsILi256EEvPKfPK15HIP_vector_typeIfLj2EEPfi: ; @_ZL26flash_attn_combine_resultsILi256EEvPKfPK15HIP_vector_typeIfLj2EEPfi
; %bb.0:
	s_clause 0x2
	s_load_b64 s[2:3], s[0:1], 0x20
	s_load_b96 s[8:10], s[0:1], 0x10
	s_load_b128 s[4:7], s[0:1], 0x0
	s_lshr_b32 s0, ttmp7, 16
	v_lshlrev_b32_e32 v5, 2, v0
	s_mov_b32 s12, exec_lo
	s_wait_kmcnt 0x0
	s_mul_i32 s0, s2, s0
	s_and_b32 s2, ttmp7, 0xffff
	s_add_co_i32 s0, s0, ttmp9
	s_lshl_b32 s1, s10, 1
	s_mul_i32 s11, s0, s3
	s_delay_alu instid0(SALU_CYCLE_1) | instskip(NEXT) | instid1(SALU_CYCLE_1)
	s_add_co_i32 s11, s11, s2
	s_mul_i32 s2, s11, s10
	v_cmpx_gt_i32_e64 s1, v0
	s_cbranch_execz .LBB4_3
; %bb.1:
	s_ashr_i32 s3, s2, 31
	v_dual_mov_b32 v4, v0 :: v_dual_add_nc_u32 v3, 0, v5
	s_lshl_b64 s[14:15], s[2:3], 3
	s_mov_b32 s3, 0
	s_add_nc_u64 s[6:7], s[6:7], s[14:15]
	s_delay_alu instid0(SALU_CYCLE_1)
	v_add_co_u32 v1, s0, s6, v5
	s_wait_alu 0xf1ff
	v_add_co_ci_u32_e64 v2, null, s7, 0, s0
.LBB4_2:                                ; =>This Inner Loop Header: Depth=1
	global_load_b32 v6, v[1:2], off
	v_add_nc_u32_e32 v4, 0x100, v4
	v_add_co_u32 v1, vcc_lo, 0x400, v1
	s_wait_alu 0xfffd
	v_add_co_ci_u32_e64 v2, null, 0, v2, vcc_lo
	s_delay_alu instid0(VALU_DEP_3)
	v_cmp_le_i32_e64 s0, s1, v4
	s_or_b32 s3, s0, s3
	s_wait_loadcnt 0x0
	ds_store_b32 v3, v6
	v_add_nc_u32_e32 v3, 0x400, v3
	s_and_not1_b32 exec_lo, exec_lo, s3
	s_cbranch_execnz .LBB4_2
.LBB4_3:
	s_or_b32 exec_lo, exec_lo, s12
	v_mov_b32_e32 v1, 0
	s_wait_dscnt 0x0
	s_barrier_signal -1
	s_barrier_wait -1
	global_inv scope:SCOPE_SE
	ds_load_b32 v6, v1
	s_cmp_lt_i32 s10, 2
	s_cbranch_scc1 .LBB4_11
; %bb.4:
	s_add_co_i32 s1, s10, -2
	s_add_co_i32 s0, s10, -1
	s_wait_alu 0xfffe
	s_cmp_lt_u32 s1, 7
	s_cbranch_scc1 .LBB4_8
; %bb.5:
	s_mov_b32 s3, 0
	s_add_co_i32 s1, 0, 8
	s_and_b32 s6, s0, -8
.LBB4_6:                                ; =>This Inner Loop Header: Depth=1
	s_wait_alu 0xfffe
	v_mov_b32_e32 v9, s1
	s_mov_b32 s7, s3
	s_add_co_i32 s3, s3, 8
	s_add_co_i32 s1, s1, 64
	s_cmp_eq_u32 s6, s3
	ds_load_2addr_b32 v[1:2], v9 offset1:2
	ds_load_2addr_b32 v[3:4], v9 offset0:4 offset1:6
	ds_load_2addr_b32 v[7:8], v9 offset0:8 offset1:10
	;; [unrolled: 1-line block ×3, first 2 shown]
	s_wait_dscnt 0x3
	v_max3_num_f32 v1, v6, v1, v2
	s_wait_dscnt 0x2
	s_delay_alu instid0(VALU_DEP_1) | instskip(SKIP_1) | instid1(VALU_DEP_1)
	v_max3_num_f32 v1, v1, v3, v4
	s_wait_dscnt 0x1
	v_max3_num_f32 v1, v1, v7, v8
	s_wait_dscnt 0x0
	s_delay_alu instid0(VALU_DEP_1)
	v_max3_num_f32 v6, v1, v9, v10
	s_cbranch_scc0 .LBB4_6
; %bb.7:
	s_wait_alu 0xfffe
	s_add_co_i32 s1, s7, 9
	s_and_b32 s0, s0, 7
	s_wait_alu 0xfffe
	s_cmp_eq_u32 s0, 0
	s_cbranch_scc0 .LBB4_9
	s_branch .LBB4_11
.LBB4_8:
	s_mov_b32 s1, 1
	s_and_b32 s0, s0, 7
	s_wait_alu 0xfffe
	s_cmp_eq_u32 s0, 0
	s_cbranch_scc1 .LBB4_11
.LBB4_9:
	s_lshl_b32 s1, s1, 3
	s_wait_alu 0xfffe
	s_add_co_i32 s1, s1, 0
.LBB4_10:                               ; =>This Inner Loop Header: Depth=1
	s_wait_dscnt 0x0
	s_wait_alu 0xfffe
	s_delay_alu instid0(VALU_DEP_1)
	v_dual_mov_b32 v1, s1 :: v_dual_max_num_f32 v2, v6, v6
	s_add_co_i32 s0, s0, -1
	s_add_co_i32 s1, s1, 8
	s_wait_alu 0xfffe
	s_cmp_lg_u32 s0, 0
	ds_load_b32 v1, v1
	s_wait_dscnt 0x0
	v_max_num_f32_e32 v1, v1, v1
	s_delay_alu instid0(VALU_DEP_1)
	v_max_num_f32_e32 v6, v2, v1
	s_cbranch_scc1 .LBB4_10
.LBB4_11:
	s_cmp_lt_i32 s10, 1
	s_cbranch_scc1 .LBB4_16
; %bb.12:
	s_lshl_b32 s0, s2, 8
	s_wait_alu 0xfffe
	s_ashr_i32 s1, s0, 31
	s_wait_alu 0xfffe
	s_lshl_b64 s[0:1], s[0:1], 2
	s_cmp_lt_u32 s10, 8
	s_wait_alu 0xfffe
	s_add_nc_u64 s[6:7], s[4:5], s[0:1]
	s_cbranch_scc1 .LBB4_17
; %bb.13:
	v_or_b32_e32 v1, 0x700, v0
	v_dual_mov_b32 v4, 0 :: v_dual_mov_b32 v7, 0
	v_mov_b32_e32 v8, 0
	s_and_b32 s12, s10, 0x7ffffff8
	s_mov_b32 s13, 0
	s_mov_b32 s14, 0
.LBB4_14:                               ; =>This Inner Loop Header: Depth=1
	v_dual_mov_b32 v2, v4 :: v_dual_add_nc_u32 v3, 0xfffff900, v1
	v_mov_b32_e32 v21, s14
	s_add_co_i32 s13, s13, 8
	s_add_co_i32 s14, s14, 64
	s_delay_alu instid0(VALU_DEP_2) | instskip(SKIP_3) | instid1(VALU_DEP_2)
	v_lshlrev_b64_e32 v[9:10], 2, v[3:4]
	v_add_nc_u32_e32 v3, 0xfffffa00, v1
	v_lshlrev_b64_e32 v[11:12], 2, v[1:2]
	s_cmp_eq_u32 s12, s13
	v_lshlrev_b64_e32 v[13:14], 2, v[3:4]
	s_wait_alu 0xfffe
	v_add_co_u32 v9, vcc_lo, s6, v9
	s_wait_alu 0xfffd
	v_add_co_ci_u32_e64 v10, null, s7, v10, vcc_lo
	v_add_nc_u32_e32 v3, 0xfffffb00, v1
	v_add_co_u32 v13, vcc_lo, s6, v13
	global_load_b32 v25, v[9:10], off
	s_wait_alu 0xfffd
	v_add_co_ci_u32_e64 v14, null, s7, v14, vcc_lo
	v_lshlrev_b64_e32 v[15:16], 2, v[3:4]
	v_add_nc_u32_e32 v3, 0xfffffc00, v1
	global_load_b32 v26, v[13:14], off
	v_add_co_u32 v13, vcc_lo, s6, v15
	s_wait_alu 0xfffd
	v_add_co_ci_u32_e64 v14, null, s7, v16, vcc_lo
	v_lshlrev_b64_e32 v[9:10], 2, v[3:4]
	v_add_nc_u32_e32 v3, 0xfffffd00, v1
	global_load_b32 v27, v[13:14], off
	v_add_co_u32 v9, vcc_lo, s6, v9
	v_lshlrev_b64_e32 v[15:16], 2, v[3:4]
	v_add_nc_u32_e32 v3, 0xfffffe00, v1
	s_wait_alu 0xfffd
	v_add_co_ci_u32_e64 v10, null, s7, v10, vcc_lo
	global_load_b32 v28, v[9:10], off
	v_lshlrev_b64_e32 v[13:14], 2, v[3:4]
	v_add_nc_u32_e32 v3, 0xffffff00, v1
	v_add_co_u32 v9, vcc_lo, s6, v15
	s_wait_alu 0xfffd
	v_add_co_ci_u32_e64 v10, null, s7, v16, vcc_lo
	s_delay_alu instid0(VALU_DEP_4)
	v_add_co_u32 v13, vcc_lo, s6, v13
	v_lshlrev_b64_e32 v[2:3], 2, v[3:4]
	s_wait_alu 0xfffd
	v_add_co_ci_u32_e64 v14, null, s7, v14, vcc_lo
	s_clause 0x1
	global_load_b32 v29, v[9:10], off
	global_load_b32 v30, v[13:14], off
	v_add_co_u32 v2, vcc_lo, s6, v2
	s_wait_alu 0xfffd
	v_add_co_ci_u32_e64 v3, null, s7, v3, vcc_lo
	v_add_co_u32 v9, vcc_lo, s6, v11
	s_wait_alu 0xfffd
	v_add_co_ci_u32_e64 v10, null, s7, v12, vcc_lo
	s_clause 0x1
	global_load_b32 v2, v[2:3], off
	global_load_b32 v3, v[9:10], off
	ds_load_2addr_b64 v[9:12], v21 offset1:1
	ds_load_2addr_b64 v[13:16], v21 offset0:2 offset1:3
	ds_load_2addr_b64 v[17:20], v21 offset0:4 offset1:5
	;; [unrolled: 1-line block ×3, first 2 shown]
	v_add_nc_u32_e32 v1, 0x800, v1
	s_wait_dscnt 0x1
	v_sub_f32_e32 v19, v19, v6
	v_sub_f32_e32 v11, v11, v6
	s_wait_dscnt 0x0
	v_sub_f32_e32 v23, v23, v6
	s_delay_alu instid0(VALU_DEP_3) | instskip(NEXT) | instid1(VALU_DEP_3)
	v_dual_sub_f32 v13, v13, v6 :: v_dual_mul_f32 v36, 0x3fb8aa3b, v19
	v_mul_f32_e32 v32, 0x3fb8aa3b, v11
	s_delay_alu instid0(VALU_DEP_2) | instskip(SKIP_1) | instid1(VALU_DEP_4)
	v_dual_mul_f32 v38, 0x3fb8aa3b, v23 :: v_dual_mul_f32 v33, 0x3fb8aa3b, v13
	v_cmp_ngt_f32_e32 vcc_lo, 0xc2ce8ed0, v13
	v_xor_b32_e32 v49, 0x80000000, v36
	s_delay_alu instid0(VALU_DEP_4) | instskip(SKIP_4) | instid1(VALU_DEP_4)
	v_xor_b32_e32 v41, 0x80000000, v32
	v_rndne_f32_e32 v42, v32
	v_xor_b32_e32 v43, 0x80000000, v33
	v_rndne_f32_e32 v44, v33
	v_rndne_f32_e32 v50, v36
	v_dual_fmac_f32 v41, 0x3fb8aa3b, v11 :: v_dual_sub_f32 v32, v32, v42
	s_delay_alu instid0(VALU_DEP_4) | instskip(NEXT) | instid1(VALU_DEP_4)
	v_fmac_f32_e32 v43, 0x3fb8aa3b, v13
	v_sub_f32_e32 v33, v33, v44
	v_cvt_i32_f32_e32 v42, v42
	s_delay_alu instid0(VALU_DEP_4) | instskip(SKIP_3) | instid1(VALU_DEP_4)
	v_fmac_f32_e32 v41, 0x32a5705f, v11
	v_sub_f32_e32 v15, v15, v6
	v_fmac_f32_e32 v43, 0x32a5705f, v13
	v_cvt_i32_f32_e32 v44, v44
	v_dual_fmac_f32 v49, 0x3fb8aa3b, v19 :: v_dual_add_f32 v32, v32, v41
	s_delay_alu instid0(VALU_DEP_4) | instskip(NEXT) | instid1(VALU_DEP_4)
	v_dual_sub_f32 v9, v9, v6 :: v_dual_mul_f32 v34, 0x3fb8aa3b, v15
	v_add_f32_e32 v33, v33, v43
	v_cmp_ngt_f32_e64 s0, 0xc2ce8ed0, v15
	s_delay_alu instid0(VALU_DEP_4) | instskip(NEXT) | instid1(VALU_DEP_3)
	v_exp_f32_e32 v32, v32
	v_mul_f32_e32 v31, 0x3fb8aa3b, v9
	v_xor_b32_e32 v45, 0x80000000, v34
	v_rndne_f32_e32 v46, v34
	v_exp_f32_e32 v33, v33
	v_cmp_ngt_f32_e64 s5, 0xc2ce8ed0, v9
	v_xor_b32_e32 v39, 0x80000000, v31
	v_rndne_f32_e32 v40, v31
	v_dual_fmac_f32 v45, 0x3fb8aa3b, v15 :: v_dual_sub_f32 v34, v34, v46
	s_delay_alu instid0(TRANS32_DEP_2) | instskip(NEXT) | instid1(VALU_DEP_4)
	v_ldexp_f32 v32, v32, v42
	v_fmac_f32_e32 v39, 0x3fb8aa3b, v9
	s_delay_alu instid0(VALU_DEP_4)
	v_sub_f32_e32 v31, v31, v40
	v_cvt_i32_f32_e32 v40, v40
	v_fmac_f32_e32 v45, 0x32a5705f, v15
	v_sub_f32_e32 v17, v17, v6
	v_fmac_f32_e32 v39, 0x32a5705f, v9
	v_ldexp_f32 v33, v33, v44
	v_cvt_i32_f32_e32 v46, v46
	v_add_f32_e32 v34, v34, v45
	s_delay_alu instid0(VALU_DEP_4) | instskip(SKIP_2) | instid1(VALU_DEP_4)
	v_dual_sub_f32 v36, v36, v50 :: v_dual_add_f32 v31, v31, v39
	v_fmac_f32_e32 v49, 0x32a5705f, v19
	v_xor_b32_e32 v53, 0x80000000, v38
	v_exp_f32_e32 v34, v34
	v_cvt_i32_f32_e32 v50, v50
	v_exp_f32_e32 v31, v31
	v_add_f32_e32 v36, v36, v49
	v_cmp_ngt_f32_e64 s1, 0xc2ce8ed0, v17
	v_rndne_f32_e32 v54, v38
	v_cmp_ngt_f32_e64 s2, 0xc2ce8ed0, v19
	s_delay_alu instid0(VALU_DEP_4) | instskip(NEXT) | instid1(TRANS32_DEP_3)
	v_exp_f32_e32 v36, v36
	v_ldexp_f32 v34, v34, v46
	s_delay_alu instid0(VALU_DEP_3) | instskip(NEXT) | instid1(TRANS32_DEP_2)
	v_sub_f32_e32 v38, v38, v54
	v_ldexp_f32 v31, v31, v40
	v_cvt_i32_f32_e32 v54, v54
	s_wait_alu 0xf1ff
	s_delay_alu instid0(VALU_DEP_2) | instskip(SKIP_1) | instid1(TRANS32_DEP_1)
	v_cndmask_b32_e64 v31, 0, v31, s5
	v_cmp_ngt_f32_e64 s5, 0xc2ce8ed0, v11
	v_ldexp_f32 v36, v36, v50
	s_wait_alu 0xf1ff
	s_delay_alu instid0(VALU_DEP_2) | instskip(SKIP_2) | instid1(VALU_DEP_1)
	v_cndmask_b32_e64 v32, 0, v32, s5
	v_cmp_nlt_f32_e64 s5, 0x42b17218, v9
	s_wait_alu 0xf1ff
	v_cndmask_b32_e64 v9, 0x7f800000, v31, s5
	s_wait_alu 0xfffd
	v_cndmask_b32_e32 v31, 0, v33, vcc_lo
	v_cmp_nlt_f32_e32 vcc_lo, 0x42b17218, v11
	s_wait_alu 0xfffd
	v_dual_fmac_f32 v8, v9, v10 :: v_dual_cndmask_b32 v11, 0x7f800000, v32
	v_cmp_nlt_f32_e32 vcc_lo, 0x42b17218, v13
	s_delay_alu instid0(VALU_DEP_2)
	v_fmac_f32_e32 v8, v11, v12
	s_wait_alu 0xfffd
	v_cndmask_b32_e32 v10, 0x7f800000, v31, vcc_lo
	v_cmp_nlt_f32_e32 vcc_lo, 0x42b17218, v15
	v_fmac_f32_e32 v53, 0x3fb8aa3b, v23
	v_cmp_ngt_f32_e64 s4, 0xc2ce8ed0, v23
	s_delay_alu instid0(VALU_DEP_2) | instskip(NEXT) | instid1(VALU_DEP_1)
	v_dual_fmac_f32 v8, v10, v14 :: v_dual_fmac_f32 v53, 0x32a5705f, v23
	v_dual_sub_f32 v21, v21, v6 :: v_dual_add_f32 v38, v38, v53
	s_delay_alu instid0(VALU_DEP_1) | instskip(NEXT) | instid1(VALU_DEP_2)
	v_cmp_ngt_f32_e64 s3, 0xc2ce8ed0, v21
	v_exp_f32_e32 v38, v38
	s_delay_alu instid0(TRANS32_DEP_1) | instskip(SKIP_4) | instid1(VALU_DEP_1)
	v_ldexp_f32 v38, v38, v54
	s_wait_loadcnt 0x7
	v_fmac_f32_e32 v7, v25, v9
	v_cndmask_b32_e64 v9, 0, v34, s0
	s_wait_alu 0xfffd
	v_cndmask_b32_e32 v9, 0x7f800000, v9, vcc_lo
	s_wait_loadcnt 0x6
	v_fmac_f32_e32 v7, v26, v11
	v_cmp_nlt_f32_e32 vcc_lo, 0x42b17218, v17
	s_delay_alu instid0(VALU_DEP_3) | instskip(SKIP_1) | instid1(VALU_DEP_3)
	v_dual_fmac_f32 v8, v9, v16 :: v_dual_mul_f32 v35, 0x3fb8aa3b, v17
	s_wait_loadcnt 0x5
	v_fmac_f32_e32 v7, v27, v10
	s_delay_alu instid0(VALU_DEP_2) | instskip(SKIP_2) | instid1(VALU_DEP_3)
	v_xor_b32_e32 v47, 0x80000000, v35
	v_rndne_f32_e32 v48, v35
	v_cndmask_b32_e64 v10, 0, v36, s2
	v_fmac_f32_e32 v47, 0x3fb8aa3b, v17
	s_delay_alu instid0(VALU_DEP_3) | instskip(SKIP_1) | instid1(VALU_DEP_3)
	v_sub_f32_e32 v35, v35, v48
	v_cvt_i32_f32_e32 v48, v48
	v_fmac_f32_e32 v47, 0x32a5705f, v17
	s_wait_loadcnt 0x4
	v_fmac_f32_e32 v7, v28, v9
	s_delay_alu instid0(VALU_DEP_2) | instskip(NEXT) | instid1(VALU_DEP_1)
	v_add_f32_e32 v35, v35, v47
	v_exp_f32_e32 v35, v35
	s_delay_alu instid0(TRANS32_DEP_1) | instskip(NEXT) | instid1(VALU_DEP_1)
	v_ldexp_f32 v35, v35, v48
	v_cndmask_b32_e64 v11, 0, v35, s1
	s_wait_alu 0xfffd
	s_delay_alu instid0(VALU_DEP_1) | instskip(SKIP_1) | instid1(VALU_DEP_2)
	v_cndmask_b32_e32 v11, 0x7f800000, v11, vcc_lo
	v_cmp_nlt_f32_e32 vcc_lo, 0x42b17218, v19
	v_fmac_f32_e32 v8, v11, v18
	s_wait_alu 0xfffd
	v_cndmask_b32_e32 v10, 0x7f800000, v10, vcc_lo
	v_mul_f32_e32 v37, 0x3fb8aa3b, v21
	s_wait_loadcnt 0x3
	v_fmac_f32_e32 v7, v29, v11
	v_cmp_nlt_f32_e32 vcc_lo, 0x42b17218, v21
	s_wait_alu 0xf1ff
	v_cndmask_b32_e64 v11, 0, v38, s4
	v_fmac_f32_e32 v8, v10, v20
	v_xor_b32_e32 v51, 0x80000000, v37
	v_rndne_f32_e32 v52, v37
	s_wait_loadcnt 0x2
	v_fmac_f32_e32 v7, v30, v10
	s_delay_alu instid0(VALU_DEP_3) | instskip(NEXT) | instid1(VALU_DEP_3)
	v_fmac_f32_e32 v51, 0x3fb8aa3b, v21
	v_sub_f32_e32 v37, v37, v52
	v_cvt_i32_f32_e32 v52, v52
	s_delay_alu instid0(VALU_DEP_3) | instskip(NEXT) | instid1(VALU_DEP_1)
	v_fmac_f32_e32 v51, 0x32a5705f, v21
	v_add_f32_e32 v37, v37, v51
	s_delay_alu instid0(VALU_DEP_1) | instskip(NEXT) | instid1(TRANS32_DEP_1)
	v_exp_f32_e32 v37, v37
	v_ldexp_f32 v37, v37, v52
	s_delay_alu instid0(VALU_DEP_1) | instskip(SKIP_1) | instid1(VALU_DEP_1)
	v_cndmask_b32_e64 v9, 0, v37, s3
	s_wait_alu 0xfffd
	v_cndmask_b32_e32 v9, 0x7f800000, v9, vcc_lo
	v_cmp_nlt_f32_e32 vcc_lo, 0x42b17218, v23
	s_delay_alu instid0(VALU_DEP_2) | instskip(SKIP_4) | instid1(VALU_DEP_1)
	v_fmac_f32_e32 v8, v9, v22
	s_wait_loadcnt 0x1
	s_wait_alu 0xfffd
	v_dual_cndmask_b32 v10, 0x7f800000, v11 :: v_dual_fmac_f32 v7, v2, v9
	s_wait_loadcnt 0x0
	v_dual_fmac_f32 v8, v10, v24 :: v_dual_fmac_f32 v7, v3, v10
	s_cbranch_scc0 .LBB4_14
; %bb.15:
	s_and_b32 s0, s10, 7
	s_wait_alu 0xfffe
	s_cmp_eq_u32 s0, 0
	s_cbranch_scc0 .LBB4_18
	s_branch .LBB4_20
.LBB4_16:
	v_mov_b32_e32 v0, 0x7fc00000
	s_branch .LBB4_21
.LBB4_17:
	v_dual_mov_b32 v7, 0 :: v_dual_mov_b32 v8, 0
	s_mov_b32 s12, 0
	s_and_b32 s0, s10, 7
	s_wait_alu 0xfffe
	s_cmp_eq_u32 s0, 0
	s_cbranch_scc1 .LBB4_20
.LBB4_18:
	v_lshl_or_b32 v0, s12, 8, v0
	v_mov_b32_e32 v1, 0
	s_lshl_b32 s1, s12, 3
	s_wait_alu 0xfffe
	s_add_co_i32 s1, s1, 0
.LBB4_19:                               ; =>This Inner Loop Header: Depth=1
	s_delay_alu instid0(VALU_DEP_1) | instskip(SKIP_2) | instid1(VALU_DEP_2)
	v_lshlrev_b64_e32 v[2:3], 2, v[0:1]
	s_add_co_i32 s0, s0, -1
	v_add_nc_u32_e32 v0, 0x100, v0
	v_add_co_u32 v2, vcc_lo, s6, v2
	s_wait_alu 0xfffd
	s_delay_alu instid0(VALU_DEP_3)
	v_add_co_ci_u32_e64 v3, null, s7, v3, vcc_lo
	global_load_b32 v4, v[2:3], off
	s_wait_alu 0xfffe
	v_mov_b32_e32 v2, s1
	s_add_co_i32 s1, s1, 8
	s_cmp_lg_u32 s0, 0
	ds_load_b64 v[2:3], v2
	s_wait_dscnt 0x0
	v_sub_f32_e32 v2, v2, v6
	s_delay_alu instid0(VALU_DEP_1) | instskip(SKIP_1) | instid1(VALU_DEP_2)
	v_mul_f32_e32 v9, 0x3fb8aa3b, v2
	v_cmp_ngt_f32_e32 vcc_lo, 0xc2ce8ed0, v2
	v_xor_b32_e32 v10, 0x80000000, v9
	v_rndne_f32_e32 v11, v9
	s_delay_alu instid0(VALU_DEP_1) | instskip(NEXT) | instid1(VALU_DEP_1)
	v_dual_fmac_f32 v10, 0x3fb8aa3b, v2 :: v_dual_sub_f32 v9, v9, v11
	v_fmac_f32_e32 v10, 0x32a5705f, v2
	s_delay_alu instid0(VALU_DEP_1) | instskip(SKIP_1) | instid1(VALU_DEP_2)
	v_add_f32_e32 v9, v9, v10
	v_cvt_i32_f32_e32 v10, v11
	v_exp_f32_e32 v9, v9
	s_delay_alu instid0(TRANS32_DEP_1) | instskip(SKIP_1) | instid1(VALU_DEP_1)
	v_ldexp_f32 v9, v9, v10
	s_wait_alu 0xfffd
	v_cndmask_b32_e32 v9, 0, v9, vcc_lo
	v_cmp_nlt_f32_e32 vcc_lo, 0x42b17218, v2
	s_wait_alu 0xfffd
	s_delay_alu instid0(VALU_DEP_2) | instskip(SKIP_1) | instid1(VALU_DEP_1)
	v_cndmask_b32_e32 v2, 0x7f800000, v9, vcc_lo
	s_wait_loadcnt 0x0
	v_dual_fmac_f32 v8, v2, v3 :: v_dual_fmac_f32 v7, v4, v2
	s_cbranch_scc1 .LBB4_19
.LBB4_20:
	s_delay_alu instid0(VALU_DEP_1) | instskip(NEXT) | instid1(VALU_DEP_1)
	v_div_scale_f32 v0, null, v8, v8, v7
	v_rcp_f32_e32 v1, v0
	s_delay_alu instid0(TRANS32_DEP_1) | instskip(NEXT) | instid1(VALU_DEP_1)
	v_fma_f32 v2, -v0, v1, 1.0
	v_fmac_f32_e32 v1, v2, v1
	v_div_scale_f32 v2, vcc_lo, v7, v8, v7
	s_delay_alu instid0(VALU_DEP_1) | instskip(NEXT) | instid1(VALU_DEP_1)
	v_mul_f32_e32 v3, v2, v1
	v_fma_f32 v4, -v0, v3, v2
	s_delay_alu instid0(VALU_DEP_1) | instskip(NEXT) | instid1(VALU_DEP_1)
	v_fmac_f32_e32 v3, v4, v1
	v_fma_f32 v0, -v0, v3, v2
	s_wait_alu 0xfffd
	s_delay_alu instid0(VALU_DEP_1) | instskip(NEXT) | instid1(VALU_DEP_1)
	v_div_fmas_f32 v0, v0, v1, v3
	v_div_fixup_f32 v0, v0, v8, v7
.LBB4_21:
	s_lshl_b32 s0, s11, 8
	s_wait_alu 0xfffe
	s_ashr_i32 s1, s0, 31
	s_wait_alu 0xfffe
	s_lshl_b64 s[0:1], s[0:1], 2
	s_wait_alu 0xfffe
	s_add_nc_u64 s[0:1], s[8:9], s[0:1]
	global_store_b32 v5, v0, s[0:1]
	s_endpgm
	.section	.rodata,"a",@progbits
	.p2align	6, 0x0
	.amdhsa_kernel _ZL26flash_attn_combine_resultsILi256EEvPKfPK15HIP_vector_typeIfLj2EEPfi
		.amdhsa_group_segment_fixed_size 0
		.amdhsa_private_segment_fixed_size 0
		.amdhsa_kernarg_size 288
		.amdhsa_user_sgpr_count 2
		.amdhsa_user_sgpr_dispatch_ptr 0
		.amdhsa_user_sgpr_queue_ptr 0
		.amdhsa_user_sgpr_kernarg_segment_ptr 1
		.amdhsa_user_sgpr_dispatch_id 0
		.amdhsa_user_sgpr_private_segment_size 0
		.amdhsa_wavefront_size32 1
		.amdhsa_uses_dynamic_stack 0
		.amdhsa_enable_private_segment 0
		.amdhsa_system_sgpr_workgroup_id_x 1
		.amdhsa_system_sgpr_workgroup_id_y 1
		.amdhsa_system_sgpr_workgroup_id_z 1
		.amdhsa_system_sgpr_workgroup_info 0
		.amdhsa_system_vgpr_workitem_id 0
		.amdhsa_next_free_vgpr 55
		.amdhsa_next_free_sgpr 16
		.amdhsa_reserve_vcc 1
		.amdhsa_float_round_mode_32 0
		.amdhsa_float_round_mode_16_64 0
		.amdhsa_float_denorm_mode_32 3
		.amdhsa_float_denorm_mode_16_64 3
		.amdhsa_fp16_overflow 0
		.amdhsa_workgroup_processor_mode 1
		.amdhsa_memory_ordered 1
		.amdhsa_forward_progress 1
		.amdhsa_inst_pref_size 21
		.amdhsa_round_robin_scheduling 0
		.amdhsa_exception_fp_ieee_invalid_op 0
		.amdhsa_exception_fp_denorm_src 0
		.amdhsa_exception_fp_ieee_div_zero 0
		.amdhsa_exception_fp_ieee_overflow 0
		.amdhsa_exception_fp_ieee_underflow 0
		.amdhsa_exception_fp_ieee_inexact 0
		.amdhsa_exception_int_div_zero 0
	.end_amdhsa_kernel
	.section	.text._ZL26flash_attn_combine_resultsILi256EEvPKfPK15HIP_vector_typeIfLj2EEPfi,"axG",@progbits,_ZL26flash_attn_combine_resultsILi256EEvPKfPK15HIP_vector_typeIfLj2EEPfi,comdat
.Lfunc_end4:
	.size	_ZL26flash_attn_combine_resultsILi256EEvPKfPK15HIP_vector_typeIfLj2EEPfi, .Lfunc_end4-_ZL26flash_attn_combine_resultsILi256EEvPKfPK15HIP_vector_typeIfLj2EEPfi
                                        ; -- End function
	.set _ZL26flash_attn_combine_resultsILi256EEvPKfPK15HIP_vector_typeIfLj2EEPfi.num_vgpr, 55
	.set _ZL26flash_attn_combine_resultsILi256EEvPKfPK15HIP_vector_typeIfLj2EEPfi.num_agpr, 0
	.set _ZL26flash_attn_combine_resultsILi256EEvPKfPK15HIP_vector_typeIfLj2EEPfi.numbered_sgpr, 16
	.set _ZL26flash_attn_combine_resultsILi256EEvPKfPK15HIP_vector_typeIfLj2EEPfi.num_named_barrier, 0
	.set _ZL26flash_attn_combine_resultsILi256EEvPKfPK15HIP_vector_typeIfLj2EEPfi.private_seg_size, 0
	.set _ZL26flash_attn_combine_resultsILi256EEvPKfPK15HIP_vector_typeIfLj2EEPfi.uses_vcc, 1
	.set _ZL26flash_attn_combine_resultsILi256EEvPKfPK15HIP_vector_typeIfLj2EEPfi.uses_flat_scratch, 0
	.set _ZL26flash_attn_combine_resultsILi256EEvPKfPK15HIP_vector_typeIfLj2EEPfi.has_dyn_sized_stack, 0
	.set _ZL26flash_attn_combine_resultsILi256EEvPKfPK15HIP_vector_typeIfLj2EEPfi.has_recursion, 0
	.set _ZL26flash_attn_combine_resultsILi256EEvPKfPK15HIP_vector_typeIfLj2EEPfi.has_indirect_call, 0
	.section	.AMDGPU.csdata,"",@progbits
; Kernel info:
; codeLenInByte = 2564
; TotalNumSgprs: 18
; NumVgprs: 55
; ScratchSize: 0
; MemoryBound: 0
; FloatMode: 240
; IeeeMode: 1
; LDSByteSize: 0 bytes/workgroup (compile time only)
; SGPRBlocks: 0
; VGPRBlocks: 6
; NumSGPRsForWavesPerEU: 18
; NumVGPRsForWavesPerEU: 55
; Occupancy: 16
; WaveLimiterHint : 0
; COMPUTE_PGM_RSRC2:SCRATCH_EN: 0
; COMPUTE_PGM_RSRC2:USER_SGPR: 2
; COMPUTE_PGM_RSRC2:TRAP_HANDLER: 0
; COMPUTE_PGM_RSRC2:TGID_X_EN: 1
; COMPUTE_PGM_RSRC2:TGID_Y_EN: 1
; COMPUTE_PGM_RSRC2:TGID_Z_EN: 1
; COMPUTE_PGM_RSRC2:TIDIG_COMP_CNT: 0
	.section	.text._ZL15flash_attn_tileILi256ELi256ELi2ELi8ELb0EEvPKcS1_S1_S1_S1_PKiPfP15HIP_vector_typeIfLj2EEffffjfiS5_IjLj3EEiiiiiiiiiiiliiliiiiil,"axG",@progbits,_ZL15flash_attn_tileILi256ELi256ELi2ELi8ELb0EEvPKcS1_S1_S1_S1_PKiPfP15HIP_vector_typeIfLj2EEffffjfiS5_IjLj3EEiiiiiiiiiiiliiliiiiil,comdat
	.globl	_ZL15flash_attn_tileILi256ELi256ELi2ELi8ELb0EEvPKcS1_S1_S1_S1_PKiPfP15HIP_vector_typeIfLj2EEffffjfiS5_IjLj3EEiiiiiiiiiiiliiliiiiil ; -- Begin function _ZL15flash_attn_tileILi256ELi256ELi2ELi8ELb0EEvPKcS1_S1_S1_S1_PKiPfP15HIP_vector_typeIfLj2EEffffjfiS5_IjLj3EEiiiiiiiiiiiliiliiiiil
	.p2align	8
	.type	_ZL15flash_attn_tileILi256ELi256ELi2ELi8ELb0EEvPKcS1_S1_S1_S1_PKiPfP15HIP_vector_typeIfLj2EEffffjfiS5_IjLj3EEiiiiiiiiiiiliiliiiiil,@function
_ZL15flash_attn_tileILi256ELi256ELi2ELi8ELb0EEvPKcS1_S1_S1_S1_PKiPfP15HIP_vector_typeIfLj2EEffffjfiS5_IjLj3EEiiiiiiiiiiiliiliiiiil: ; @_ZL15flash_attn_tileILi256ELi256ELi2ELi8ELb0EEvPKcS1_S1_S1_S1_PKiPfP15HIP_vector_typeIfLj2EEffffjfiS5_IjLj3EEiiiiiiiiiiiliiliiiiil
; %bb.0:
	s_clause 0x1
	s_load_b128 s[20:23], s[0:1], 0x5c
	s_load_b64 s[30:31], s[0:1], 0x80
	s_lshr_b32 s5, ttmp7, 16
	s_load_b64 s[36:37], s[0:1], 0xb8
	s_mov_b64 s[34:35], 0
	s_wait_kmcnt 0x0
	s_ashr_i32 s2, s23, 31
	s_delay_alu instid0(SALU_CYCLE_1) | instskip(NEXT) | instid1(SALU_CYCLE_1)
	s_lshr_b32 s2, s2, 29
	s_add_co_i32 s2, s23, s2
	s_delay_alu instid0(SALU_CYCLE_1) | instskip(NEXT) | instid1(SALU_CYCLE_1)
	s_ashr_i32 s2, s2, 3
	s_cvt_f32_u32 s3, s2
	s_sub_co_i32 s4, 0, s2
	s_delay_alu instid0(SALU_CYCLE_2) | instskip(NEXT) | instid1(TRANS32_DEP_1)
	v_rcp_iflag_f32_e32 v1, s3
	v_readfirstlane_b32 s3, v1
	s_mul_f32 s3, s3, 0x4f7ffffe
	s_wait_alu 0xfffe
	s_delay_alu instid0(SALU_CYCLE_2) | instskip(SKIP_1) | instid1(SALU_CYCLE_2)
	s_cvt_u32_f32 s3, s3
	s_wait_alu 0xfffe
	s_mul_i32 s4, s4, s3
	s_delay_alu instid0(SALU_CYCLE_1) | instskip(NEXT) | instid1(SALU_CYCLE_1)
	s_mul_hi_u32 s4, s3, s4
	s_add_co_i32 s3, s3, s4
	s_wait_alu 0xfffe
	s_mul_hi_u32 s3, s5, s3
	s_wait_alu 0xfffe
	s_mul_i32 s4, s3, s2
	s_add_co_i32 s6, s3, 1
	s_sub_co_i32 s4, s5, s4
	s_delay_alu instid0(SALU_CYCLE_1)
	s_sub_co_i32 s7, s4, s2
	s_cmp_ge_u32 s4, s2
	s_cselect_b32 s3, s6, s3
	s_cselect_b32 s4, s7, s4
	s_wait_alu 0xfffe
	s_add_co_i32 s6, s3, 1
	s_cmp_ge_u32 s4, s2
	s_cselect_b32 s28, s6, s3
	s_abs_i32 s2, s31
	s_abs_i32 s7, s23
	s_wait_alu 0xfffe
	s_cvt_f32_u32 s3, s2
	s_sub_co_i32 s4, 0, s2
	s_lshl_b32 s5, s5, 3
	s_mul_i32 s6, s28, s23
	s_wait_alu 0xfffe
	v_rcp_iflag_f32_e32 v1, s3
	s_sub_co_i32 s33, s5, s6
	s_delay_alu instid0(TRANS32_DEP_1) | instskip(SKIP_2) | instid1(SALU_CYCLE_2)
	v_readfirstlane_b32 s3, v1
	s_mul_f32 s3, s3, 0x4f7ffffe
	s_wait_alu 0xfffe
	s_cvt_u32_f32 s3, s3
	s_wait_alu 0xfffe
	s_delay_alu instid0(SALU_CYCLE_2) | instskip(NEXT) | instid1(SALU_CYCLE_1)
	s_mul_i32 s4, s4, s3
	s_mul_hi_u32 s4, s3, s4
	s_delay_alu instid0(SALU_CYCLE_1)
	s_add_co_i32 s3, s3, s4
	s_xor_b32 s4, s23, s31
	s_wait_alu 0xfffe
	s_mul_hi_u32 s3, s7, s3
	s_ashr_i32 s24, s4, 31
	s_wait_alu 0xfffe
	s_mul_i32 s5, s3, s2
	s_delay_alu instid0(SALU_CYCLE_1)
	s_sub_co_i32 s4, s7, s5
	s_add_co_i32 s5, s3, 1
	s_sub_co_i32 s6, s4, s2
	s_cmp_ge_u32 s4, s2
	s_cselect_b32 s3, s5, s3
	s_cselect_b32 s4, s6, s4
	s_wait_alu 0xfffe
	s_add_co_i32 s5, s3, 1
	s_cmp_ge_u32 s4, s2
	s_cselect_b32 s2, s5, s3
	s_load_b512 s[4:19], s[0:1], 0x0
	s_xor_b32 s2, s2, s24
	s_mov_b32 s3, 0
	s_wait_alu 0xfffe
	s_sub_co_i32 s38, s2, s24
	s_delay_alu instid0(SALU_CYCLE_1) | instskip(NEXT) | instid1(SALU_CYCLE_1)
	s_abs_i32 s31, s38
	s_cvt_f32_u32 s2, s31
	s_wait_alu 0xfffe
	s_delay_alu instid0(SALU_CYCLE_2) | instskip(SKIP_2) | instid1(TRANS32_DEP_1)
	v_rcp_iflag_f32_e32 v1, s2
	s_wait_kmcnt 0x0
	s_cmp_eq_u64 s[10:11], 0
	v_readfirstlane_b32 s2, v1
	s_cbranch_scc1 .LBB5_2
; %bb.1:
	s_abs_i32 s26, s36
	s_delay_alu instid0(SALU_CYCLE_1) | instskip(NEXT) | instid1(SALU_CYCLE_3)
	s_cvt_f32_u32 s24, s26
	v_rcp_iflag_f32_e32 v1, s24
	s_delay_alu instid0(TRANS32_DEP_1) | instskip(SKIP_2) | instid1(SALU_CYCLE_2)
	v_readfirstlane_b32 s24, v1
	s_mul_f32 s24, s24, 0x4f7ffffe
	s_wait_alu 0xfffe
	s_cvt_u32_f32 s27, s24
	s_sub_co_i32 s24, 0, s26
	s_wait_alu 0xfffe
	s_delay_alu instid0(SALU_CYCLE_1) | instskip(SKIP_4) | instid1(SALU_CYCLE_1)
	s_mul_i32 s24, s24, s27
	s_wait_alu 0xfffe
	s_mul_hi_u32 s29, s27, s24
	s_load_b64 s[24:25], s[0:1], 0xc8
	s_add_co_i32 s27, s27, s29
	s_mul_hi_u32 s27, s28, s27
	s_delay_alu instid0(SALU_CYCLE_1) | instskip(NEXT) | instid1(SALU_CYCLE_1)
	s_mul_i32 s27, s27, s26
	s_sub_co_i32 s27, s28, s27
	s_delay_alu instid0(SALU_CYCLE_1) | instskip(SKIP_2) | instid1(SALU_CYCLE_1)
	s_sub_co_i32 s29, s27, s26
	s_cmp_ge_u32 s27, s26
	s_cselect_b32 s27, s29, s27
	s_sub_co_i32 s29, s27, s26
	s_cmp_ge_u32 s27, s26
	s_cselect_b32 s26, s29, s27
	s_delay_alu instid0(SALU_CYCLE_1)
	s_ashr_i32 s27, s26, 31
	s_wait_kmcnt 0x0
	s_mul_u64 s[24:25], s[24:25], s[26:27]
	s_wait_alu 0xfffe
	s_add_nc_u64 s[34:35], s[10:11], s[24:25]
.LBB5_2:
	v_lshrrev_b32_e32 v1, 10, v0
	s_load_b96 s[24:26], s[0:1], 0x70
	v_and_b32_e32 v17, 0x3ff, v0
	s_delay_alu instid0(VALU_DEP_2) | instskip(NEXT) | instid1(VALU_DEP_1)
	v_bfe_u32 v1, v1, 2, 8
	v_lshl_add_u32 v16, ttmp9, 1, v1
	s_delay_alu instid0(VALU_DEP_1) | instskip(SKIP_3) | instid1(VALU_DEP_1)
	v_mul_hi_u32 v1, s20, v16
	s_wait_kmcnt 0x0
	s_mul_i32 s10, s33, s25
	s_mov_b32 s20, s25
	v_add_nc_u32_e32 v1, v16, v1
	s_delay_alu instid0(VALU_DEP_1)
	v_lshrrev_b32_e32 v2, s21, v1
	s_ashr_i32 s21, s25, 31
	s_ashr_i32 s25, s24, 31
	v_bfe_u32 v1, v0, 10, 10
	s_wait_alu 0xfffe
	s_lshr_b64 s[40:41], s[24:25], 2
	v_mul_lo_u32 v2, v2, s22
	s_lshr_b32 s11, s25, 2
	s_mul_i32 s24, s28, s26
	s_wait_alu 0xfffe
	s_ashr_i32 s25, s24, 31
	s_wait_alu 0xfffe
	s_add_nc_u64 s[4:5], s[4:5], s[24:25]
	s_delay_alu instid0(VALU_DEP_1) | instskip(NEXT) | instid1(VALU_DEP_1)
	v_sub_nc_u32_e32 v2, v16, v2
	v_mad_co_u64_u32 v[3:4], null, s40, v2, 0
	v_lshlrev_b32_e32 v5, 1, v1
	s_lshr_b64 s[40:41], s[20:21], 2
	s_lshr_b32 s20, s21, 2
	s_delay_alu instid0(VALU_DEP_2) | instskip(NEXT) | instid1(VALU_DEP_2)
	v_mov_b32_e32 v0, v4
	v_or_b32_e32 v15, 1, v5
	s_delay_alu instid0(VALU_DEP_2) | instskip(NEXT) | instid1(VALU_DEP_2)
	v_mad_co_u64_u32 v[7:8], null, s11, v2, v[0:1]
	v_and_b32_e32 v10, 7, v15
	s_ashr_i32 s11, s10, 31
	s_cmp_eq_u64 s[14:15], 0
	s_wait_alu 0xfffe
	s_add_nc_u64 s[4:5], s[4:5], s[10:11]
	v_mad_co_u64_u32 v[8:9], null, s40, v10, 0
	s_delay_alu instid0(VALU_DEP_3) | instskip(SKIP_2) | instid1(VALU_DEP_3)
	v_dual_mov_b32 v4, v7 :: v_dual_and_b32 v37, 6, v5
	v_lshlrev_b32_e32 v11, 4, v17
	v_lshlrev_b32_e32 v39, 3, v17
	v_mad_co_u64_u32 v[5:6], null, s40, v37, 0
	s_delay_alu instid0(VALU_DEP_4) | instskip(NEXT) | instid1(VALU_DEP_3)
	v_lshlrev_b64_e32 v[3:4], 2, v[3:4]
	v_add_nc_u32_e32 v22, 0x4200, v39
	s_delay_alu instid0(VALU_DEP_3) | instskip(NEXT) | instid1(VALU_DEP_2)
	v_mov_b32_e32 v0, v6
	v_lshl_add_u32 v15, v15, 9, v22
	s_delay_alu instid0(VALU_DEP_2) | instskip(SKIP_1) | instid1(VALU_DEP_1)
	v_mad_co_u64_u32 v[6:7], null, s20, v37, v[0:1]
	v_mov_b32_e32 v0, v9
	v_mad_co_u64_u32 v[9:10], null, s20, v10, v[0:1]
	v_add_co_u32 v0, vcc_lo, s4, v3
	s_delay_alu instid0(VALU_DEP_1) | instskip(SKIP_1) | instid1(VALU_DEP_3)
	v_add_co_ci_u32_e64 v7, null, s5, v4, vcc_lo
	v_lshlrev_b64_e32 v[3:4], 2, v[5:6]
	v_add_co_u32 v0, vcc_lo, v0, v11
	s_wait_alu 0xfffd
	s_delay_alu instid0(VALU_DEP_3) | instskip(SKIP_1) | instid1(VALU_DEP_3)
	v_add_co_ci_u32_e64 v12, null, 0, v7, vcc_lo
	v_lshlrev_b64_e32 v[7:8], 2, v[8:9]
	v_add_co_u32 v10, vcc_lo, v0, v3
	s_wait_alu 0xfffd
	s_delay_alu instid0(VALU_DEP_3)
	v_add_co_ci_u32_e64 v11, null, v12, v4, vcc_lo
	s_load_b32 s4, s[0:1], 0x40
	v_add_co_u32 v18, vcc_lo, v0, v7
	s_wait_alu 0xfffd
	v_add_co_ci_u32_e64 v19, null, v12, v8, vcc_lo
	s_clause 0x3
	global_load_b128 v[3:6], v[10:11], off
	global_load_b128 v[7:10], v[10:11], off offset:512
	global_load_b128 v[11:14], v[18:19], off
	global_load_b128 v[18:21], v[18:19], off offset:512
	v_lshlrev_b32_e32 v0, 10, v1
	s_delay_alu instid0(VALU_DEP_1)
	v_add_nc_u32_e32 v23, v22, v0
	s_wait_loadcnt 0x3
	s_wait_kmcnt 0x0
	v_fma_mixlo_f16 v3, s4, v3, 0
	v_fma_mixlo_f16 v4, s4, v4, 0
	;; [unrolled: 1-line block ×4, first 2 shown]
	s_wait_loadcnt 0x2
	v_fma_mixlo_f16 v7, s4, v7, 0
	v_fma_mixlo_f16 v8, s4, v8, 0
	;; [unrolled: 1-line block ×4, first 2 shown]
	s_wait_loadcnt 0x1
	v_fma_mixlo_f16 v11, s4, v11, 0
	v_fma_mixlo_f16 v12, s4, v12, 0
	s_wait_loadcnt 0x0
	v_fma_mixlo_f16 v18, s4, v18, 0
	v_fma_mixlo_f16 v19, s4, v19, 0
	v_lshlrev_b32_e32 v4, 16, v4
	v_and_b32_e32 v3, 0xffff, v3
	v_lshlrev_b32_e32 v6, 16, v6
	v_and_b32_e32 v5, 0xffff, v5
	;; [unrolled: 2-line block ×3, first 2 shown]
	v_fma_mixlo_f16 v13, s4, v13, 0
	v_fma_mixlo_f16 v14, s4, v14, 0
	;; [unrolled: 1-line block ×4, first 2 shown]
	v_lshlrev_b32_e32 v10, 16, v10
	v_and_b32_e32 v9, 0xffff, v9
	v_lshlrev_b32_e32 v12, 16, v12
	v_and_b32_e32 v11, 0xffff, v11
	;; [unrolled: 2-line block ×3, first 2 shown]
	v_or_b32_e32 v3, v4, v3
	v_or3_b32 v4, v6, v5, 0
	v_or_b32_e32 v5, v8, v7
	v_lshlrev_b32_e32 v14, 16, v14
	v_and_b32_e32 v13, 0xffff, v13
	v_lshlrev_b32_e32 v21, 16, v21
	v_and_b32_e32 v20, 0xffff, v20
	v_or3_b32 v6, v10, v9, 0
	v_or_b32_e32 v7, v12, v11
	v_or_b32_e32 v9, v19, v18
	v_or3_b32 v3, 0, 0, v3
	v_or3_b32 v5, 0, 0, v5
	;; [unrolled: 1-line block ×6, first 2 shown]
	ds_store_2addr_b64 v23, v[3:4], v[5:6] offset1:32
	ds_store_2addr_b64 v15, v[7:8], v[9:10] offset1:32
	s_wait_dscnt 0x0
	s_barrier_signal -1
	s_barrier_wait -1
	global_inv scope:SCOPE_SE
	s_cbranch_scc1 .LBB5_4
; %bb.3:
	s_load_b32 s4, s[0:1], 0xd0
	s_mov_b32 s5, 0
	s_wait_kmcnt 0x0
	s_mul_i32 s4, s4, s28
	s_wait_alu 0xfffe
	s_add_co_i32 s4, s4, ttmp9
	s_wait_alu 0xfffe
	s_lshl_b64 s[4:5], s[4:5], 2
	s_wait_alu 0xfffe
	s_add_nc_u64 s[4:5], s[14:15], s[4:5]
	s_load_b32 s30, s[4:5], 0x0
.LBB5_4:
	s_and_b32 s10, ttmp7, 0xffff
	v_lshlrev_b32_e32 v38, 2, v17
	v_mbcnt_lo_u32_b32 v40, -1, 0
	s_wait_alu 0xfffe
	s_lshl_b32 s14, s10, 5
	s_wait_kmcnt 0x0
	s_cmp_lt_i32 s14, s30
	s_cbranch_scc1 .LBB5_7
; %bb.5:
	v_mbcnt_lo_u32_b32 v3, -1, 0
	v_mov_b32_e32 v41, 32
	s_delay_alu instid0(VALU_DEP_2)
	v_xor_b32_e32 v46, 16, v3
	v_xor_b32_e32 v45, 8, v3
	;; [unrolled: 1-line block ×5, first 2 shown]
	s_mov_b32 s29, 0
	s_cbranch_execz .LBB5_8
; %bb.6:
	v_dual_mov_b32 v12, 0 :: v_dual_mov_b32 v67, 0
	v_dual_mov_b32 v36, 0xfeffffff :: v_dual_mov_b32 v35, 0xfeffffff
	;; [unrolled: 1-line block ×6, first 2 shown]
	s_branch .LBB5_11
.LBB5_7:
                                        ; implicit-def: $vgpr3
                                        ; implicit-def: $vgpr41
                                        ; implicit-def: $vgpr46
                                        ; implicit-def: $vgpr45
                                        ; implicit-def: $vgpr44
                                        ; implicit-def: $vgpr43
                                        ; implicit-def: $vgpr42
	s_mov_b32 s29, 0
.LBB5_8:
	s_clause 0x1
	s_load_b128 s[24:27], s[0:1], 0x98
	s_load_b64 s[4:5], s[0:1], 0x8c
	s_mul_f32 s2, s2, 0x4f7ffffe
	s_load_b64 s[40:41], s[0:1], 0xa8
	s_mov_b32 s21, s3
	v_add_nc_u32_e32 v53, 0x4200, v0
	s_cvt_u32_f32 s11, s2
	s_sub_co_i32 s2, 0, s31
	v_dual_mov_b32 v68, 0 :: v_dual_lshlrev_b32 v47, 2, v38
	s_wait_alu 0xfffe
	s_mul_i32 s15, s2, s11
	s_abs_i32 s2, s33
	s_mul_hi_u32 s15, s11, s15
	v_mad_u32_u24 v48, 0x210, v1, v47
	s_add_co_i32 s20, s11, s15
	s_ashr_i32 s11, s33, 31
	s_wait_alu 0xfffe
	s_mul_u64 s[20:21], s[2:3], s[20:21]
	s_ashr_i32 s3, s38, 31
	s_ashr_i32 s15, s37, 1
	s_wait_alu 0xfffe
	s_xor_b32 s11, s11, s3
	s_mul_i32 s3, s21, s31
	s_wait_kmcnt 0x0
	s_ashr_i32 s20, s26, 2
	s_ashr_i32 s26, s4, 2
	s_wait_alu 0xfffe
	s_sub_co_i32 s4, s2, s3
	s_add_co_i32 s36, s21, 1
	s_wait_alu 0xfffe
	s_sub_co_i32 s37, s4, s31
	s_cmp_ge_u32 s4, s31
	s_mul_u64 s[2:3], s[24:25], s[28:29]
	s_cselect_b32 s21, s36, s21
	s_cselect_b32 s4, s37, s4
	s_mul_u64 s[24:25], s[40:41], s[28:29]
	s_wait_alu 0xfffe
	s_add_co_i32 s29, s21, 1
	s_cmp_ge_u32 s4, s31
	v_mul_lo_u32 v3, s26, v1
	s_cselect_b32 s4, s29, s21
	s_add_nc_u64 s[2:3], s[6:7], s[2:3]
	s_wait_alu 0xfffe
	s_xor_b32 s4, s4, s11
	s_add_nc_u64 s[6:7], s[8:9], s[24:25]
	s_wait_alu 0xfffe
	s_sub_co_i32 s8, s4, s11
	v_mul_lo_u32 v11, s20, v1
	s_lshl_b32 s11, s26, 3
	s_mul_i32 s4, s8, s5
	s_wait_alu 0xfffe
	v_dual_mov_b32 v8, 0 :: v_dual_add_nc_u32 v5, s11, v3
	s_ashr_i32 s5, s4, 31
	v_mov_b32_e32 v36, 0xfeffffff
	s_wait_alu 0xfffe
	s_add_nc_u64 s[24:25], s[2:3], s[4:5]
	s_lshl_b32 s2, s20, 3
	v_add_nc_u32_e32 v9, s11, v5
	s_wait_alu 0xfffe
	v_add_nc_u32_e32 v29, s2, v11
	v_ashrrev_i32_e32 v12, 31, v11
	v_mov_b32_e32 v35, 0xfeffffff
	v_ashrrev_i32_e32 v4, 31, v3
	v_ashrrev_i32_e32 v10, 31, v9
	v_add_nc_u32_e32 v0, s2, v29
	v_ashrrev_i32_e32 v6, 31, v5
	v_lshl_add_u32 v54, v1, 9, v47
	v_lshl_add_u32 v55, v1, 7, 0x6200
	v_lshlrev_b64_e32 v[23:24], 2, v[9:10]
	v_dual_mov_b32 v10, 0 :: v_dual_add_nc_u32 v33, s2, v0
	v_add_nc_u32_e32 v13, s11, v9
	v_ashrrev_i32_e32 v30, 31, v29
	v_ashrrev_i32_e32 v1, 31, v0
	s_delay_alu instid0(VALU_DEP_4)
	v_ashrrev_i32_e32 v34, 31, v33
	v_lshlrev_b64_e32 v[27:28], 2, v[11:12]
	v_mov_b32_e32 v12, 0
	v_ashrrev_i32_e32 v14, 31, v13
	v_mad_co_u64_u32 v[18:19], null, v2, s15, v[17:18]
	s_mul_i32 s8, s8, s27
	v_lshlrev_b64_e32 v[19:20], 2, v[3:4]
	v_lshlrev_b64_e32 v[21:22], 2, v[5:6]
	;; [unrolled: 1-line block ×6, first 2 shown]
	v_dual_mov_b32 v14, 0 :: v_dual_add_nc_u32 v49, 0x1080, v48
	v_dual_mov_b32 v41, 32 :: v_dual_add_nc_u32 v50, 0x2100, v48
	v_add_nc_u32_e32 v51, 0x3180, v48
	v_mul_u32_u24_e32 v52, 0x210, v17
	v_dual_mov_b32 v11, 0 :: v_dual_add_nc_u32 v56, 0x1000, v54
	v_add_nc_u32_e32 v57, 0x2000, v54
	v_dual_mov_b32 v9, 0 :: v_dual_add_nc_u32 v58, 0x3000, v54
	v_xor_b32_e32 v46, 16, v40
	v_xor_b32_e32 v45, 8, v40
	;; [unrolled: 1-line block ×5, first 2 shown]
	v_add_nc_u32_e32 v59, v55, v38
	v_dual_mov_b32 v13, 0 :: v_dual_add_nc_u32 v60, 0x800, v39
	v_add_nc_u32_e32 v61, 0x1000, v39
	v_dual_mov_b32 v15, 0 :: v_dual_add_nc_u32 v62, 0x1800, v39
	;; [unrolled: 2-line block ×3, first 2 shown]
	v_add_nc_u32_e32 v65, 0x3000, v39
	v_add_nc_u32_e32 v66, 0x3800, v39
	s_ashr_i32 s9, s8, 31
	s_ashr_i32 s27, s26, 31
	s_add_nc_u64 s[36:37], s[6:7], s[8:9]
	s_ashr_i32 s21, s20, 31
	s_add_nc_u64 s[38:39], s[0:1], 0xd0
.LBB5_9:                                ; =>This Inner Loop Header: Depth=1
	v_cmp_gt_i32_e32 vcc_lo, 32, v46
	v_cmp_gt_i32_e64 s2, 32, v45
	v_cmp_gt_i32_e64 s3, 32, v44
	s_ashr_i32 s15, s14, 31
	v_cmp_gt_i32_e64 s4, 32, v43
	v_cmp_gt_i32_e64 s5, 32, v42
	s_wait_alu 0xfffe
	s_mul_u64 s[6:7], s[14:15], s[26:27]
	v_dual_mov_b32 v0, v68 :: v_dual_mov_b32 v1, v36
	v_dual_mov_b32 v2, v35 :: v_dual_mov_b32 v3, 0
	s_wait_alu 0xfffd
	v_dual_cndmask_b32 v35, v40, v46 :: v_dual_mov_b32 v4, 0
	v_mov_b32_e32 v5, v67
	s_mul_u64 s[8:9], s[14:15], s[20:21]
	v_cndmask_b32_e64 v36, v40, v45, s2
	v_cndmask_b32_e64 v67, v40, v44, s3
	s_wait_alu 0xfffe
	s_lshl_b64 s[2:3], s[6:7], 2
	v_cndmask_b32_e64 v68, v40, v43, s4
	v_cndmask_b32_e64 v69, v40, v42, s5
	s_lshl_b64 s[4:5], s[8:9], 2
	s_wait_alu 0xfffe
	s_add_nc_u64 s[8:9], s[24:25], s[2:3]
	v_dual_max_num_f32 v92, v1, v1 :: v_dual_lshlrev_b32 v93, 2, v35
	s_wait_alu 0xfffe
	v_add_co_u32 v35, vcc_lo, s8, v19
	v_dual_max_num_f32 v91, v2, v2 :: v_dual_lshlrev_b32 v94, 2, v36
	s_add_nc_u64 s[40:41], s[36:37], s[4:5]
	v_add_co_u32 v36, s2, s8, v21
	v_lshlrev_b32_e32 v95, 2, v67
	v_add_co_u32 v67, s3, s8, v23
	s_wait_alu 0xfffd
	v_add_co_ci_u32_e64 v74, null, s9, v20, vcc_lo
	v_lshlrev_b32_e32 v96, 2, v68
	v_add_co_u32 v68, s4, s8, v25
	s_wait_alu 0xfffe
	v_add_co_u32 v72, s7, s40, v31
	s_wait_alu 0xf1ff
	v_add_co_ci_u32_e64 v76, null, s9, v22, s2
	v_add_co_ci_u32_e64 v77, null, s9, v24, s3
	v_lshlrev_b32_e32 v97, 2, v69
	v_add_co_u32 v69, s5, s40, v27
	v_add_co_u32 v70, s6, s40, v29
	v_add_co_ci_u32_e64 v78, null, s9, v26, s4
	v_add_co_u32 v35, vcc_lo, v35, v47
	v_add_co_u32 v73, s8, s40, v33
	v_add_co_u32 v71, s2, v36, v47
	s_wait_alu 0xf1ff
	v_add_co_ci_u32_e64 v81, null, s41, v28, s5
	v_add_co_ci_u32_e64 v82, null, s41, v30, s6
	v_add_co_u32 v75, s3, v67, v47
	s_wait_alu 0xfffd
	v_add_co_ci_u32_e64 v36, null, 0, v74, vcc_lo
	v_add_co_ci_u32_e64 v90, null, s41, v34, s8
	v_add_co_u32 v79, s4, v68, v47
	v_add_co_u32 v87, s8, v72, v47
	v_add_co_ci_u32_e64 v72, null, 0, v76, s2
	s_wait_alu 0xf1ff
	v_add_co_ci_u32_e64 v76, null, 0, v77, s3
	v_add_co_ci_u32_e64 v88, null, s41, v32, s7
	v_add_co_u32 v83, s6, v69, v47
	v_add_co_u32 v85, s7, v70, v47
	v_add_co_ci_u32_e64 v80, null, 0, v78, s4
	v_add_co_u32 v89, s9, v73, v47
	s_wait_alu 0xf1ff
	v_add_co_ci_u32_e64 v84, null, 0, v81, s6
	v_add_co_ci_u32_e64 v86, null, 0, v82, s7
	s_clause 0x3
	global_load_b128 v[67:70], v[35:36], off
	global_load_b128 v[71:74], v[71:72], off
	;; [unrolled: 1-line block ×4, first 2 shown]
	v_add_nc_u32_e32 v6, s14, v18
	v_add_co_ci_u32_e64 v88, null, 0, v88, s8
	v_add_co_ci_u32_e64 v90, null, 0, v90, s9
	s_delay_alu instid0(VALU_DEP_3)
	v_ashrrev_i32_e32 v7, 31, v6
	s_wait_loadcnt 0x3
	ds_store_b128 v48, v[67:70]
	s_wait_loadcnt 0x2
	ds_store_b128 v49, v[71:74]
	s_wait_loadcnt 0x1
	ds_store_b128 v50, v[75:78]
	s_wait_loadcnt 0x0
	ds_store_b128 v51, v[79:82]
	s_wait_dscnt 0x0
	s_barrier_signal -1
	s_barrier_wait -1
	global_inv scope:SCOPE_SE
	ds_load_b128 v[67:70], v52
	ds_load_b128 v[71:74], v53
	ds_load_b128 v[75:78], v53 offset:512
	s_wait_dscnt 0x1
	;;#ASMSTART
	v_dot2_f32_f16 v3, v67, v71, v3
	;;#ASMEND
	;;#ASMSTART
	v_dot2_f32_f16 v3, v68, v72, v3
	;;#ASMEND
	;;#ASMSTART
	v_dot2_f32_f16 v3, v69, v73, v3
	;;#ASMEND
	;;#ASMSTART
	v_dot2_f32_f16 v3, v70, v74, v3
	;;#ASMEND
	s_wait_dscnt 0x0
	;;#ASMSTART
	v_dot2_f32_f16 v4, v67, v75, v4
	;;#ASMEND
	;;#ASMSTART
	v_dot2_f32_f16 v4, v68, v76, v4
	;;#ASMEND
	;;#ASMSTART
	v_dot2_f32_f16 v4, v69, v77, v4
	;;#ASMEND
	;;#ASMSTART
	v_dot2_f32_f16 v4, v70, v78, v4
	;;#ASMEND
	ds_load_b128 v[67:70], v52 offset:16
	ds_load_b128 v[71:74], v53 offset:16
	ds_load_b128 v[75:78], v53 offset:528
	s_wait_dscnt 0x1
	;;#ASMSTART
	v_dot2_f32_f16 v3, v67, v71, v3
	;;#ASMEND
	;;#ASMSTART
	v_dot2_f32_f16 v3, v68, v72, v3
	;;#ASMEND
	;;#ASMSTART
	v_dot2_f32_f16 v3, v69, v73, v3
	;;#ASMEND
	;;#ASMSTART
	v_dot2_f32_f16 v3, v70, v74, v3
	;;#ASMEND
	s_wait_dscnt 0x0
	;;#ASMSTART
	v_dot2_f32_f16 v4, v67, v75, v4
	;;#ASMEND
	;;#ASMSTART
	v_dot2_f32_f16 v4, v68, v76, v4
	;;#ASMEND
	;;#ASMSTART
	v_dot2_f32_f16 v4, v69, v77, v4
	;;#ASMEND
	;;#ASMSTART
	v_dot2_f32_f16 v4, v70, v78, v4
	;;#ASMEND
	ds_load_b128 v[67:70], v52 offset:32
	ds_load_b128 v[71:74], v53 offset:32
	;; [unrolled: 29-line block ×31, first 2 shown]
	ds_load_b128 v[75:78], v53 offset:1008
	v_lshlrev_b64_e32 v[6:7], 1, v[6:7]
	s_wait_dscnt 0x1
	;;#ASMSTART
	v_dot2_f32_f16 v3, v67, v71, v3
	;;#ASMEND
	s_delay_alu instid0(VALU_DEP_1) | instskip(SKIP_1) | instid1(VALU_DEP_2)
	v_add_co_u32 v6, s5, s34, v6
	s_wait_alu 0xf1ff
	v_add_co_ci_u32_e64 v7, null, s35, v7, s5
	;;#ASMSTART
	v_dot2_f32_f16 v3, v68, v72, v3
	;;#ASMEND
	;;#ASMSTART
	v_dot2_f32_f16 v3, v69, v73, v3
	;;#ASMEND
	;; [unrolled: 3-line block ×3, first 2 shown]
	s_wait_dscnt 0x0
	;;#ASMSTART
	v_dot2_f32_f16 v4, v67, v75, v4
	;;#ASMEND
	;;#ASMSTART
	v_dot2_f32_f16 v4, v68, v76, v4
	;;#ASMEND
	;; [unrolled: 3-line block ×4, first 2 shown]
	global_load_u16 v6, v[6:7], off
	s_wait_loadcnt 0x0
	s_barrier_signal -1
	s_barrier_wait -1
	global_inv scope:SCOPE_SE
	s_clause 0x3
	global_load_b128 v[69:72], v[83:84], off
	global_load_b128 v[73:76], v[85:86], off
	;; [unrolled: 1-line block ×4, first 2 shown]
	v_cvt_f32_f16_e32 v6, v6
	s_delay_alu instid0(VALU_DEP_1) | instskip(SKIP_1) | instid1(VALU_DEP_1)
	v_add_f32_e32 v3, v3, v6
	v_add_f32_e32 v4, v4, v6
	v_dual_add_f32 v6, 0x40051340, v3 :: v_dual_add_f32 v7, 0x40051340, v4
	s_delay_alu instid0(VALU_DEP_1) | instskip(SKIP_3) | instid1(VALU_DEP_1)
	v_max_num_f32_e32 v6, v91, v6
	ds_bpermute_b32 v35, v93, v6
	s_wait_dscnt 0x0
	v_max_num_f32_e32 v35, v35, v35
	v_max_num_f32_e32 v6, v6, v35
	ds_bpermute_b32 v35, v94, v6
	s_wait_dscnt 0x0
	v_max_num_f32_e32 v35, v35, v35
	s_delay_alu instid0(VALU_DEP_1) | instskip(SKIP_3) | instid1(VALU_DEP_1)
	v_max_num_f32_e32 v6, v6, v35
	ds_bpermute_b32 v35, v95, v6
	s_wait_dscnt 0x0
	v_max_num_f32_e32 v35, v35, v35
	v_max_num_f32_e32 v6, v6, v35
	ds_bpermute_b32 v35, v96, v6
	s_wait_dscnt 0x0
	v_max_num_f32_e32 v35, v35, v35
	s_delay_alu instid0(VALU_DEP_1) | instskip(SKIP_3) | instid1(VALU_DEP_1)
	v_max_num_f32_e32 v6, v6, v35
	ds_bpermute_b32 v35, v97, v6
	s_wait_dscnt 0x0
	v_max_num_f32_e32 v35, v35, v35
	v_max_num_f32_e32 v35, v6, v35
	s_delay_alu instid0(VALU_DEP_1) | instskip(NEXT) | instid1(VALU_DEP_1)
	v_sub_f32_e32 v2, v2, v35
	v_dual_max_num_f32 v7, v92, v7 :: v_dual_mul_f32 v6, 0x3fb8aa3b, v2
	ds_bpermute_b32 v36, v93, v7
	v_rndne_f32_e32 v86, v6
	s_wait_dscnt 0x0
	v_max_num_f32_e32 v36, v36, v36
	s_delay_alu instid0(VALU_DEP_1) | instskip(SKIP_3) | instid1(VALU_DEP_1)
	v_max_num_f32_e32 v7, v7, v36
	ds_bpermute_b32 v36, v94, v7
	s_wait_dscnt 0x0
	v_max_num_f32_e32 v36, v36, v36
	v_max_num_f32_e32 v7, v7, v36
	ds_bpermute_b32 v36, v95, v7
	s_wait_dscnt 0x0
	v_max_num_f32_e32 v36, v36, v36
	s_delay_alu instid0(VALU_DEP_1) | instskip(SKIP_3) | instid1(VALU_DEP_1)
	v_max_num_f32_e32 v7, v7, v36
	ds_bpermute_b32 v36, v96, v7
	s_wait_dscnt 0x0
	v_max_num_f32_e32 v36, v36, v36
	v_max_num_f32_e32 v7, v7, v36
	ds_bpermute_b32 v36, v97, v7
	s_wait_dscnt 0x0
	v_max_num_f32_e32 v36, v36, v36
	s_delay_alu instid0(VALU_DEP_1) | instskip(NEXT) | instid1(VALU_DEP_1)
	v_max_num_f32_e32 v36, v7, v36
	v_dual_sub_f32 v3, v3, v35 :: v_dual_sub_f32 v4, v4, v36
	s_delay_alu instid0(VALU_DEP_1)
	v_mul_f32_e32 v7, 0x3fb8aa3b, v3
	v_sub_f32_e32 v1, v1, v36
	v_fma_f32 v85, 0x3fb8aa3b, v2, -v6
	v_cmp_ngt_f32_e32 vcc_lo, 0xc2ce8ed0, v3
	v_mul_f32_e32 v68, 0x3fb8aa3b, v4
	v_fma_f32 v87, 0x3fb8aa3b, v3, -v7
	v_rndne_f32_e32 v88, v7
	v_mul_f32_e32 v67, 0x3fb8aa3b, v1
	v_cmp_ngt_f32_e64 s3, 0xc2ce8ed0, v4
	v_fma_f32 v91, 0x3fb8aa3b, v4, -v68
	v_rndne_f32_e32 v92, v68
	v_cmp_ngt_f32_e64 s4, 0xc2ce8ed0, v2
	v_cmp_nlt_f32_e64 s5, 0x42b17218, v2
	v_cmp_nlt_f32_e64 s7, 0x42b17218, v4
	;; [unrolled: 1-line block ×3, first 2 shown]
	v_fmac_f32_e32 v85, 0x32a5705f, v2
	v_dual_sub_f32 v2, v6, v86 :: v_dual_fmac_f32 v91, 0x32a5705f, v4
	v_dual_sub_f32 v4, v68, v92 :: v_dual_fmac_f32 v87, 0x32a5705f, v3
	s_delay_alu instid0(VALU_DEP_2) | instskip(SKIP_1) | instid1(VALU_DEP_3)
	v_dual_sub_f32 v3, v7, v88 :: v_dual_add_f32 v2, v2, v85
	v_cvt_i32_f32_e32 v6, v86
	v_add_f32_e32 v4, v4, v91
	v_cvt_i32_f32_e32 v7, v88
	s_delay_alu instid0(VALU_DEP_4)
	v_add_f32_e32 v3, v3, v87
	v_exp_f32_e32 v2, v2
	v_fma_f32 v89, 0x3fb8aa3b, v1, -v67
	v_exp_f32_e32 v4, v4
	v_rndne_f32_e32 v90, v67
	v_exp_f32_e32 v3, v3
	v_cvt_i32_f32_e32 v68, v92
	v_cmp_ngt_f32_e64 s2, 0xc2ce8ed0, v1
	v_cmp_nlt_f32_e64 s6, 0x42b17218, v1
	s_delay_alu instid0(TRANS32_DEP_3)
	v_ldexp_f32 v2, v2, v6
	s_delay_alu instid0(TRANS32_DEP_2) | instid1(VALU_DEP_4)
	v_ldexp_f32 v4, v4, v68
	s_delay_alu instid0(TRANS32_DEP_1) | instskip(SKIP_1) | instid1(VALU_DEP_3)
	v_ldexp_f32 v3, v3, v7
	s_wait_alu 0xf1ff
	v_cndmask_b32_e64 v2, 0, v2, s4
	s_delay_alu instid0(VALU_DEP_3) | instskip(SKIP_2) | instid1(VALU_DEP_3)
	v_cndmask_b32_e64 v4, 0, v4, s3
	s_wait_alu 0xfffd
	v_cndmask_b32_e32 v3, 0, v3, vcc_lo
	v_cndmask_b32_e64 v2, 0x7f800000, v2, s5
	s_delay_alu instid0(VALU_DEP_2) | instskip(SKIP_3) | instid1(VALU_DEP_4)
	v_cndmask_b32_e64 v68, 0x7f800000, v3, s8
	v_fmac_f32_e32 v89, 0x32a5705f, v1
	v_sub_f32_e32 v1, v67, v90
	v_cvt_i32_f32_e32 v67, v90
	v_cvt_f16_f32_e32 v3, v68
	s_delay_alu instid0(VALU_DEP_3) | instskip(NEXT) | instid1(VALU_DEP_1)
	v_dual_fmac_f32 v68, v0, v2 :: v_dual_add_f32 v1, v1, v89
	v_exp_f32_e32 v1, v1
	s_delay_alu instid0(TRANS32_DEP_1) | instskip(SKIP_2) | instid1(VALU_DEP_3)
	v_ldexp_f32 v1, v1, v67
	v_cndmask_b32_e64 v67, 0x7f800000, v4, s7
	v_cvt_f16_f32_e32 v4, v2
	v_cndmask_b32_e64 v1, 0, v1, s2
	s_delay_alu instid0(VALU_DEP_3) | instskip(NEXT) | instid1(VALU_DEP_3)
	v_cvt_f16_f32_e32 v7, v67
	v_and_b32_e32 v0, 0xffff, v4
	s_delay_alu instid0(VALU_DEP_3) | instskip(NEXT) | instid1(VALU_DEP_3)
	v_cndmask_b32_e64 v1, 0x7f800000, v1, s6
	v_pack_b32_f16 v3, v3, v7
	s_delay_alu instid0(VALU_DEP_3)
	v_mul_u32_u24_e32 v133, 0x10001, v0
	ds_store_b32 v59, v3
	s_wait_loadcnt 0x3
	ds_store_b128 v54, v[69:72]
	s_wait_loadcnt 0x2
	ds_store_b128 v56, v[73:76]
	;; [unrolled: 2-line block ×4, first 2 shown]
	v_cvt_f16_f32_e32 v6, v1
	v_fmac_f32_e32 v67, v5, v1
	s_wait_dscnt 0x0
	s_barrier_signal -1
	s_barrier_wait -1
	v_and_b32_e32 v2, 0xffff, v6
	global_inv scope:SCOPE_SE
	v_pk_mul_f16 v15, v15, v133
	v_pk_mul_f16 v13, v13, v133
	;; [unrolled: 1-line block ×3, first 2 shown]
	v_mul_u32_u24_e32 v134, 0x10001, v2
	ds_load_2addr_b64 v[69:72], v39 offset1:32
	ds_load_b128 v[73:76], v55
	ds_load_b128 v[77:80], v55 offset:16
	ds_load_b128 v[4:7], v55 offset:32
	;; [unrolled: 1-line block ×3, first 2 shown]
	ds_load_2addr_b64 v[81:84], v39 offset0:64 offset1:96
	ds_load_2addr_b64 v[85:88], v39 offset0:128 offset1:160
	ds_load_2addr_b64 v[89:92], v39 offset0:192 offset1:224
	ds_load_2addr_b64 v[93:96], v60 offset1:32
	ds_load_2addr_b64 v[97:100], v60 offset0:64 offset1:96
	ds_load_2addr_b64 v[101:104], v60 offset0:128 offset1:160
	ds_load_2addr_b64 v[105:108], v60 offset0:192 offset1:224
	ds_load_2addr_b64 v[109:112], v61 offset1:32
	;; [unrolled: 4-line block ×3, first 2 shown]
	ds_load_2addr_b64 v[129:132], v62 offset0:64 offset1:96
	s_wait_dscnt 0x10
	v_and_b32_e32 v135, 0xffff, v73
	v_lshrrev_b32_e32 v73, 16, v73
	v_pk_mul_f16 v11, v11, v134
	v_pk_mul_f16 v10, v10, v134
	;; [unrolled: 1-line block ×3, first 2 shown]
	v_mul_u32_u24_e32 v135, 0x10001, v135
	v_mul_u32_u24_e32 v73, 0x10001, v73
	v_and_b32_e32 v136, 0xffff, v76
	s_wait_dscnt 0xf
	v_and_b32_e32 v137, 0xffff, v80
	v_pk_fma_f16 v15, v70, v135, v15
	v_pk_fma_f16 v13, v71, v135, v13
	;; [unrolled: 1-line block ×3, first 2 shown]
	v_pk_mul_f16 v135, v69, v135
	v_pk_fma_f16 v11, v70, v73, v11
	v_pk_fma_f16 v10, v71, v73, v10
	;; [unrolled: 1-line block ×3, first 2 shown]
	v_pk_mul_f16 v73, v69, v73
	v_pk_fma_f16 v12, v12, v133, v135
	v_and_b32_e32 v133, 0xffff, v74
	v_lshrrev_b32_e32 v74, 16, v74
	v_lshrrev_b32_e32 v135, 16, v76
	v_pk_fma_f16 v9, v9, v134, v73
	v_lshrrev_b32_e32 v134, 16, v75
	v_mul_u32_u24_e32 v133, 0x10001, v133
	v_mul_u32_u24_e32 v74, 0x10001, v74
	ds_load_2addr_b64 v[69:72], v62 offset0:128 offset1:160
	v_mul_u32_u24_e32 v134, 0x10001, v134
	s_wait_dscnt 0xd
	v_pk_fma_f16 v15, v82, v133, v15
	v_pk_fma_f16 v13, v83, v133, v13
	;; [unrolled: 1-line block ×4, first 2 shown]
	v_and_b32_e32 v133, 0xffff, v75
	v_pk_fma_f16 v11, v82, v74, v11
	v_pk_fma_f16 v10, v83, v74, v10
	;; [unrolled: 1-line block ×4, first 2 shown]
	v_mul_u32_u24_e32 v133, 0x10001, v133
	s_wait_dscnt 0xc
	v_pk_fma_f16 v11, v86, v134, v11
	v_pk_fma_f16 v10, v87, v134, v10
	;; [unrolled: 1-line block ×8, first 2 shown]
	v_mul_u32_u24_e32 v133, 0x10001, v136
	v_mul_u32_u24_e32 v134, 0x10001, v135
	v_lshrrev_b32_e32 v136, 16, v80
	ds_load_b128 v[85:88], v55 offset:64
	ds_load_2addr_b64 v[81:84], v62 offset0:192 offset1:224
	s_wait_dscnt 0xd
	v_pk_fma_f16 v15, v90, v133, v15
	v_pk_fma_f16 v13, v91, v133, v13
	;; [unrolled: 1-line block ×4, first 2 shown]
	v_and_b32_e32 v133, 0xffff, v77
	v_lshrrev_b32_e32 v77, 16, v77
	v_pk_fma_f16 v11, v90, v134, v11
	v_pk_fma_f16 v10, v91, v134, v10
	;; [unrolled: 1-line block ×4, first 2 shown]
	v_mul_u32_u24_e32 v77, 0x10001, v77
	v_mul_u32_u24_e32 v133, 0x10001, v133
	ds_load_2addr_b64 v[73:76], v63 offset1:32
	ds_load_2addr_b64 v[89:92], v63 offset0:64 offset1:96
	s_wait_dscnt 0xe
	v_pk_fma_f16 v11, v94, v77, v11
	v_pk_fma_f16 v10, v95, v77, v10
	;; [unrolled: 1-line block ×4, first 2 shown]
	v_and_b32_e32 v77, 0xffff, v78
	v_lshrrev_b32_e32 v78, 16, v78
	v_pk_fma_f16 v134, v94, v133, v15
	v_pk_fma_f16 v94, v95, v133, v13
	v_pk_fma_f16 v95, v96, v133, v14
	v_pk_fma_f16 v96, v93, v133, v12
	v_mul_u32_u24_e32 v77, 0x10001, v77
	v_mul_u32_u24_e32 v78, 0x10001, v78
	ds_load_2addr_b64 v[12:15], v63 offset0:128 offset1:160
	s_wait_dscnt 0xe
	v_pk_fma_f16 v133, v98, v77, v134
	v_pk_fma_f16 v98, v98, v78, v11
	;; [unrolled: 1-line block ×8, first 2 shown]
	v_and_b32_e32 v97, 0xffff, v79
	v_lshrrev_b32_e32 v79, 16, v79
	ds_load_2addr_b64 v[93:96], v63 offset0:192 offset1:224
	ds_load_2addr_b64 v[8:11], v64 offset1:32
	v_mul_u32_u24_e32 v80, 0x10001, v97
	v_mul_u32_u24_e32 v79, 0x10001, v79
	s_wait_dscnt 0xf
	s_delay_alu instid0(VALU_DEP_2)
	v_pk_fma_f16 v97, v102, v80, v133
	v_pk_fma_f16 v133, v103, v80, v134
	;; [unrolled: 1-line block ×6, first 2 shown]
	v_mul_u32_u24_e32 v103, 0x10001, v137
	v_pk_fma_f16 v100, v104, v79, v100
	v_pk_fma_f16 v101, v101, v79, v78
	v_mul_u32_u24_e32 v104, 0x10001, v136
	v_and_b32_e32 v136, 0xffff, v7
	s_wait_dscnt 0xe
	v_pk_fma_f16 v135, v106, v103, v97
	v_pk_fma_f16 v133, v107, v103, v133
	;; [unrolled: 1-line block ×4, first 2 shown]
	v_and_b32_e32 v103, 0xffff, v4
	v_lshrrev_b32_e32 v4, 16, v4
	v_pk_fma_f16 v106, v106, v104, v98
	v_pk_fma_f16 v107, v107, v104, v99
	;; [unrolled: 1-line block ×4, first 2 shown]
	v_mul_u32_u24_e32 v103, 0x10001, v103
	v_mul_u32_u24_e32 v4, 0x10001, v4
	ds_load_b128 v[77:80], v55 offset:80
	ds_load_2addr_b64 v[97:100], v64 offset0:64 offset1:96
	s_wait_dscnt 0xf
	v_pk_fma_f16 v105, v110, v103, v135
	v_pk_fma_f16 v106, v110, v4, v106
	;; [unrolled: 1-line block ×6, first 2 shown]
	v_and_b32_e32 v109, 0xffff, v5
	v_lshrrev_b32_e32 v5, 16, v5
	v_pk_fma_f16 v133, v111, v103, v133
	v_pk_fma_f16 v134, v112, v103, v134
	v_lshrrev_b32_e32 v135, 16, v7
	v_mul_u32_u24_e32 v109, 0x10001, v109
	v_mul_u32_u24_e32 v5, 0x10001, v5
	ds_load_2addr_b64 v[101:104], v64 offset0:128 offset1:160
	s_wait_dscnt 0xf
	v_pk_fma_f16 v111, v114, v109, v105
	v_pk_fma_f16 v112, v115, v109, v133
	;; [unrolled: 1-line block ×5, first 2 shown]
	v_and_b32_e32 v113, 0xffff, v6
	v_lshrrev_b32_e32 v134, 16, v6
	v_pk_fma_f16 v114, v114, v5, v106
	v_pk_fma_f16 v115, v115, v5, v107
	;; [unrolled: 1-line block ×3, first 2 shown]
	v_mul_u32_u24_e32 v113, 0x10001, v113
	v_mul_u32_u24_e32 v134, 0x10001, v134
	ds_load_2addr_b64 v[105:108], v64 offset0:192 offset1:224
	ds_load_2addr_b64 v[4:7], v65 offset1:32
	s_wait_dscnt 0x10
	v_pk_fma_f16 v137, v118, v113, v111
	v_pk_fma_f16 v138, v119, v113, v112
	;; [unrolled: 1-line block ×6, first 2 shown]
	v_lshrrev_b32_e32 v118, 16, v0
	v_and_b32_e32 v119, 0xffff, v0
	v_mul_u32_u24_e32 v0, 0x10001, v136
	v_pk_fma_f16 v116, v120, v134, v116
	v_pk_fma_f16 v117, v117, v134, v110
	v_mul_u32_u24_e32 v118, 0x10001, v118
	v_mul_u32_u24_e32 v119, 0x10001, v119
	s_wait_dscnt 0xf
	v_pk_fma_f16 v120, v122, v0, v137
	v_pk_fma_f16 v134, v123, v0, v138
	;; [unrolled: 1-line block ×4, first 2 shown]
	v_mul_u32_u24_e32 v0, 0x10001, v135
	v_lshrrev_b32_e32 v136, 16, v1
	s_wait_dscnt 0xe
	v_pk_fma_f16 v120, v126, v119, v120
	v_pk_fma_f16 v134, v127, v119, v134
	;; [unrolled: 1-line block ×7, first 2 shown]
	v_and_b32_e32 v121, 0xffff, v1
	v_pk_fma_f16 v126, v126, v118, v114
	v_pk_fma_f16 v127, v127, v118, v115
	;; [unrolled: 1-line block ×5, first 2 shown]
	s_wait_dscnt 0xb
	v_lshrrev_b32_e32 v118, 16, v85
	v_and_b32_e32 v125, 0xffff, v85
	v_mul_u32_u24_e32 v85, 0x10001, v121
	v_lshrrev_b32_e32 v122, 16, v2
	v_and_b32_e32 v123, 0xffff, v2
	v_and_b32_e32 v135, 0xffff, v3
	v_lshrrev_b32_e32 v124, 16, v3
	v_pk_fma_f16 v120, v130, v85, v120
	v_pk_fma_f16 v121, v131, v85, v134
	;; [unrolled: 1-line block ×4, first 2 shown]
	v_mul_u32_u24_e32 v85, 0x10001, v136
	v_mul_u32_u24_e32 v123, 0x10001, v123
	;; [unrolled: 1-line block ×4, first 2 shown]
	v_lshrrev_b32_e32 v134, 16, v86
	v_pk_fma_f16 v126, v130, v85, v126
	v_pk_fma_f16 v127, v131, v85, v127
	;; [unrolled: 1-line block ×12, first 2 shown]
	s_wait_dscnt 0x4
	v_lshrrev_b32_e32 v122, 16, v77
	v_and_b32_e32 v123, 0xffff, v77
	v_mul_u32_u24_e32 v77, 0x10001, v135
	v_and_b32_e32 v129, 0xffff, v86
	v_mul_u32_u24_e32 v118, 0x10001, v118
	v_lshrrev_b32_e32 v130, 16, v87
	v_and_b32_e32 v131, 0xffff, v87
	v_pk_fma_f16 v120, v82, v77, v120
	v_pk_fma_f16 v121, v83, v77, v121
	;; [unrolled: 1-line block ×4, first 2 shown]
	v_mul_u32_u24_e32 v77, 0x10001, v124
	v_pk_fma_f16 v120, v74, v125, v120
	v_pk_fma_f16 v121, v75, v125, v121
	v_pk_fma_f16 v133, v76, v125, v133
	v_pk_fma_f16 v119, v73, v125, v119
	v_pk_fma_f16 v82, v82, v77, v126
	v_pk_fma_f16 v83, v83, v77, v127
	v_pk_fma_f16 v84, v84, v77, v128
	v_pk_fma_f16 v81, v81, v77, v117
	v_mul_u32_u24_e32 v125, 0x10001, v129
	v_pk_fma_f16 v82, v74, v118, v82
	v_pk_fma_f16 v83, v75, v118, v83
	;; [unrolled: 1-line block ×5, first 2 shown]
	v_mul_u32_u24_e32 v133, 0x10001, v134
	v_lshrrev_b32_e32 v132, 16, v88
	v_and_b32_e32 v136, 0xffff, v88
	v_pk_fma_f16 v120, v90, v125, v120
	v_pk_fma_f16 v121, v91, v125, v121
	;; [unrolled: 1-line block ×7, first 2 shown]
	v_mul_u32_u24_e32 v131, 0x10001, v131
	v_mul_u32_u24_e32 v130, 0x10001, v130
	ds_load_b128 v[109:112], v55 offset:96
	v_mul_u32_u24_e32 v132, 0x10001, v132
	v_lshrrev_b32_e32 v135, 16, v78
	v_pk_fma_f16 v120, v13, v131, v120
	v_pk_fma_f16 v121, v14, v131, v121
	;; [unrolled: 1-line block ×8, first 2 shown]
	v_mul_u32_u24_e32 v131, 0x10001, v136
	v_and_b32_e32 v117, 0xffff, v78
	v_pk_fma_f16 v13, v94, v132, v13
	v_pk_fma_f16 v14, v95, v132, v14
	v_pk_fma_f16 v15, v96, v132, v15
	v_pk_fma_f16 v120, v94, v131, v120
	v_pk_fma_f16 v121, v95, v131, v121
	v_pk_fma_f16 v129, v96, v131, v129
	v_pk_fma_f16 v119, v93, v131, v119
	v_pk_fma_f16 v12, v93, v132, v12
	v_mul_u32_u24_e32 v95, 0x10001, v123
	v_mul_u32_u24_e32 v96, 0x10001, v122
	v_lshrrev_b32_e32 v124, 16, v79
	v_and_b32_e32 v126, 0xffff, v79
	v_mul_u32_u24_e32 v117, 0x10001, v117
	v_mul_u32_u24_e32 v122, 0x10001, v135
	v_pk_fma_f16 v120, v9, v95, v120
	v_pk_fma_f16 v9, v9, v96, v13
	;; [unrolled: 1-line block ×8, first 2 shown]
	ds_load_2addr_b64 v[0:3], v65 offset0:64 offset1:96
	v_lshrrev_b32_e32 v127, 16, v80
	v_and_b32_e32 v128, 0xffff, v80
	v_mul_u32_u24_e32 v123, 0x10001, v126
	v_mul_u32_u24_e32 v124, 0x10001, v124
	s_wait_dscnt 0x5
	v_pk_fma_f16 v12, v98, v117, v120
	v_pk_fma_f16 v9, v98, v122, v9
	;; [unrolled: 1-line block ×8, first 2 shown]
	ds_load_2addr_b64 v[113:116], v65 offset0:128 offset1:160
	ds_load_b128 v[77:80], v55 offset:112
	s_wait_dscnt 0x3
	v_lshrrev_b32_e32 v118, 16, v109
	v_and_b32_e32 v109, 0xffff, v109
	v_mul_u32_u24_e32 v126, 0x10001, v128
	v_mul_u32_u24_e32 v127, 0x10001, v127
	v_pk_fma_f16 v12, v102, v123, v12
	v_pk_fma_f16 v9, v102, v124, v9
	;; [unrolled: 1-line block ×8, first 2 shown]
	ds_load_2addr_b64 v[85:88], v65 offset0:192 offset1:224
	v_lshrrev_b32_e32 v125, 16, v110
	v_and_b32_e32 v110, 0xffff, v110
	v_mul_u32_u24_e32 v109, 0x10001, v109
	v_mul_u32_u24_e32 v118, 0x10001, v118
	v_pk_fma_f16 v12, v106, v126, v12
	v_pk_fma_f16 v9, v106, v127, v9
	;; [unrolled: 1-line block ×8, first 2 shown]
	ds_load_2addr_b64 v[69:72], v66 offset1:32
	v_lshrrev_b32_e32 v133, 16, v111
	v_and_b32_e32 v111, 0xffff, v111
	v_mul_u32_u24_e32 v110, 0x10001, v110
	v_mul_u32_u24_e32 v125, 0x10001, v125
	v_pk_fma_f16 v12, v5, v109, v12
	v_pk_fma_f16 v5, v5, v118, v9
	;; [unrolled: 1-line block ×8, first 2 shown]
	ds_load_2addr_b64 v[73:76], v66 offset0:64 offset1:96
	v_lshrrev_b32_e32 v134, 16, v112
	v_and_b32_e32 v112, 0xffff, v112
	v_mul_u32_u24_e32 v111, 0x10001, v111
	v_mul_u32_u24_e32 v128, 0x10001, v133
	s_wait_dscnt 0x5
	v_pk_fma_f16 v8, v1, v110, v12
	v_pk_fma_f16 v1, v1, v125, v5
	;; [unrolled: 1-line block ×8, first 2 shown]
	ds_load_2addr_b64 v[81:84], v66 offset0:128 offset1:160
	s_wait_dscnt 0x4
	v_lshrrev_b32_e32 v130, 16, v77
	v_and_b32_e32 v77, 0xffff, v77
	v_mul_u32_u24_e32 v112, 0x10001, v112
	v_mul_u32_u24_e32 v132, 0x10001, v134
	v_pk_fma_f16 v4, v114, v111, v8
	v_pk_fma_f16 v1, v114, v128, v1
	v_pk_fma_f16 v5, v115, v111, v5
	v_pk_fma_f16 v2, v115, v128, v2
	v_pk_fma_f16 v6, v116, v111, v6
	v_pk_fma_f16 v3, v116, v128, v3
	v_pk_fma_f16 v7, v113, v111, v7
	v_pk_fma_f16 v0, v113, v128, v0
	ds_load_2addr_b64 v[89:92], v66 offset0:192 offset1:224
	s_wait_loadcnt_dscnt 0x0
	s_barrier_signal -1
	s_barrier_wait -1
	global_inv scope:SCOPE_SE
	s_load_b32 s2, s[38:39], 0x4
	v_lshrrev_b32_e32 v131, 16, v78
	v_and_b32_e32 v78, 0xffff, v78
	v_mul_u32_u24_e32 v77, 0x10001, v77
	v_mul_u32_u24_e32 v130, 0x10001, v130
	v_pk_fma_f16 v4, v86, v112, v4
	v_pk_fma_f16 v1, v86, v132, v1
	v_pk_fma_f16 v5, v87, v112, v5
	v_pk_fma_f16 v2, v87, v132, v2
	v_pk_fma_f16 v6, v88, v112, v6
	v_pk_fma_f16 v3, v88, v132, v3
	v_pk_fma_f16 v7, v85, v112, v7
	v_pk_fma_f16 v0, v85, v132, v0
	v_lshrrev_b32_e32 v93, 16, v79
	v_and_b32_e32 v79, 0xffff, v79
	v_mul_u32_u24_e32 v78, 0x10001, v78
	v_mul_u32_u24_e32 v131, 0x10001, v131
	v_pk_fma_f16 v4, v70, v77, v4
	v_pk_fma_f16 v1, v70, v130, v1
	v_pk_fma_f16 v5, v71, v77, v5
	v_pk_fma_f16 v2, v71, v130, v2
	v_pk_fma_f16 v6, v72, v77, v6
	v_pk_fma_f16 v3, v72, v130, v3
	v_pk_fma_f16 v7, v69, v77, v7
	v_pk_fma_f16 v0, v69, v130, v0
	;; [unrolled: 12-line block ×3, first 2 shown]
	v_mul_u32_u24_e32 v80, 0x10001, v80
	v_mul_u32_u24_e32 v94, 0x10001, v94
	v_pk_fma_f16 v4, v82, v79, v4
	v_pk_fma_f16 v1, v82, v93, v1
	;; [unrolled: 1-line block ×8, first 2 shown]
	s_wait_kmcnt 0x0
	s_lshl_b32 s2, s2, 5
	v_pk_fma_f16 v15, v90, v80, v4
	v_pk_fma_f16 v11, v90, v94, v1
	;; [unrolled: 1-line block ×8, first 2 shown]
	s_wait_alu 0xfffe
	s_add_co_i32 s14, s2, s14
	s_wait_alu 0xfffe
	s_cmp_ge_i32 s14, s30
	s_cbranch_scc0 .LBB5_9
; %bb.10:
	v_mov_b32_e32 v3, v40
.LBB5_11:
	v_cmp_lt_i32_e32 vcc_lo, v46, v41
	s_cmp_lg_u64 s[12:13], 0
	s_cselect_b32 s2, -1, 0
	s_cmp_eq_u32 s10, 0
	s_wait_alu 0xfffd
	v_cndmask_b32_e32 v0, v3, v46, vcc_lo
	v_cmp_lt_i32_e32 vcc_lo, v45, v41
	s_cselect_b32 s3, -1, 0
	s_wait_alu 0xfffe
	s_and_b32 s2, s3, s2
	s_wait_alu 0xfffd
	v_cndmask_b32_e32 v2, v3, v45, vcc_lo
	v_cmp_lt_i32_e32 vcc_lo, v44, v41
	s_wait_alu 0xfffd
	s_delay_alu instid0(VALU_DEP_2) | instskip(SKIP_2) | instid1(VALU_DEP_3)
	v_dual_cndmask_b32 v5, v3, v44 :: v_dual_lshlrev_b32 v2, 2, v2
	v_cmp_lt_i32_e32 vcc_lo, v43, v41
	v_lshlrev_b32_e32 v0, 2, v0
	v_lshlrev_b32_e32 v5, 2, v5
	ds_bpermute_b32 v1, v0, v68
	ds_bpermute_b32 v0, v0, v67
	s_wait_dscnt 0x0
	v_dual_add_f32 v1, v68, v1 :: v_dual_add_f32 v0, v67, v0
	ds_bpermute_b32 v4, v2, v1
	ds_bpermute_b32 v2, v2, v0
	s_wait_dscnt 0x0
	v_dual_add_f32 v1, v1, v4 :: v_dual_add_f32 v0, v0, v2
	ds_bpermute_b32 v2, v5, v1
	ds_bpermute_b32 v4, v5, v0
	s_wait_alu 0xfffd
	v_cndmask_b32_e32 v5, v3, v43, vcc_lo
	v_cmp_lt_i32_e32 vcc_lo, v42, v41
	s_delay_alu instid0(VALU_DEP_2)
	v_lshlrev_b32_e32 v5, 2, v5
	s_wait_dscnt 0x0
	v_dual_add_f32 v1, v1, v2 :: v_dual_add_f32 v0, v0, v4
	ds_bpermute_b32 v2, v5, v1
	ds_bpermute_b32 v4, v5, v0
	s_wait_alu 0xfffd
	v_cndmask_b32_e32 v3, v3, v42, vcc_lo
	s_wait_alu 0xfffe
	s_and_b32 vcc_lo, exec_lo, s2
	s_wait_dscnt 0x0
	v_dual_add_f32 v1, v1, v2 :: v_dual_add_f32 v2, v0, v4
	v_lshlrev_b32_e32 v3, 2, v3
	ds_bpermute_b32 v0, v3, v1
	s_wait_dscnt 0x0
	v_add_f32_e32 v0, v1, v0
	ds_bpermute_b32 v3, v3, v2
	s_wait_dscnt 0x0
	v_add_f32_e32 v1, v2, v3
	s_wait_alu 0xfffe
	s_cbranch_vccz .LBB5_14
; %bb.12:
	v_add_nc_u32_e32 v2, s33, v37
	s_delay_alu instid0(VALU_DEP_1) | instskip(NEXT) | instid1(VALU_DEP_1)
	v_ashrrev_i32_e32 v3, 31, v2
	v_lshlrev_b64_e32 v[2:3], 2, v[2:3]
	s_delay_alu instid0(VALU_DEP_1) | instskip(SKIP_1) | instid1(VALU_DEP_2)
	v_add_co_u32 v2, vcc_lo, s12, v2
	s_wait_alu 0xfffd
	v_add_co_ci_u32_e64 v3, null, s13, v3, vcc_lo
	global_load_b64 v[2:3], v[2:3], off
	v_max_num_f32_e32 v4, v35, v35
	s_wait_loadcnt 0x0
	v_dual_max_num_f32 v6, v36, v36 :: v_dual_max_num_f32 v5, v2, v2
	s_delay_alu instid0(VALU_DEP_1) | instskip(NEXT) | instid1(VALU_DEP_1)
	v_dual_max_num_f32 v7, v3, v3 :: v_dual_max_num_f32 v4, v4, v5
	v_dual_max_num_f32 v5, v6, v7 :: v_dual_sub_f32 v6, v35, v4
	s_delay_alu instid0(VALU_DEP_1) | instskip(SKIP_2) | instid1(VALU_DEP_4)
	v_sub_f32_e32 v7, v36, v5
	v_dual_sub_f32 v3, v3, v5 :: v_dual_sub_f32 v2, v2, v4
	v_mov_b32_e32 v36, v5
	v_cmp_ngt_f32_e32 vcc_lo, 0xc2ce8ed0, v6
	s_delay_alu instid0(VALU_DEP_4) | instskip(NEXT) | instid1(VALU_DEP_4)
	v_mul_f32_e32 v20, 0x3fb8aa3b, v7
	v_mul_f32_e32 v21, 0x3fb8aa3b, v3
	;; [unrolled: 1-line block ×3, first 2 shown]
	v_mov_b32_e32 v35, v4
	s_delay_alu instid0(VALU_DEP_4) | instskip(NEXT) | instid1(VALU_DEP_4)
	v_fma_f32 v26, 0x3fb8aa3b, v7, -v20
	v_fma_f32 v28, 0x3fb8aa3b, v3, -v21
	s_delay_alu instid0(VALU_DEP_4) | instskip(SKIP_3) | instid1(VALU_DEP_4)
	v_rndne_f32_e32 v25, v19
	v_mul_f32_e32 v18, 0x3fb8aa3b, v6
	v_fma_f32 v24, 0x3fb8aa3b, v2, -v19
	v_rndne_f32_e32 v29, v21
	v_dual_fmac_f32 v28, 0x32a5705f, v3 :: v_dual_sub_f32 v19, v19, v25
	s_delay_alu instid0(VALU_DEP_4) | instskip(SKIP_1) | instid1(VALU_DEP_4)
	v_fma_f32 v22, 0x3fb8aa3b, v6, -v18
	v_rndne_f32_e32 v23, v18
	v_sub_f32_e32 v21, v21, v29
	v_rndne_f32_e32 v27, v20
	v_fmac_f32_e32 v24, 0x32a5705f, v2
	v_fmac_f32_e32 v22, 0x32a5705f, v6
	s_delay_alu instid0(VALU_DEP_4) | instskip(NEXT) | instid1(VALU_DEP_3)
	v_dual_fmac_f32 v26, 0x32a5705f, v7 :: v_dual_add_f32 v21, v21, v28
	v_dual_sub_f32 v18, v18, v23 :: v_dual_add_f32 v19, v19, v24
	v_sub_f32_e32 v20, v20, v27
	v_cvt_i32_f32_e32 v24, v27
	s_delay_alu instid0(VALU_DEP_4) | instskip(NEXT) | instid1(VALU_DEP_3)
	v_exp_f32_e32 v21, v21
	v_add_f32_e32 v18, v18, v22
	v_cvt_i32_f32_e32 v22, v23
	v_add_f32_e32 v20, v20, v26
	v_exp_f32_e32 v19, v19
	v_cvt_i32_f32_e32 v23, v25
	v_exp_f32_e32 v18, v18
	s_delay_alu instid0(VALU_DEP_2)
	v_exp_f32_e32 v20, v20
	s_delay_alu instid0(TRANS32_DEP_3) | instid1(VALU_DEP_1)
	v_ldexp_f32 v19, v19, v23
	s_delay_alu instid0(TRANS32_DEP_2) | instskip(SKIP_1) | instid1(TRANS32_DEP_1)
	v_ldexp_f32 v18, v18, v22
	v_cvt_i32_f32_e32 v22, v29
	v_ldexp_f32 v20, v20, v24
	s_wait_alu 0xfffd
	s_delay_alu instid0(VALU_DEP_3)
	v_cndmask_b32_e32 v18, 0, v18, vcc_lo
	v_cmp_ngt_f32_e32 vcc_lo, 0xc2ce8ed0, v7
	v_ldexp_f32 v21, v21, v22
	s_wait_alu 0xfffd
	v_cndmask_b32_e32 v20, 0, v20, vcc_lo
	v_cmp_nlt_f32_e32 vcc_lo, 0x42b17218, v6
	s_wait_alu 0xfffd
	v_cndmask_b32_e32 v6, 0x7f800000, v18, vcc_lo
	v_cmp_ngt_f32_e32 vcc_lo, 0xc2ce8ed0, v2
	s_wait_alu 0xfffd
	v_cndmask_b32_e32 v18, 0, v19, vcc_lo
	v_cmp_nlt_f32_e32 vcc_lo, 0x42b17218, v7
	v_cvt_f16_f32_e32 v19, v6
	s_wait_alu 0xfffd
	v_cndmask_b32_e32 v7, 0x7f800000, v20, vcc_lo
	v_cmp_ngt_f32_e32 vcc_lo, 0xc2ce8ed0, v3
	s_wait_alu 0xfffd
	v_dual_cndmask_b32 v20, 0, v21 :: v_dual_and_b32 v19, 0xffff, v19
	v_cmp_nlt_f32_e32 vcc_lo, 0x42b17218, v2
	s_wait_alu 0xfffd
	v_cndmask_b32_e32 v2, 0x7f800000, v18, vcc_lo
	v_cvt_f16_f32_e32 v18, v7
	v_cmp_nlt_f32_e32 vcc_lo, 0x42b17218, v3
	s_delay_alu instid0(VALU_DEP_3) | instskip(NEXT) | instid1(VALU_DEP_3)
	v_fmac_f32_e32 v2, v0, v6
	v_and_b32_e32 v6, 0xffff, v18
	s_wait_alu 0xfffd
	v_cndmask_b32_e32 v3, 0x7f800000, v20, vcc_lo
	v_mul_u32_u24_e32 v18, 0x10001, v19
	s_delay_alu instid0(VALU_DEP_2) | instskip(SKIP_1) | instid1(VALU_DEP_3)
	v_dual_mov_b32 v0, v2 :: v_dual_fmac_f32 v3, v1, v7
	v_mul_u32_u24_e32 v1, 0x10001, v6
	v_pk_mul_f16 v12, v12, v18
	v_pk_mul_f16 v15, v15, v18
	v_pk_mul_f16 v13, v13, v18
	v_pk_mul_f16 v14, v14, v18
	v_pk_mul_f16 v9, v9, v1
	v_pk_mul_f16 v11, v11, v1
	v_pk_mul_f16 v10, v10, v1
	v_pk_mul_f16 v8, v8, v1
	v_mov_b32_e32 v1, v3
	s_mov_b32 s2, exec_lo
	v_cmpx_gt_i32_e64 s22, v16
	s_cbranch_execnz .LBB5_15
.LBB5_13:
	s_nop 0
	s_sendmsg sendmsg(MSG_DEALLOC_VGPRS)
	s_endpgm
.LBB5_14:
	s_delay_alu instid0(VALU_DEP_1)
	v_dual_mov_b32 v3, v1 :: v_dual_mov_b32 v2, v0
	s_mov_b32 s2, exec_lo
	v_cmpx_gt_i32_e64 s22, v16
	s_cbranch_execz .LBB5_13
.LBB5_15:
	s_load_b32 s1, s[0:1], 0xd4
	v_mov_b32_e32 v6, 1.0
	s_wait_kmcnt 0x0
	s_cmp_lg_u32 s1, 1
	s_cselect_b32 s3, -1, 0
	s_cmp_eq_u32 s1, 1
	s_cselect_b32 s2, -1, 0
	s_wait_alu 0xfffe
	s_and_b32 vcc_lo, exec_lo, s3
	s_wait_alu 0xfffe
	s_cbranch_vccnz .LBB5_17
; %bb.16:
	v_div_scale_f32 v4, null, v0, v0, 1.0
	s_delay_alu instid0(VALU_DEP_1) | instskip(NEXT) | instid1(TRANS32_DEP_1)
	v_rcp_f32_e32 v5, v4
	v_fma_f32 v6, -v4, v5, 1.0
	s_delay_alu instid0(VALU_DEP_1) | instskip(SKIP_1) | instid1(VALU_DEP_1)
	v_fmac_f32_e32 v5, v6, v5
	v_div_scale_f32 v6, vcc_lo, 1.0, v0, 1.0
	v_mul_f32_e32 v7, v6, v5
	s_delay_alu instid0(VALU_DEP_1) | instskip(NEXT) | instid1(VALU_DEP_1)
	v_fma_f32 v18, -v4, v7, v6
	v_fmac_f32_e32 v7, v18, v5
	s_delay_alu instid0(VALU_DEP_1) | instskip(SKIP_1) | instid1(VALU_DEP_1)
	v_fma_f32 v4, -v4, v7, v6
	s_wait_alu 0xfffd
	v_div_fmas_f32 v4, v4, v5, v7
	s_delay_alu instid0(VALU_DEP_1)
	v_div_fixup_f32 v6, v4, v0, 1.0
.LBB5_17:
	v_mad_co_u64_u32 v[4:5], null, s28, s22, v[16:17]
	v_cmp_eq_u32_e32 vcc_lo, 0, v17
	v_lshrrev_b32_e32 v7, 16, v15
	v_cvt_f32_f16_e32 v15, v15
	v_lshrrev_b32_e32 v16, 16, v12
	v_mov_b32_e32 v21, 0
	v_lshrrev_b32_e32 v17, 16, v14
	v_mul_lo_u32 v0, v4, s23
	v_cvt_f32_f16_e32 v12, v12
	v_cvt_f32_f16_e32 v7, v7
	;; [unrolled: 1-line block ×4, first 2 shown]
	s_delay_alu instid0(VALU_DEP_4) | instskip(SKIP_1) | instid1(VALU_DEP_1)
	v_mul_f32_e32 v12, v6, v12
	v_add3_u32 v0, s33, v37, v0
	v_mad_co_u64_u32 v[4:5], null, s1, v0, s[10:11]
	v_cvt_f32_f16_e32 v0, v14
	v_lshrrev_b32_e32 v5, 16, v13
	v_cvt_f32_f16_e32 v13, v13
	v_mul_f32_e32 v14, v6, v15
	v_mul_f32_e32 v15, v6, v7
	;; [unrolled: 1-line block ×3, first 2 shown]
	v_lshl_add_u32 v20, v4, 8, v38
	v_cvt_f32_f16_e32 v0, v5
	v_mul_f32_e32 v16, v6, v13
	v_mul_f32_e32 v13, v6, v19
	;; [unrolled: 1-line block ×3, first 2 shown]
	v_lshlrev_b64_e32 v[22:23], 2, v[20:21]
	v_add_nc_u32_e32 v20, 0x80, v20
	v_mul_f32_e32 v17, v6, v0
	s_delay_alu instid0(VALU_DEP_2) | instskip(NEXT) | instid1(VALU_DEP_4)
	v_lshlrev_b64_e32 v[5:6], 2, v[20:21]
	v_add_co_u32 v20, s0, s16, v22
	s_wait_alu 0xf1ff
	v_add_co_ci_u32_e64 v21, null, s17, v23, s0
	s_delay_alu instid0(VALU_DEP_3)
	v_add_co_u32 v5, s0, s16, v5
	s_wait_alu 0xf1ff
	v_add_co_ci_u32_e64 v6, null, s17, v6, s0
	s_and_b32 s0, vcc_lo, s3
	s_clause 0x1
	global_store_b128 v[20:21], v[12:15], off
	global_store_b128 v[5:6], v[16:19], off
	s_wait_alu 0xfffe
	s_and_saveexec_b32 s3, s0
	s_cbranch_execz .LBB5_19
; %bb.18:
	v_ashrrev_i32_e32 v5, 31, v4
	v_dual_mov_b32 v12, v35 :: v_dual_mov_b32 v13, v2
	s_delay_alu instid0(VALU_DEP_2) | instskip(NEXT) | instid1(VALU_DEP_1)
	v_lshlrev_b64_e32 v[5:6], 3, v[4:5]
	v_add_co_u32 v5, vcc_lo, s18, v5
	s_wait_alu 0xfffd
	s_delay_alu instid0(VALU_DEP_2)
	v_add_co_ci_u32_e64 v6, null, s19, v6, vcc_lo
	global_store_b64 v[5:6], v[12:13], off
.LBB5_19:
	s_wait_alu 0xfffe
	s_or_b32 exec_lo, exec_lo, s3
	v_mov_b32_e32 v2, 1.0
	s_and_not1_b32 vcc_lo, exec_lo, s2
	s_wait_alu 0xfffe
	s_cbranch_vccnz .LBB5_21
; %bb.20:
	v_div_scale_f32 v0, null, v1, v1, 1.0
	s_delay_alu instid0(VALU_DEP_1) | instskip(NEXT) | instid1(TRANS32_DEP_1)
	v_rcp_f32_e32 v2, v0
	v_fma_f32 v5, -v0, v2, 1.0
	s_delay_alu instid0(VALU_DEP_1) | instskip(SKIP_1) | instid1(VALU_DEP_1)
	v_fmac_f32_e32 v2, v5, v2
	v_div_scale_f32 v5, vcc_lo, 1.0, v1, 1.0
	v_mul_f32_e32 v6, v5, v2
	s_delay_alu instid0(VALU_DEP_1) | instskip(NEXT) | instid1(VALU_DEP_1)
	v_fma_f32 v7, -v0, v6, v5
	v_fmac_f32_e32 v6, v7, v2
	s_delay_alu instid0(VALU_DEP_1) | instskip(SKIP_1) | instid1(VALU_DEP_1)
	v_fma_f32 v0, -v0, v6, v5
	s_wait_alu 0xfffd
	v_div_fmas_f32 v0, v0, v2, v6
	s_delay_alu instid0(VALU_DEP_1)
	v_div_fixup_f32 v2, v0, v1, 1.0
.LBB5_21:
	v_lshrrev_b32_e32 v1, 16, v11
	v_cvt_f32_f16_e32 v5, v11
	v_cvt_f32_f16_e32 v17, v10
	s_delay_alu instid0(VALU_DEP_3) | instskip(SKIP_3) | instid1(VALU_DEP_4)
	v_cvt_f32_f16_e32 v1, v1
	v_add_nc_u32_e32 v0, s1, v4
	v_lshrrev_b32_e32 v4, 16, v9
	v_cvt_f32_f16_e32 v9, v9
	v_mul_f32_e32 v7, v2, v1
	s_delay_alu instid0(VALU_DEP_4) | instskip(NEXT) | instid1(VALU_DEP_4)
	v_lshl_add_u32 v11, v0, 8, v38
	v_cvt_f32_f16_e32 v4, v4
	v_mov_b32_e32 v12, 0
	v_mul_f32_e32 v6, v2, v5
	v_lshrrev_b32_e32 v1, 16, v8
	v_cvt_f32_f16_e32 v8, v8
	v_mul_f32_e32 v5, v2, v4
	v_lshlrev_b64_e32 v[13:14], 2, v[11:12]
	v_dual_mul_f32 v4, v2, v9 :: v_dual_add_nc_u32 v11, 0x80, v11
	v_lshrrev_b32_e32 v9, 16, v10
	v_cvt_f32_f16_e32 v1, v1
	v_mul_f32_e32 v10, v2, v8
	s_delay_alu instid0(VALU_DEP_4)
	v_lshlrev_b64_e32 v[15:16], 2, v[11:12]
	v_add_co_u32 v13, vcc_lo, s16, v13
	v_cvt_f32_f16_e32 v9, v9
	s_wait_alu 0xfffd
	v_add_co_ci_u32_e64 v14, null, s17, v14, vcc_lo
	v_mul_f32_e32 v11, v2, v1
	v_add_co_u32 v1, vcc_lo, s16, v15
	v_mul_f32_e32 v9, v2, v9
	v_mul_f32_e32 v8, v2, v17
	s_wait_alu 0xfffd
	v_add_co_ci_u32_e64 v2, null, s17, v16, vcc_lo
	s_clause 0x1
	global_store_b128 v[13:14], v[4:7], off
	global_store_b128 v[1:2], v[8:11], off
	s_and_b32 exec_lo, exec_lo, s0
	s_cbranch_execz .LBB5_13
; %bb.22:
	v_ashrrev_i32_e32 v1, 31, v0
	v_mov_b32_e32 v2, v36
	s_delay_alu instid0(VALU_DEP_2) | instskip(NEXT) | instid1(VALU_DEP_1)
	v_lshlrev_b64_e32 v[0:1], 3, v[0:1]
	v_add_co_u32 v0, vcc_lo, s18, v0
	s_wait_alu 0xfffd
	s_delay_alu instid0(VALU_DEP_2)
	v_add_co_ci_u32_e64 v1, null, s19, v1, vcc_lo
	global_store_b64 v[0:1], v[2:3], off
	s_nop 0
	s_sendmsg sendmsg(MSG_DEALLOC_VGPRS)
	s_endpgm
	.section	.rodata,"a",@progbits
	.p2align	6, 0x0
	.amdhsa_kernel _ZL15flash_attn_tileILi256ELi256ELi2ELi8ELb0EEvPKcS1_S1_S1_S1_PKiPfP15HIP_vector_typeIfLj2EEffffjfiS5_IjLj3EEiiiiiiiiiiiliiliiiiil
		.amdhsa_group_segment_fixed_size 26112
		.amdhsa_private_segment_fixed_size 0
		.amdhsa_kernarg_size 464
		.amdhsa_user_sgpr_count 2
		.amdhsa_user_sgpr_dispatch_ptr 0
		.amdhsa_user_sgpr_queue_ptr 0
		.amdhsa_user_sgpr_kernarg_segment_ptr 1
		.amdhsa_user_sgpr_dispatch_id 0
		.amdhsa_user_sgpr_private_segment_size 0
		.amdhsa_wavefront_size32 1
		.amdhsa_uses_dynamic_stack 0
		.amdhsa_enable_private_segment 0
		.amdhsa_system_sgpr_workgroup_id_x 1
		.amdhsa_system_sgpr_workgroup_id_y 1
		.amdhsa_system_sgpr_workgroup_id_z 1
		.amdhsa_system_sgpr_workgroup_info 0
		.amdhsa_system_vgpr_workitem_id 1
		.amdhsa_next_free_vgpr 139
		.amdhsa_next_free_sgpr 42
		.amdhsa_reserve_vcc 1
		.amdhsa_float_round_mode_32 0
		.amdhsa_float_round_mode_16_64 0
		.amdhsa_float_denorm_mode_32 3
		.amdhsa_float_denorm_mode_16_64 3
		.amdhsa_fp16_overflow 0
		.amdhsa_workgroup_processor_mode 1
		.amdhsa_memory_ordered 1
		.amdhsa_forward_progress 1
		.amdhsa_inst_pref_size 79
		.amdhsa_round_robin_scheduling 0
		.amdhsa_exception_fp_ieee_invalid_op 0
		.amdhsa_exception_fp_denorm_src 0
		.amdhsa_exception_fp_ieee_div_zero 0
		.amdhsa_exception_fp_ieee_overflow 0
		.amdhsa_exception_fp_ieee_underflow 0
		.amdhsa_exception_fp_ieee_inexact 0
		.amdhsa_exception_int_div_zero 0
	.end_amdhsa_kernel
	.section	.text._ZL15flash_attn_tileILi256ELi256ELi2ELi8ELb0EEvPKcS1_S1_S1_S1_PKiPfP15HIP_vector_typeIfLj2EEffffjfiS5_IjLj3EEiiiiiiiiiiiliiliiiiil,"axG",@progbits,_ZL15flash_attn_tileILi256ELi256ELi2ELi8ELb0EEvPKcS1_S1_S1_S1_PKiPfP15HIP_vector_typeIfLj2EEffffjfiS5_IjLj3EEiiiiiiiiiiiliiliiiiil,comdat
.Lfunc_end5:
	.size	_ZL15flash_attn_tileILi256ELi256ELi2ELi8ELb0EEvPKcS1_S1_S1_S1_PKiPfP15HIP_vector_typeIfLj2EEffffjfiS5_IjLj3EEiiiiiiiiiiiliiliiiiil, .Lfunc_end5-_ZL15flash_attn_tileILi256ELi256ELi2ELi8ELb0EEvPKcS1_S1_S1_S1_PKiPfP15HIP_vector_typeIfLj2EEffffjfiS5_IjLj3EEiiiiiiiiiiiliiliiiiil
                                        ; -- End function
	.set _ZL15flash_attn_tileILi256ELi256ELi2ELi8ELb0EEvPKcS1_S1_S1_S1_PKiPfP15HIP_vector_typeIfLj2EEffffjfiS5_IjLj3EEiiiiiiiiiiiliiliiiiil.num_vgpr, 139
	.set _ZL15flash_attn_tileILi256ELi256ELi2ELi8ELb0EEvPKcS1_S1_S1_S1_PKiPfP15HIP_vector_typeIfLj2EEffffjfiS5_IjLj3EEiiiiiiiiiiiliiliiiiil.num_agpr, 0
	.set _ZL15flash_attn_tileILi256ELi256ELi2ELi8ELb0EEvPKcS1_S1_S1_S1_PKiPfP15HIP_vector_typeIfLj2EEffffjfiS5_IjLj3EEiiiiiiiiiiiliiliiiiil.numbered_sgpr, 42
	.set _ZL15flash_attn_tileILi256ELi256ELi2ELi8ELb0EEvPKcS1_S1_S1_S1_PKiPfP15HIP_vector_typeIfLj2EEffffjfiS5_IjLj3EEiiiiiiiiiiiliiliiiiil.num_named_barrier, 0
	.set _ZL15flash_attn_tileILi256ELi256ELi2ELi8ELb0EEvPKcS1_S1_S1_S1_PKiPfP15HIP_vector_typeIfLj2EEffffjfiS5_IjLj3EEiiiiiiiiiiiliiliiiiil.private_seg_size, 0
	.set _ZL15flash_attn_tileILi256ELi256ELi2ELi8ELb0EEvPKcS1_S1_S1_S1_PKiPfP15HIP_vector_typeIfLj2EEffffjfiS5_IjLj3EEiiiiiiiiiiiliiliiiiil.uses_vcc, 1
	.set _ZL15flash_attn_tileILi256ELi256ELi2ELi8ELb0EEvPKcS1_S1_S1_S1_PKiPfP15HIP_vector_typeIfLj2EEffffjfiS5_IjLj3EEiiiiiiiiiiiliiliiiiil.uses_flat_scratch, 0
	.set _ZL15flash_attn_tileILi256ELi256ELi2ELi8ELb0EEvPKcS1_S1_S1_S1_PKiPfP15HIP_vector_typeIfLj2EEffffjfiS5_IjLj3EEiiiiiiiiiiiliiliiiiil.has_dyn_sized_stack, 0
	.set _ZL15flash_attn_tileILi256ELi256ELi2ELi8ELb0EEvPKcS1_S1_S1_S1_PKiPfP15HIP_vector_typeIfLj2EEffffjfiS5_IjLj3EEiiiiiiiiiiiliiliiiiil.has_recursion, 0
	.set _ZL15flash_attn_tileILi256ELi256ELi2ELi8ELb0EEvPKcS1_S1_S1_S1_PKiPfP15HIP_vector_typeIfLj2EEffffjfiS5_IjLj3EEiiiiiiiiiiiliiliiiiil.has_indirect_call, 0
	.section	.AMDGPU.csdata,"",@progbits
; Kernel info:
; codeLenInByte = 10068
; TotalNumSgprs: 44
; NumVgprs: 139
; ScratchSize: 0
; MemoryBound: 0
; FloatMode: 240
; IeeeMode: 1
; LDSByteSize: 26112 bytes/workgroup (compile time only)
; SGPRBlocks: 0
; VGPRBlocks: 17
; NumSGPRsForWavesPerEU: 44
; NumVGPRsForWavesPerEU: 139
; Occupancy: 10
; WaveLimiterHint : 1
; COMPUTE_PGM_RSRC2:SCRATCH_EN: 0
; COMPUTE_PGM_RSRC2:USER_SGPR: 2
; COMPUTE_PGM_RSRC2:TRAP_HANDLER: 0
; COMPUTE_PGM_RSRC2:TGID_X_EN: 1
; COMPUTE_PGM_RSRC2:TGID_Y_EN: 1
; COMPUTE_PGM_RSRC2:TGID_Z_EN: 1
; COMPUTE_PGM_RSRC2:TIDIG_COMP_CNT: 1
	.section	.text._ZL25flash_attn_mask_to_KV_maxILi2EEvPK7__half2Piiii,"axG",@progbits,_ZL25flash_attn_mask_to_KV_maxILi2EEvPK7__half2Piiii,comdat
	.globl	_ZL25flash_attn_mask_to_KV_maxILi2EEvPK7__half2Piiii ; -- Begin function _ZL25flash_attn_mask_to_KV_maxILi2EEvPK7__half2Piiii
	.p2align	8
	.type	_ZL25flash_attn_mask_to_KV_maxILi2EEvPK7__half2Piiii,@function
_ZL25flash_attn_mask_to_KV_maxILi2EEvPK7__half2Piiii: ; @_ZL25flash_attn_mask_to_KV_maxILi2EEvPK7__half2Piiii
; %bb.0:
	s_load_b64 s[8:9], s[0:1], 0x0
	s_mov_b32 s2, exec_lo
	v_cmpx_gt_u32_e32 32, v0
; %bb.1:
	v_dual_mov_b32 v2, 1 :: v_dual_lshlrev_b32 v1, 2, v0
	ds_store_b32 v1, v2
; %bb.2:
	s_or_b32 exec_lo, exec_lo, s2
	s_clause 0x2
	s_load_b96 s[4:6], s[0:1], 0x10
	s_load_b64 s[2:3], s[0:1], 0x8
	s_load_b32 s1, s[0:1], 0x20
	v_dual_mov_b32 v2, 0 :: v_dual_and_b32 v1, 31, v0
	v_lshrrev_b32_e32 v3, 3, v0
	s_wait_dscnt 0x0
	s_barrier_signal -1
	s_delay_alu instid0(VALU_DEP_2)
	v_lshlrev_b32_e32 v4, 2, v1
	s_barrier_wait -1
	global_inv scope:SCOPE_SE
	s_wait_kmcnt 0x0
	s_mul_i32 s0, ttmp9, s5
	s_mul_i32 s6, s6, ttmp7
	s_lshl_b32 s0, s0, 1
	s_delay_alu instid0(SALU_CYCLE_1) | instskip(SKIP_2) | instid1(SALU_CYCLE_1)
	s_add_co_i32 s6, s6, s0
	v_cmp_eq_u32_e64 s0, 0, v1
	s_ashr_i32 s7, s6, 31
	s_lshl_b64 s[6:7], s[6:7], 2
	s_delay_alu instid0(SALU_CYCLE_1)
	s_add_nc_u64 s[6:7], s[8:9], s[6:7]
	s_lshl_b32 s8, s4, 8
	s_branch .LBB6_4
.LBB6_3:                                ;   in Loop: Header=BB6_4 Depth=1
	s_wait_alu 0xfffe
	s_or_b32 exec_lo, exec_lo, s9
	s_wait_dscnt 0x0
	s_barrier_signal -1
	s_barrier_wait -1
	global_inv scope:SCOPE_SE
	ds_load_b32 v1, v4
	s_wait_loadcnt_dscnt 0x0
	s_barrier_signal -1
	s_barrier_wait -1
	global_inv scope:SCOPE_SE
	v_cmp_ne_u32_e32 vcc_lo, 0, v1
	s_cmp_lg_u32 vcc_lo, exec_lo
	s_cselect_b32 s9, -1, 0
	s_wait_alu 0xfffe
	s_and_b32 vcc_lo, exec_lo, s9
	s_wait_alu 0xfffe
	s_cbranch_vccnz .LBB6_12
.LBB6_4:                                ; =>This Inner Loop Header: Depth=1
	s_mov_b32 s4, s8
	s_addk_co_i32 s8, 0xff00
	s_wait_alu 0xfffe
	s_cmp_lt_i32 s8, 0
	s_cbranch_scc1 .LBB6_11
; %bb.5:                                ;   in Loop: Header=BB6_4 Depth=1
	s_lshr_b32 s9, s8, 1
	s_wait_alu 0xfffe
	v_add_nc_u32_e32 v1, s9, v0
	s_delay_alu instid0(VALU_DEP_1) | instskip(NEXT) | instid1(VALU_DEP_1)
	v_lshlrev_b64_e32 v[5:6], 2, v[1:2]
	v_add_co_u32 v5, vcc_lo, s6, v5
	s_wait_alu 0xfffd
	s_delay_alu instid0(VALU_DEP_2) | instskip(SKIP_4) | instid1(VALU_DEP_2)
	v_add_co_ci_u32_e64 v6, null, s7, v6, vcc_lo
	global_load_b32 v5, v[5:6], off
	s_wait_loadcnt 0x0
	v_lshrrev_b32_e32 v6, 16, v5
	v_cmp_class_f16_e64 s9, v5, 0x204
	v_cmp_class_f16_e64 s10, v6, 0x204
	s_and_b32 s11, s9, s10
	s_mov_b32 s10, 0
	s_wait_alu 0xfffe
	s_and_saveexec_b32 s9, s11
	s_cbranch_execz .LBB6_9
; %bb.6:                                ;   in Loop: Header=BB6_4 Depth=1
	v_add_nc_u32_e32 v5, s5, v1
	s_delay_alu instid0(VALU_DEP_1) | instskip(NEXT) | instid1(VALU_DEP_1)
	v_ashrrev_i32_e32 v6, 31, v5
	v_lshlrev_b64_e32 v[5:6], 2, v[5:6]
	s_delay_alu instid0(VALU_DEP_1) | instskip(SKIP_1) | instid1(VALU_DEP_2)
	v_add_co_u32 v5, vcc_lo, s6, v5
	s_wait_alu 0xfffd
	v_add_co_ci_u32_e64 v6, null, s7, v6, vcc_lo
	global_load_b32 v1, v[5:6], off
	s_wait_loadcnt 0x0
	v_cmp_class_f16_e64 s12, v1, 0x204
	s_and_saveexec_b32 s11, s12
; %bb.7:                                ;   in Loop: Header=BB6_4 Depth=1
	v_lshrrev_b32_e32 v1, 16, v1
	s_delay_alu instid0(VALU_DEP_1)
	v_cmp_class_f16_e64 s10, v1, 0x204
	s_and_b32 s10, s10, exec_lo
; %bb.8:                                ;   in Loop: Header=BB6_4 Depth=1
	s_wait_alu 0xfffe
	s_or_b32 exec_lo, exec_lo, s11
	s_delay_alu instid0(SALU_CYCLE_1)
	s_and_b32 s10, s10, exec_lo
.LBB6_9:                                ;   in Loop: Header=BB6_4 Depth=1
	s_wait_alu 0xfffe
	s_or_b32 exec_lo, exec_lo, s9
	v_cndmask_b32_e64 v1, 0, 1, s10
	s_mov_b32 s11, exec_lo
	s_delay_alu instid0(VALU_DEP_1)
	v_cmp_ne_u32_e32 vcc_lo, 0, v1
	s_and_saveexec_b32 s9, s0
	s_cbranch_execz .LBB6_3
; %bb.10:                               ;   in Loop: Header=BB6_4 Depth=1
	s_wait_alu 0xfffe
	s_cmp_eq_u32 vcc_lo, s11
	s_cselect_b32 s10, -1, 0
	s_wait_alu 0xfffe
	v_cndmask_b32_e64 v1, 0, 1, s10
	ds_store_b32 v3, v1
	s_branch .LBB6_3
.LBB6_11:                               ;   in Loop: Header=BB6_4 Depth=1
	s_cbranch_execz .LBB6_4
.LBB6_12:
	s_mov_b32 s0, exec_lo
	v_cmpx_eq_u32_e32 0, v0
	s_cbranch_execz .LBB6_14
; %bb.13:
	s_mul_i32 s0, s1, ttmp7
	v_dual_mov_b32 v0, 0 :: v_dual_mov_b32 v1, s4
	s_add_co_i32 s0, s0, ttmp9
	s_delay_alu instid0(SALU_CYCLE_1) | instskip(NEXT) | instid1(SALU_CYCLE_1)
	s_ashr_i32 s1, s0, 31
	s_lshl_b64 s[0:1], s[0:1], 2
	s_delay_alu instid0(SALU_CYCLE_1)
	s_add_nc_u64 s[0:1], s[2:3], s[0:1]
	global_store_b32 v0, v1, s[0:1]
.LBB6_14:
	s_endpgm
	.section	.rodata,"a",@progbits
	.p2align	6, 0x0
	.amdhsa_kernel _ZL25flash_attn_mask_to_KV_maxILi2EEvPK7__half2Piiii
		.amdhsa_group_segment_fixed_size 128
		.amdhsa_private_segment_fixed_size 0
		.amdhsa_kernarg_size 288
		.amdhsa_user_sgpr_count 2
		.amdhsa_user_sgpr_dispatch_ptr 0
		.amdhsa_user_sgpr_queue_ptr 0
		.amdhsa_user_sgpr_kernarg_segment_ptr 1
		.amdhsa_user_sgpr_dispatch_id 0
		.amdhsa_user_sgpr_private_segment_size 0
		.amdhsa_wavefront_size32 1
		.amdhsa_uses_dynamic_stack 0
		.amdhsa_enable_private_segment 0
		.amdhsa_system_sgpr_workgroup_id_x 1
		.amdhsa_system_sgpr_workgroup_id_y 1
		.amdhsa_system_sgpr_workgroup_id_z 0
		.amdhsa_system_sgpr_workgroup_info 0
		.amdhsa_system_vgpr_workitem_id 0
		.amdhsa_next_free_vgpr 7
		.amdhsa_next_free_sgpr 13
		.amdhsa_reserve_vcc 1
		.amdhsa_float_round_mode_32 0
		.amdhsa_float_round_mode_16_64 0
		.amdhsa_float_denorm_mode_32 3
		.amdhsa_float_denorm_mode_16_64 3
		.amdhsa_fp16_overflow 0
		.amdhsa_workgroup_processor_mode 1
		.amdhsa_memory_ordered 1
		.amdhsa_forward_progress 1
		.amdhsa_inst_pref_size 5
		.amdhsa_round_robin_scheduling 0
		.amdhsa_exception_fp_ieee_invalid_op 0
		.amdhsa_exception_fp_denorm_src 0
		.amdhsa_exception_fp_ieee_div_zero 0
		.amdhsa_exception_fp_ieee_overflow 0
		.amdhsa_exception_fp_ieee_underflow 0
		.amdhsa_exception_fp_ieee_inexact 0
		.amdhsa_exception_int_div_zero 0
	.end_amdhsa_kernel
	.section	.text._ZL25flash_attn_mask_to_KV_maxILi2EEvPK7__half2Piiii,"axG",@progbits,_ZL25flash_attn_mask_to_KV_maxILi2EEvPK7__half2Piiii,comdat
.Lfunc_end6:
	.size	_ZL25flash_attn_mask_to_KV_maxILi2EEvPK7__half2Piiii, .Lfunc_end6-_ZL25flash_attn_mask_to_KV_maxILi2EEvPK7__half2Piiii
                                        ; -- End function
	.set _ZL25flash_attn_mask_to_KV_maxILi2EEvPK7__half2Piiii.num_vgpr, 7
	.set _ZL25flash_attn_mask_to_KV_maxILi2EEvPK7__half2Piiii.num_agpr, 0
	.set _ZL25flash_attn_mask_to_KV_maxILi2EEvPK7__half2Piiii.numbered_sgpr, 13
	.set _ZL25flash_attn_mask_to_KV_maxILi2EEvPK7__half2Piiii.num_named_barrier, 0
	.set _ZL25flash_attn_mask_to_KV_maxILi2EEvPK7__half2Piiii.private_seg_size, 0
	.set _ZL25flash_attn_mask_to_KV_maxILi2EEvPK7__half2Piiii.uses_vcc, 1
	.set _ZL25flash_attn_mask_to_KV_maxILi2EEvPK7__half2Piiii.uses_flat_scratch, 0
	.set _ZL25flash_attn_mask_to_KV_maxILi2EEvPK7__half2Piiii.has_dyn_sized_stack, 0
	.set _ZL25flash_attn_mask_to_KV_maxILi2EEvPK7__half2Piiii.has_recursion, 0
	.set _ZL25flash_attn_mask_to_KV_maxILi2EEvPK7__half2Piiii.has_indirect_call, 0
	.section	.AMDGPU.csdata,"",@progbits
; Kernel info:
; codeLenInByte = 636
; TotalNumSgprs: 15
; NumVgprs: 7
; ScratchSize: 0
; MemoryBound: 0
; FloatMode: 240
; IeeeMode: 1
; LDSByteSize: 128 bytes/workgroup (compile time only)
; SGPRBlocks: 0
; VGPRBlocks: 0
; NumSGPRsForWavesPerEU: 15
; NumVGPRsForWavesPerEU: 7
; Occupancy: 16
; WaveLimiterHint : 0
; COMPUTE_PGM_RSRC2:SCRATCH_EN: 0
; COMPUTE_PGM_RSRC2:USER_SGPR: 2
; COMPUTE_PGM_RSRC2:TRAP_HANDLER: 0
; COMPUTE_PGM_RSRC2:TGID_X_EN: 1
; COMPUTE_PGM_RSRC2:TGID_Y_EN: 1
; COMPUTE_PGM_RSRC2:TGID_Z_EN: 0
; COMPUTE_PGM_RSRC2:TIDIG_COMP_CNT: 0
	.section	.text._ZL33flash_attn_stream_k_fixup_uniformILi256ELi2ELi8EEvPfPK15HIP_vector_typeIfLj2EEiiiiiiS1_IjLj3EES5_S5_,"axG",@progbits,_ZL33flash_attn_stream_k_fixup_uniformILi256ELi2ELi8EEvPfPK15HIP_vector_typeIfLj2EEiiiiiiS1_IjLj3EES5_S5_,comdat
	.globl	_ZL33flash_attn_stream_k_fixup_uniformILi256ELi2ELi8EEvPfPK15HIP_vector_typeIfLj2EEiiiiiiS1_IjLj3EES5_S5_ ; -- Begin function _ZL33flash_attn_stream_k_fixup_uniformILi256ELi2ELi8EEvPfPK15HIP_vector_typeIfLj2EEiiiiiiS1_IjLj3EES5_S5_
	.p2align	8
	.type	_ZL33flash_attn_stream_k_fixup_uniformILi256ELi2ELi8EEvPfPK15HIP_vector_typeIfLj2EEiiiiiiS1_IjLj3EES5_S5_,@function
_ZL33flash_attn_stream_k_fixup_uniformILi256ELi2ELi8EEvPfPK15HIP_vector_typeIfLj2EEiiiiiiS1_IjLj3EES5_S5_: ; @_ZL33flash_attn_stream_k_fixup_uniformILi256ELi2ELi8EEvPfPK15HIP_vector_typeIfLj2EEiiiiiiS1_IjLj3EES5_S5_
; %bb.0:
	s_clause 0x1
	s_load_b256 s[4:11], s[0:1], 0x1c
	s_load_b128 s[12:15], s[0:1], 0x3c
	s_wait_kmcnt 0x0
	s_mul_hi_u32 s2, s7, ttmp9
	s_delay_alu instid0(SALU_CYCLE_1) | instskip(NEXT) | instid1(SALU_CYCLE_1)
	s_add_co_i32 s2, ttmp9, s2
	s_lshr_b32 s2, s2, s8
	s_delay_alu instid0(SALU_CYCLE_1) | instskip(SKIP_2) | instid1(SALU_CYCLE_1)
	s_mul_i32 s3, s2, s9
	s_load_b64 s[8:9], s[0:1], 0x10
	s_sub_co_i32 s7, ttmp9, s3
	s_mul_hi_u32 s3, s7, s10
	s_delay_alu instid0(SALU_CYCLE_1) | instskip(NEXT) | instid1(SALU_CYCLE_1)
	s_add_co_i32 s3, s7, s3
	s_lshr_b32 s3, s3, s11
	s_delay_alu instid0(SALU_CYCLE_1) | instskip(NEXT) | instid1(SALU_CYCLE_1)
	s_mul_i32 s10, s3, s12
	s_sub_co_i32 s7, s7, s10
	s_delay_alu instid0(SALU_CYCLE_1) | instskip(NEXT) | instid1(SALU_CYCLE_1)
	s_mul_hi_u32 s10, s7, s13
	s_add_co_i32 s10, s7, s10
	s_delay_alu instid0(SALU_CYCLE_1) | instskip(NEXT) | instid1(SALU_CYCLE_1)
	s_lshr_b32 s12, s10, s14
	s_mul_i32 s10, s12, s15
	s_lshl_b32 s12, s12, 3
	s_sub_co_i32 s11, s7, s10
	s_and_b32 s7, ttmp7, 0xffff
	s_lshl_b32 s13, s11, 1
	s_lshr_b32 s10, ttmp7, 16
	s_add_co_i32 s13, s13, s7
	s_wait_kmcnt 0x0
	s_cmp_lt_i32 s13, s8
	s_cselect_b32 s13, -1, 0
	s_add_co_i32 s14, s12, s10
	s_delay_alu instid0(SALU_CYCLE_1) | instskip(SKIP_1) | instid1(SALU_CYCLE_1)
	s_cmp_lt_i32 s14, s5
	s_cselect_b32 s14, -1, 0
	s_and_b32 s13, s13, s14
	s_delay_alu instid0(SALU_CYCLE_1)
	s_and_not1_b32 vcc_lo, exec_lo, s13
	s_cbranch_vccnz .LBB7_6
; %bb.1:
	s_mul_i32 s2, s2, s8
	s_mul_i32 s5, s3, s5
	s_add_co_i32 s2, s2, s7
	s_delay_alu instid0(SALU_CYCLE_1) | instskip(NEXT) | instid1(SALU_CYCLE_1)
	s_mul_i32 s2, s2, s9
	s_add_co_i32 s8, s2, s10
	s_load_b128 s[0:3], s[0:1], 0x0
	s_add_co_i32 s5, s8, s5
	s_mul_i32 s8, s9, s11
	s_add_co_i32 s5, s5, s12
	s_lshl_b32 s8, s8, 9
	s_lshl_b32 s5, s5, 8
	s_delay_alu instid0(SALU_CYCLE_1)
	s_add_co_i32 s8, s8, s5
	s_lshl_b32 s5, s7, 3
	v_or_b32_e32 v1, s8, v0
	s_mul_i32 s8, s6, ttmp9
	s_wait_alu 0xfffe
	s_add_co_i32 s9, s8, s6
	s_wait_alu 0xfffe
	s_add_co_i32 s12, s9, -2
	v_ashrrev_i32_e32 v2, 31, v1
	s_delay_alu instid0(VALU_DEP_1) | instskip(SKIP_1) | instid1(VALU_DEP_1)
	v_lshlrev_b64_e32 v[1:2], 2, v[1:2]
	s_wait_kmcnt 0x0
	v_add_co_u32 v1, vcc_lo, s0, v1
	s_delay_alu instid0(VALU_DEP_1)
	v_add_co_ci_u32_e64 v2, null, s1, v2, vcc_lo
	s_add_co_i32 s0, s5, s10
	s_lshl_b32 s1, s9, 4
	global_load_b32 v5, v[1:2], off
	s_wait_alu 0xfffe
	s_add_co_i32 s0, s0, s1
	s_wait_alu 0xfffe
	s_add_co_i32 s0, s0, -16
	s_wait_alu 0xfffe
	s_ashr_i32 s1, s0, 31
	s_wait_alu 0xfffe
	s_lshl_b64 s[0:1], s[0:1], 3
	s_cmp_lt_i32 s12, s8
	s_wait_alu 0xfffe
	s_add_nc_u64 s[0:1], s[2:3], s[0:1]
	s_load_b32 s11, s[0:1], 0x4
	s_cbranch_scc1 .LBB7_4
; %bb.2:
	s_load_b32 s0, s[0:1], 0x0
	s_add_co_i32 s13, ttmp9, 1
	s_lshl_b32 s12, s4, 6
	s_mul_i32 s1, s6, s13
	s_lshl_b32 s6, s7, 11
	s_lshl_b32 s7, s10, 8
	s_wait_alu 0xfffe
	s_lshl_b32 s14, s1, 12
	s_add_co_i32 s6, s7, s6
	s_lshl_b32 s1, s1, 4
	s_add_co_i32 s14, s6, s14
	s_wait_alu 0xfffe
	s_add_co_i32 s1, s10, s1
	v_or_b32_e32 v0, s14, v0
	s_lshl_b32 s4, s4, 4
	s_ashr_i32 s13, s12, 31
	s_wait_alu 0xfffe
	s_add_co_i32 s1, s1, s4
	s_wait_kmcnt 0x0
	v_dual_mov_b32 v6, s11 :: v_dual_add_nc_u32 v3, 0xffffe000, v0
	s_lshl_b64 s[6:7], s[12:13], 2
	s_wait_alu 0xfffe
	s_add_co_i32 s4, s1, s5
	s_add_nc_u64 s[6:7], s[2:3], s[6:7]
	s_add_co_i32 s1, s9, -1
	s_sub_co_i32 s4, s4, 32
.LBB7_3:                                ; =>This Inner Loop Header: Depth=1
	v_ashrrev_i32_e32 v4, 31, v3
	s_ashr_i32 s5, s4, 31
	v_mov_b32_e32 v10, v6
	s_lshl_b64 s[10:11], s[4:5], 3
	s_wait_loadcnt 0x0
	v_mov_b32_e32 v9, v5
	v_lshlrev_b64_e32 v[7:8], 2, v[3:4]
	s_wait_alu 0xfffe
	s_add_nc_u64 s[10:11], s[2:3], s[10:11]
	v_max_num_f32_e64 v4, s0, s0
	s_load_b64 s[10:11], s[10:11], 0x0
	v_add_nc_u32_e32 v3, 0xfffff000, v3
	v_add_co_u32 v7, vcc_lo, s6, v7
	s_wait_alu 0xfffd
	v_add_co_ci_u32_e64 v8, null, s7, v8, vcc_lo
	v_readfirstlane_b32 s5, v4
	global_load_b32 v0, v[7:8], off
	s_wait_kmcnt 0x0
	v_max_num_f32_e64 v4, s10, s10
	s_delay_alu instid0(VALU_DEP_1) | instskip(SKIP_1) | instid1(SALU_CYCLE_3)
	v_readfirstlane_b32 s9, v4
	s_max_num_f32 s5, s5, s9
	s_sub_f32 s0, s0, s5
	s_sub_f32 s9, s10, s5
	s_wait_alu 0xfffe
	s_delay_alu instid0(SALU_CYCLE_1) | instskip(NEXT) | instid1(SALU_CYCLE_1)
	s_mul_f32 s10, s0, 0x3fb8aa3b
	s_mul_f32 s12, s9, 0x3fb8aa3b
	s_wait_alu 0xfffe
	s_delay_alu instid0(SALU_CYCLE_1)
	s_xor_b32 s13, s10, 0x80000000
	s_rndne_f32 s14, s10
	s_fmamk_f32 s13, s0, 0x3fb8aa3b, s13
	s_cmp_nlt_f32 s0, 0xc2ce8ed0
	s_rndne_f32 s15, s12
	s_wait_alu 0xfffe
	s_sub_f32 s10, s10, s14
	s_fmamk_f32 s13, s0, 0x32a5705f, s13
	s_cvt_i32_f32 s14, s14
	s_cselect_b32 vcc_lo, -1, 0
	s_cmp_ngt_f32 s0, 0x42b17218
	s_wait_alu 0xfffe
	s_add_f32 s10, s10, s13
	s_sub_f32 s13, s12, s15
	s_wait_alu 0xfffe
	s_delay_alu instid0(SALU_CYCLE_1) | instskip(SKIP_1) | instid1(TRANS32_DEP_1)
	v_s_exp_f32 s10, s10
	s_wait_alu 0xf1ff
	v_ldexp_f32 v4, s10, s14
	s_cvt_i32_f32 s10, s15
	s_delay_alu instid0(VALU_DEP_1) | instskip(SKIP_3) | instid1(VALU_DEP_1)
	v_cndmask_b32_e32 v4, 0, v4, vcc_lo
	s_cselect_b32 vcc_lo, -1, 0
	s_cmp_ge_f32 s0, 0xc1a00000
	s_wait_alu 0xfffe
	v_cndmask_b32_e32 v4, 0x7f800000, v4, vcc_lo
	s_cselect_b32 vcc_lo, -1, 0
	s_xor_b32 s0, s12, 0x80000000
	s_cmp_nlt_f32 s9, 0xc2ce8ed0
	s_wait_alu 0xfffe
	s_fmamk_f32 s0, s9, 0x3fb8aa3b, s0
	s_wait_alu 0xfffe
	s_delay_alu instid0(SALU_CYCLE_2) | instskip(SKIP_1) | instid1(SALU_CYCLE_2)
	s_fmamk_f32 s0, s9, 0x32a5705f, s0
	s_wait_alu 0xfffe
	s_add_f32 s0, s13, s0
	s_wait_alu 0xfffe
	s_delay_alu instid0(SALU_CYCLE_2) | instskip(SKIP_1) | instid1(TRANS32_DEP_1)
	v_s_exp_f32 s0, s0
	s_wait_alu 0xf1ff
	v_ldexp_f32 v7, s0, s10
	s_cselect_b32 s0, -1, 0
	s_cmp_ngt_f32 s9, 0x42b17218
	s_wait_alu 0xfffe
	s_delay_alu instid0(VALU_DEP_1) | instskip(SKIP_3) | instid1(VALU_DEP_1)
	v_cndmask_b32_e64 v7, 0, v7, s0
	s_cselect_b32 s0, -1, 0
	s_cmp_ge_f32 s9, 0xc1a00000
	s_wait_alu 0xfffe
	v_cndmask_b32_e64 v7, 0x7f800000, v7, s0
	s_cselect_b32 s0, -1, 0
	s_add_co_i32 s1, s1, -1
	s_add_co_i32 s4, s4, -16
	s_wait_alu 0xfffe
	s_cmp_le_i32 s1, s8
	v_cndmask_b32_e64 v7, 0, v7, s0
	s_mov_b32 s0, s5
	s_wait_loadcnt 0x0
	s_delay_alu instid0(VALU_DEP_1) | instskip(NEXT) | instid1(VALU_DEP_1)
	v_dual_mul_f32 v5, v0, v7 :: v_dual_cndmask_b32 v4, 0, v4
	v_dual_mul_f32 v8, s11, v7 :: v_dual_fmac_f32 v5, v9, v4
	s_delay_alu instid0(VALU_DEP_1) | instskip(NEXT) | instid1(VALU_DEP_1)
	v_mov_b32_e32 v6, v8
	v_fmac_f32_e32 v6, v10, v4
	s_cbranch_scc0 .LBB7_3
	s_branch .LBB7_5
.LBB7_4:
	s_wait_kmcnt 0x0
	v_mov_b32_e32 v6, s11
.LBB7_5:
	s_wait_loadcnt 0x0
	s_delay_alu instid0(VALU_DEP_1) | instskip(NEXT) | instid1(VALU_DEP_1)
	v_div_scale_f32 v0, null, v6, v6, v5
	v_rcp_f32_e32 v3, v0
	s_delay_alu instid0(TRANS32_DEP_1) | instskip(NEXT) | instid1(VALU_DEP_1)
	v_fma_f32 v4, -v0, v3, 1.0
	v_fmac_f32_e32 v3, v4, v3
	v_div_scale_f32 v4, vcc_lo, v5, v6, v5
	s_delay_alu instid0(VALU_DEP_1) | instskip(NEXT) | instid1(VALU_DEP_1)
	v_mul_f32_e32 v7, v4, v3
	v_fma_f32 v8, -v0, v7, v4
	s_delay_alu instid0(VALU_DEP_1) | instskip(NEXT) | instid1(VALU_DEP_1)
	v_fmac_f32_e32 v7, v8, v3
	v_fma_f32 v0, -v0, v7, v4
	s_wait_alu 0xfffd
	s_delay_alu instid0(VALU_DEP_1) | instskip(NEXT) | instid1(VALU_DEP_1)
	v_div_fmas_f32 v0, v0, v3, v7
	v_div_fixup_f32 v0, v0, v6, v5
	global_store_b32 v[1:2], v0, off
.LBB7_6:
	s_endpgm
	.section	.rodata,"a",@progbits
	.p2align	6, 0x0
	.amdhsa_kernel _ZL33flash_attn_stream_k_fixup_uniformILi256ELi2ELi8EEvPfPK15HIP_vector_typeIfLj2EEiiiiiiS1_IjLj3EES5_S5_
		.amdhsa_group_segment_fixed_size 0
		.amdhsa_private_segment_fixed_size 0
		.amdhsa_kernarg_size 76
		.amdhsa_user_sgpr_count 2
		.amdhsa_user_sgpr_dispatch_ptr 0
		.amdhsa_user_sgpr_queue_ptr 0
		.amdhsa_user_sgpr_kernarg_segment_ptr 1
		.amdhsa_user_sgpr_dispatch_id 0
		.amdhsa_user_sgpr_private_segment_size 0
		.amdhsa_wavefront_size32 1
		.amdhsa_uses_dynamic_stack 0
		.amdhsa_enable_private_segment 0
		.amdhsa_system_sgpr_workgroup_id_x 1
		.amdhsa_system_sgpr_workgroup_id_y 1
		.amdhsa_system_sgpr_workgroup_id_z 1
		.amdhsa_system_sgpr_workgroup_info 0
		.amdhsa_system_vgpr_workitem_id 0
		.amdhsa_next_free_vgpr 11
		.amdhsa_next_free_sgpr 16
		.amdhsa_reserve_vcc 1
		.amdhsa_float_round_mode_32 0
		.amdhsa_float_round_mode_16_64 0
		.amdhsa_float_denorm_mode_32 3
		.amdhsa_float_denorm_mode_16_64 3
		.amdhsa_fp16_overflow 0
		.amdhsa_workgroup_processor_mode 1
		.amdhsa_memory_ordered 1
		.amdhsa_forward_progress 1
		.amdhsa_inst_pref_size 9
		.amdhsa_round_robin_scheduling 0
		.amdhsa_exception_fp_ieee_invalid_op 0
		.amdhsa_exception_fp_denorm_src 0
		.amdhsa_exception_fp_ieee_div_zero 0
		.amdhsa_exception_fp_ieee_overflow 0
		.amdhsa_exception_fp_ieee_underflow 0
		.amdhsa_exception_fp_ieee_inexact 0
		.amdhsa_exception_int_div_zero 0
	.end_amdhsa_kernel
	.section	.text._ZL33flash_attn_stream_k_fixup_uniformILi256ELi2ELi8EEvPfPK15HIP_vector_typeIfLj2EEiiiiiiS1_IjLj3EES5_S5_,"axG",@progbits,_ZL33flash_attn_stream_k_fixup_uniformILi256ELi2ELi8EEvPfPK15HIP_vector_typeIfLj2EEiiiiiiS1_IjLj3EES5_S5_,comdat
.Lfunc_end7:
	.size	_ZL33flash_attn_stream_k_fixup_uniformILi256ELi2ELi8EEvPfPK15HIP_vector_typeIfLj2EEiiiiiiS1_IjLj3EES5_S5_, .Lfunc_end7-_ZL33flash_attn_stream_k_fixup_uniformILi256ELi2ELi8EEvPfPK15HIP_vector_typeIfLj2EEiiiiiiS1_IjLj3EES5_S5_
                                        ; -- End function
	.set _ZL33flash_attn_stream_k_fixup_uniformILi256ELi2ELi8EEvPfPK15HIP_vector_typeIfLj2EEiiiiiiS1_IjLj3EES5_S5_.num_vgpr, 11
	.set _ZL33flash_attn_stream_k_fixup_uniformILi256ELi2ELi8EEvPfPK15HIP_vector_typeIfLj2EEiiiiiiS1_IjLj3EES5_S5_.num_agpr, 0
	.set _ZL33flash_attn_stream_k_fixup_uniformILi256ELi2ELi8EEvPfPK15HIP_vector_typeIfLj2EEiiiiiiS1_IjLj3EES5_S5_.numbered_sgpr, 16
	.set _ZL33flash_attn_stream_k_fixup_uniformILi256ELi2ELi8EEvPfPK15HIP_vector_typeIfLj2EEiiiiiiS1_IjLj3EES5_S5_.num_named_barrier, 0
	.set _ZL33flash_attn_stream_k_fixup_uniformILi256ELi2ELi8EEvPfPK15HIP_vector_typeIfLj2EEiiiiiiS1_IjLj3EES5_S5_.private_seg_size, 0
	.set _ZL33flash_attn_stream_k_fixup_uniformILi256ELi2ELi8EEvPfPK15HIP_vector_typeIfLj2EEiiiiiiS1_IjLj3EES5_S5_.uses_vcc, 1
	.set _ZL33flash_attn_stream_k_fixup_uniformILi256ELi2ELi8EEvPfPK15HIP_vector_typeIfLj2EEiiiiiiS1_IjLj3EES5_S5_.uses_flat_scratch, 0
	.set _ZL33flash_attn_stream_k_fixup_uniformILi256ELi2ELi8EEvPfPK15HIP_vector_typeIfLj2EEiiiiiiS1_IjLj3EES5_S5_.has_dyn_sized_stack, 0
	.set _ZL33flash_attn_stream_k_fixup_uniformILi256ELi2ELi8EEvPfPK15HIP_vector_typeIfLj2EEiiiiiiS1_IjLj3EES5_S5_.has_recursion, 0
	.set _ZL33flash_attn_stream_k_fixup_uniformILi256ELi2ELi8EEvPfPK15HIP_vector_typeIfLj2EEiiiiiiS1_IjLj3EES5_S5_.has_indirect_call, 0
	.section	.AMDGPU.csdata,"",@progbits
; Kernel info:
; codeLenInByte = 1140
; TotalNumSgprs: 18
; NumVgprs: 11
; ScratchSize: 0
; MemoryBound: 0
; FloatMode: 240
; IeeeMode: 1
; LDSByteSize: 0 bytes/workgroup (compile time only)
; SGPRBlocks: 0
; VGPRBlocks: 1
; NumSGPRsForWavesPerEU: 18
; NumVGPRsForWavesPerEU: 11
; Occupancy: 16
; WaveLimiterHint : 0
; COMPUTE_PGM_RSRC2:SCRATCH_EN: 0
; COMPUTE_PGM_RSRC2:USER_SGPR: 2
; COMPUTE_PGM_RSRC2:TRAP_HANDLER: 0
; COMPUTE_PGM_RSRC2:TGID_X_EN: 1
; COMPUTE_PGM_RSRC2:TGID_Y_EN: 1
; COMPUTE_PGM_RSRC2:TGID_Z_EN: 1
; COMPUTE_PGM_RSRC2:TIDIG_COMP_CNT: 0
	.section	.text._ZL33flash_attn_stream_k_fixup_generalILi256ELi2ELi8EEvPfPK15HIP_vector_typeIfLj2EEiiiiS1_IjLj3EES5_S5_S5_,"axG",@progbits,_ZL33flash_attn_stream_k_fixup_generalILi256ELi2ELi8EEvPfPK15HIP_vector_typeIfLj2EEiiiiS1_IjLj3EES5_S5_S5_,comdat
	.globl	_ZL33flash_attn_stream_k_fixup_generalILi256ELi2ELi8EEvPfPK15HIP_vector_typeIfLj2EEiiiiS1_IjLj3EES5_S5_S5_ ; -- Begin function _ZL33flash_attn_stream_k_fixup_generalILi256ELi2ELi8EEvPfPK15HIP_vector_typeIfLj2EEiiiiS1_IjLj3EES5_S5_S5_
	.p2align	8
	.type	_ZL33flash_attn_stream_k_fixup_generalILi256ELi2ELi8EEvPfPK15HIP_vector_typeIfLj2EEiiiiS1_IjLj3EES5_S5_S5_,@function
_ZL33flash_attn_stream_k_fixup_generalILi256ELi2ELi8EEvPfPK15HIP_vector_typeIfLj2EEiiiiS1_IjLj3EES5_S5_S5_: ; @_ZL33flash_attn_stream_k_fixup_generalILi256ELi2ELi8EEvPfPK15HIP_vector_typeIfLj2EEiiiiS1_IjLj3EES5_S5_S5_
; %bb.0:
	s_clause 0x1
	s_load_b128 s[4:7], s[0:1], 0x10
	s_load_b32 s16, s[0:1], 0x50
	s_mov_b32 s2, ttmp9
	s_ashr_i32 s3, ttmp9, 31
	s_mov_b32 s17, 0
	s_delay_alu instid0(SALU_CYCLE_1) | instskip(SKIP_3) | instid1(SALU_CYCLE_1)
	s_mov_b32 s8, s17
	s_wait_kmcnt 0x0
	s_ashr_i32 s19, s7, 31
	s_mov_b32 s18, s7
	s_mul_u64 s[2:3], s[18:19], s[2:3]
	s_delay_alu instid0(SALU_CYCLE_1) | instskip(NEXT) | instid1(SALU_CYCLE_1)
	s_mov_b32 s9, s3
	s_cmp_lg_u64 s[8:9], 0
	s_cbranch_scc0 .LBB8_21
; %bb.1:
	s_add_nc_u64 s[8:9], s[16:17], 0
	s_mov_b32 s15, s17
	s_xor_b64 s[8:9], s[8:9], 0
	s_mov_b32 s23, s17
	s_cvt_f32_u32 s7, s8
	s_cvt_f32_u32 s10, s9
	s_sub_nc_u64 s[12:13], 0, s[8:9]
	s_delay_alu instid0(SALU_CYCLE_2) | instskip(NEXT) | instid1(SALU_CYCLE_3)
	s_fmamk_f32 s7, s10, 0x4f800000, s7
	v_s_rcp_f32 s7, s7
	s_delay_alu instid0(TRANS32_DEP_1) | instskip(SKIP_1) | instid1(SALU_CYCLE_2)
	s_mul_f32 s7, s7, 0x5f7ffffc
	s_wait_alu 0xfffe
	s_mul_f32 s10, s7, 0x2f800000
	s_delay_alu instid0(SALU_CYCLE_3) | instskip(NEXT) | instid1(SALU_CYCLE_3)
	s_trunc_f32 s10, s10
	s_fmamk_f32 s7, s10, 0xcf800000, s7
	s_cvt_u32_f32 s11, s10
	s_wait_alu 0xfffe
	s_delay_alu instid0(SALU_CYCLE_1) | instskip(NEXT) | instid1(SALU_CYCLE_3)
	s_cvt_u32_f32 s10, s7
	s_mul_u64 s[20:21], s[12:13], s[10:11]
	s_delay_alu instid0(SALU_CYCLE_1)
	s_mul_hi_u32 s25, s10, s21
	s_mul_i32 s24, s10, s21
	s_mul_hi_u32 s14, s10, s20
	s_mul_i32 s22, s11, s20
	s_add_nc_u64 s[14:15], s[14:15], s[24:25]
	s_mul_hi_u32 s7, s11, s20
	s_mul_hi_u32 s26, s11, s21
	s_add_co_u32 s14, s14, s22
	s_wait_alu 0xfffe
	s_add_co_ci_u32 s22, s15, s7
	s_mul_i32 s20, s11, s21
	s_add_co_ci_u32 s21, s26, 0
	s_delay_alu instid0(SALU_CYCLE_1)
	s_add_nc_u64 s[14:15], s[22:23], s[20:21]
	s_mov_b32 s21, s17
	s_add_co_u32 s10, s10, s14
	s_cselect_b32 s7, -1, 0
	s_wait_alu 0xfffe
	s_cmp_lg_u32 s7, 0
	s_add_co_ci_u32 s11, s11, s15
	s_mov_b32 s15, s17
	s_mul_u64 s[12:13], s[12:13], s[10:11]
	s_delay_alu instid0(SALU_CYCLE_1)
	s_mul_hi_u32 s23, s10, s13
	s_mul_i32 s22, s10, s13
	s_mul_hi_u32 s14, s10, s12
	s_mul_i32 s20, s11, s12
	s_add_nc_u64 s[14:15], s[14:15], s[22:23]
	s_mul_hi_u32 s7, s11, s12
	s_mul_hi_u32 s24, s11, s13
	s_mul_i32 s12, s11, s13
	s_add_co_u32 s13, s14, s20
	s_wait_alu 0xfffe
	s_add_co_ci_u32 s20, s15, s7
	s_add_co_ci_u32 s13, s24, 0
	s_mov_b32 s15, s17
	s_add_nc_u64 s[12:13], s[20:21], s[12:13]
	s_delay_alu instid0(SALU_CYCLE_1) | instskip(SKIP_1) | instid1(SALU_CYCLE_1)
	s_add_co_u32 s7, s10, s12
	s_cselect_b32 s10, -1, 0
	s_cmp_lg_u32 s10, 0
	s_add_co_ci_u32 s20, s11, s13
	s_ashr_i32 s10, s3, 31
	s_delay_alu instid0(SALU_CYCLE_1) | instskip(NEXT) | instid1(SALU_CYCLE_1)
	s_mov_b32 s11, s10
	s_add_nc_u64 s[12:13], s[2:3], s[10:11]
	s_delay_alu instid0(SALU_CYCLE_1) | instskip(NEXT) | instid1(SALU_CYCLE_1)
	s_xor_b64 s[12:13], s[12:13], s[10:11]
	s_mul_hi_u32 s23, s12, s20
	s_mul_i32 s22, s12, s20
	s_wait_alu 0xfffe
	s_mul_hi_u32 s14, s12, s7
	s_mul_hi_u32 s24, s13, s7
	s_mul_i32 s7, s13, s7
	s_add_nc_u64 s[14:15], s[14:15], s[22:23]
	s_mul_hi_u32 s3, s13, s20
	s_wait_alu 0xfffe
	s_add_co_u32 s7, s14, s7
	s_mul_i32 s22, s13, s20
	s_add_co_ci_u32 s20, s15, s24
	s_add_co_ci_u32 s23, s3, 0
	s_delay_alu instid0(SALU_CYCLE_1) | instskip(NEXT) | instid1(SALU_CYCLE_1)
	s_add_nc_u64 s[14:15], s[20:21], s[22:23]
	s_mul_u64 s[20:21], s[8:9], s[14:15]
	s_delay_alu instid0(SALU_CYCLE_1)
	s_sub_co_u32 s3, s12, s20
	s_cselect_b32 s7, -1, 0
	s_sub_co_i32 s12, s13, s21
	s_wait_alu 0xfffe
	s_cmp_lg_u32 s7, 0
	s_sub_co_ci_u32 s12, s12, s9
	s_sub_co_u32 s20, s3, s8
	s_cselect_b32 s22, -1, 0
	s_delay_alu instid0(SALU_CYCLE_1) | instskip(SKIP_2) | instid1(SALU_CYCLE_1)
	s_cmp_lg_u32 s22, 0
	s_add_nc_u64 s[22:23], s[14:15], 1
	s_sub_co_ci_u32 s12, s12, 0
	s_cmp_ge_u32 s12, s9
	s_cselect_b32 s24, -1, 0
	s_cmp_ge_u32 s20, s8
	s_cselect_b32 s20, -1, 0
	s_cmp_eq_u32 s12, s9
	s_cselect_b32 s12, s20, s24
	s_add_nc_u64 s[24:25], s[14:15], 2
	s_cmp_lg_u32 s12, 0
	s_cselect_b32 s12, s24, s22
	s_cselect_b32 s20, s25, s23
	s_cmp_lg_u32 s7, 0
	s_sub_co_ci_u32 s7, s13, s21
	s_wait_alu 0xfffe
	s_cmp_ge_u32 s7, s9
	s_cselect_b32 s13, -1, 0
	s_cmp_ge_u32 s3, s8
	s_cselect_b32 s3, -1, 0
	s_cmp_eq_u32 s7, s9
	s_cselect_b32 s3, s3, s13
	s_delay_alu instid0(SALU_CYCLE_1) | instskip(SKIP_4) | instid1(SALU_CYCLE_1)
	s_cmp_lg_u32 s3, 0
	s_mov_b32 s3, s17
	s_cselect_b32 s9, s20, s15
	s_cselect_b32 s8, s12, s14
	s_xor_b64 s[10:11], s[10:11], 0
	s_xor_b64 s[8:9], s[8:9], s[10:11]
	s_delay_alu instid0(SALU_CYCLE_1)
	s_sub_nc_u64 s[20:21], s[8:9], s[10:11]
	s_and_not1_b32 vcc_lo, exec_lo, s3
	s_cbranch_vccnz .LBB8_3
.LBB8_2:
	v_cvt_f32_u32_e32 v1, s16
	s_sub_co_i32 s7, 0, s16
	s_delay_alu instid0(VALU_DEP_1) | instskip(NEXT) | instid1(TRANS32_DEP_1)
	v_rcp_iflag_f32_e32 v1, v1
	v_mul_f32_e32 v1, 0x4f7ffffe, v1
	s_delay_alu instid0(VALU_DEP_1) | instskip(NEXT) | instid1(VALU_DEP_1)
	v_cvt_u32_f32_e32 v1, v1
	v_readfirstlane_b32 s3, v1
	s_wait_alu 0xfffe
	s_mul_i32 s7, s7, s3
	s_wait_alu 0xfffe
	s_mul_hi_u32 s7, s3, s7
	s_wait_alu 0xfffe
	s_add_co_i32 s3, s3, s7
	s_delay_alu instid0(SALU_CYCLE_1) | instskip(NEXT) | instid1(SALU_CYCLE_1)
	s_mul_hi_u32 s3, s2, s3
	s_mul_i32 s7, s3, s16
	s_wait_alu 0xfffe
	s_sub_co_i32 s2, s2, s7
	s_add_co_i32 s7, s3, 1
	s_sub_co_i32 s8, s2, s16
	s_cmp_ge_u32 s2, s16
	s_wait_alu 0xfffe
	s_cselect_b32 s3, s7, s3
	s_cselect_b32 s2, s8, s2
	s_add_co_i32 s7, s3, 1
	s_cmp_ge_u32 s2, s16
	s_wait_alu 0xfffe
	s_cselect_b32 s20, s7, s3
.LBB8_3:
	s_add_co_i32 s2, ttmp9, 1
	s_mov_b32 s8, 0
	s_ashr_i32 s3, s2, 31
	s_delay_alu instid0(SALU_CYCLE_1) | instskip(NEXT) | instid1(SALU_CYCLE_1)
	s_mul_u64 s[2:3], s[18:19], s[2:3]
	s_mov_b32 s9, s3
	s_delay_alu instid0(SALU_CYCLE_1)
	s_cmp_lg_u64 s[8:9], 0
	s_cbranch_scc0 .LBB8_22
; %bb.4:
	s_add_nc_u64 s[10:11], s[16:17], 0
	s_mov_b32 s23, s8
	s_xor_b64 s[10:11], s[10:11], 0
	s_mov_b32 s27, s8
	s_cvt_f32_u32 s7, s10
	s_cvt_f32_u32 s9, s11
	s_sub_nc_u64 s[14:15], 0, s[10:11]
	s_wait_alu 0xfffe
	s_delay_alu instid0(SALU_CYCLE_1) | instskip(SKIP_1) | instid1(SALU_CYCLE_2)
	s_fmamk_f32 s7, s9, 0x4f800000, s7
	s_wait_alu 0xfffe
	v_s_rcp_f32 s7, s7
	s_delay_alu instid0(TRANS32_DEP_1) | instskip(SKIP_1) | instid1(SALU_CYCLE_2)
	s_mul_f32 s7, s7, 0x5f7ffffc
	s_wait_alu 0xfffe
	s_mul_f32 s9, s7, 0x2f800000
	s_delay_alu instid0(SALU_CYCLE_3) | instskip(NEXT) | instid1(SALU_CYCLE_3)
	s_trunc_f32 s9, s9
	s_fmamk_f32 s7, s9, 0xcf800000, s7
	s_cvt_u32_f32 s13, s9
	s_wait_alu 0xfffe
	s_delay_alu instid0(SALU_CYCLE_1) | instskip(NEXT) | instid1(SALU_CYCLE_3)
	s_cvt_u32_f32 s12, s7
	s_mul_u64 s[24:25], s[14:15], s[12:13]
	s_delay_alu instid0(SALU_CYCLE_1)
	s_mul_hi_u32 s29, s12, s25
	s_mul_i32 s28, s12, s25
	s_mul_hi_u32 s22, s12, s24
	s_mul_i32 s9, s13, s24
	s_add_nc_u64 s[22:23], s[22:23], s[28:29]
	s_mul_hi_u32 s7, s13, s24
	s_mul_hi_u32 s21, s13, s25
	s_add_co_u32 s9, s22, s9
	s_wait_alu 0xfffe
	s_add_co_ci_u32 s26, s23, s7
	s_mul_i32 s24, s13, s25
	s_add_co_ci_u32 s25, s21, 0
	s_delay_alu instid0(SALU_CYCLE_1)
	s_add_nc_u64 s[22:23], s[26:27], s[24:25]
	s_mov_b32 s25, s8
	s_add_co_u32 s12, s12, s22
	s_cselect_b32 s7, -1, 0
	s_wait_alu 0xfffe
	s_cmp_lg_u32 s7, 0
	s_add_co_ci_u32 s13, s13, s23
	s_mov_b32 s23, s8
	s_mul_u64 s[14:15], s[14:15], s[12:13]
	s_delay_alu instid0(SALU_CYCLE_1)
	s_mul_hi_u32 s27, s12, s15
	s_mul_i32 s26, s12, s15
	s_mul_hi_u32 s22, s12, s14
	s_mul_i32 s9, s13, s14
	s_add_nc_u64 s[22:23], s[22:23], s[26:27]
	s_mul_hi_u32 s7, s13, s14
	s_mul_hi_u32 s21, s13, s15
	s_add_co_u32 s9, s22, s9
	s_wait_alu 0xfffe
	s_add_co_ci_u32 s24, s23, s7
	s_mul_i32 s14, s13, s15
	s_add_co_ci_u32 s15, s21, 0
	s_mov_b32 s23, s8
	s_add_nc_u64 s[14:15], s[24:25], s[14:15]
	s_delay_alu instid0(SALU_CYCLE_1) | instskip(SKIP_1) | instid1(SALU_CYCLE_1)
	s_add_co_u32 s7, s12, s14
	s_cselect_b32 s9, -1, 0
	s_cmp_lg_u32 s9, 0
	s_add_co_ci_u32 s9, s13, s15
	s_ashr_i32 s12, s3, 31
	s_delay_alu instid0(SALU_CYCLE_1) | instskip(NEXT) | instid1(SALU_CYCLE_1)
	s_mov_b32 s13, s12
	s_add_nc_u64 s[14:15], s[2:3], s[12:13]
	s_delay_alu instid0(SALU_CYCLE_1) | instskip(NEXT) | instid1(SALU_CYCLE_1)
	s_xor_b64 s[14:15], s[14:15], s[12:13]
	s_mul_hi_u32 s27, s14, s9
	s_mul_i32 s26, s14, s9
	s_wait_alu 0xfffe
	s_mul_hi_u32 s22, s14, s7
	s_mul_hi_u32 s21, s15, s7
	s_mul_i32 s7, s15, s7
	s_add_nc_u64 s[22:23], s[22:23], s[26:27]
	s_mul_hi_u32 s3, s15, s9
	s_wait_alu 0xfffe
	s_add_co_u32 s7, s22, s7
	s_add_co_ci_u32 s24, s23, s21
	s_mul_i32 s26, s15, s9
	s_add_co_ci_u32 s27, s3, 0
	s_delay_alu instid0(SALU_CYCLE_1) | instskip(NEXT) | instid1(SALU_CYCLE_1)
	s_add_nc_u64 s[22:23], s[24:25], s[26:27]
	s_mul_u64 s[24:25], s[10:11], s[22:23]
	s_add_nc_u64 s[26:27], s[22:23], 1
	s_sub_co_u32 s3, s14, s24
	s_cselect_b32 s7, -1, 0
	s_sub_co_i32 s9, s15, s25
	s_wait_alu 0xfffe
	s_cmp_lg_u32 s7, 0
	s_add_nc_u64 s[28:29], s[22:23], 2
	s_sub_co_ci_u32 s9, s9, s11
	s_sub_co_u32 s14, s3, s10
	s_cselect_b32 s21, -1, 0
	s_delay_alu instid0(SALU_CYCLE_1) | instskip(SKIP_1) | instid1(SALU_CYCLE_1)
	s_cmp_lg_u32 s21, 0
	s_sub_co_ci_u32 s9, s9, 0
	s_cmp_ge_u32 s9, s11
	s_cselect_b32 s21, -1, 0
	s_cmp_ge_u32 s14, s10
	s_cselect_b32 s14, -1, 0
	s_cmp_eq_u32 s9, s11
	s_cselect_b32 s9, s14, s21
	s_delay_alu instid0(SALU_CYCLE_1)
	s_cmp_lg_u32 s9, 0
	s_cselect_b32 s9, s28, s26
	s_cselect_b32 s14, s29, s27
	s_cmp_lg_u32 s7, 0
	s_sub_co_ci_u32 s7, s15, s25
	s_wait_alu 0xfffe
	s_cmp_ge_u32 s7, s11
	s_cselect_b32 s15, -1, 0
	s_cmp_ge_u32 s3, s10
	s_cselect_b32 s3, -1, 0
	s_cmp_eq_u32 s7, s11
	s_cselect_b32 s3, s3, s15
	s_delay_alu instid0(SALU_CYCLE_1) | instskip(SKIP_3) | instid1(SALU_CYCLE_1)
	s_cmp_lg_u32 s3, 0
	s_cselect_b32 s11, s14, s23
	s_cselect_b32 s10, s9, s22
	s_xor_b64 s[12:13], s[12:13], 0
	s_xor_b64 s[10:11], s[10:11], s[12:13]
	s_delay_alu instid0(SALU_CYCLE_1)
	s_sub_nc_u64 s[10:11], s[10:11], s[12:13]
	s_load_b96 s[12:14], s[0:1], 0x44
	s_and_not1_b32 vcc_lo, exec_lo, s8
	s_cbranch_vccnz .LBB8_6
.LBB8_5:
	v_cvt_f32_u32_e32 v1, s16
	s_sub_co_i32 s7, 0, s16
	s_delay_alu instid0(VALU_DEP_1) | instskip(NEXT) | instid1(TRANS32_DEP_1)
	v_rcp_iflag_f32_e32 v1, v1
	v_mul_f32_e32 v1, 0x4f7ffffe, v1
	s_delay_alu instid0(VALU_DEP_1) | instskip(NEXT) | instid1(VALU_DEP_1)
	v_cvt_u32_f32_e32 v1, v1
	v_readfirstlane_b32 s3, v1
	s_wait_alu 0xfffe
	s_mul_i32 s7, s7, s3
	s_wait_alu 0xfffe
	s_mul_hi_u32 s7, s3, s7
	s_wait_alu 0xfffe
	s_add_co_i32 s3, s3, s7
	s_delay_alu instid0(SALU_CYCLE_1) | instskip(NEXT) | instid1(SALU_CYCLE_1)
	s_mul_hi_u32 s3, s2, s3
	s_mul_i32 s7, s3, s16
	s_wait_alu 0xfffe
	s_sub_co_i32 s2, s2, s7
	s_add_co_i32 s7, s3, 1
	s_sub_co_i32 s8, s2, s16
	s_cmp_ge_u32 s2, s16
	s_wait_alu 0xfffe
	s_cselect_b32 s3, s7, s3
	s_cselect_b32 s2, s8, s2
	s_add_co_i32 s7, s3, 1
	s_cmp_ge_u32 s2, s16
	s_wait_alu 0xfffe
	s_cselect_b32 s10, s7, s3
.LBB8_6:
	s_mov_b32 s21, 0
	s_wait_kmcnt 0x0
	s_mov_b32 s22, s12
	s_mov_b32 s23, s21
	s_cmp_eq_u32 s20, s10
	s_mul_u64 s[2:3], s[20:21], s[22:23]
	s_cselect_b32 s7, -1, 0
	s_add_co_i32 s2, s3, s20
	s_mov_b32 s11, s21
	s_lshr_b32 s12, s2, s13
	s_mul_u64 s[2:3], s[10:11], s[22:23]
	s_mul_i32 s2, s12, s14
	s_delay_alu instid0(SALU_CYCLE_1) | instskip(SKIP_2) | instid1(SALU_CYCLE_1)
	s_cmp_eq_u32 s2, s20
	s_cselect_b32 s2, -1, 0
	s_add_co_i32 s3, s3, s10
	s_lshr_b32 s3, s3, s13
	s_delay_alu instid0(SALU_CYCLE_1)
	s_cmp_eq_u32 s12, s3
	s_mul_i32 s3, s3, s14
	s_cselect_b32 s8, -1, 0
	s_cmp_lg_u32 s3, s10
	s_cselect_b32 s3, -1, 0
	s_wait_alu 0xfffe
	s_or_b32 s2, s7, s2
	s_and_b32 s3, s8, s3
	s_delay_alu instid0(SALU_CYCLE_1) | instskip(NEXT) | instid1(SALU_CYCLE_1)
	s_or_b32 s2, s2, s3
	s_and_b32 vcc_lo, exec_lo, s2
	s_cbranch_vccnz .LBB8_24
; %bb.7:
	s_load_b256 s[24:31], s[0:1], 0x20
	s_mov_b32 s3, s21
	s_wait_kmcnt 0x0
	s_mov_b32 s2, s24
	s_delay_alu instid0(SALU_CYCLE_1) | instskip(NEXT) | instid1(SALU_CYCLE_1)
	s_mul_u64 s[2:3], s[20:21], s[2:3]
	s_add_co_i32 s2, s3, s20
	s_delay_alu instid0(SALU_CYCLE_1) | instskip(SKIP_2) | instid1(SALU_CYCLE_1)
	s_lshr_b32 s7, s2, s25
	s_load_b32 s2, s[0:1], 0x40
	s_mul_i32 s3, s7, s26
	s_sub_co_i32 s3, s20, s3
	s_delay_alu instid0(SALU_CYCLE_1) | instskip(NEXT) | instid1(SALU_CYCLE_1)
	s_mul_hi_u32 s8, s3, s27
	s_add_co_i32 s8, s3, s8
	s_delay_alu instid0(SALU_CYCLE_1) | instskip(NEXT) | instid1(SALU_CYCLE_1)
	s_lshr_b32 s8, s8, s28
	s_mul_i32 s9, s8, s29
	s_delay_alu instid0(SALU_CYCLE_1) | instskip(NEXT) | instid1(SALU_CYCLE_1)
	s_sub_co_i32 s9, s3, s9
	s_mul_hi_u32 s3, s9, s30
	s_delay_alu instid0(SALU_CYCLE_1) | instskip(NEXT) | instid1(SALU_CYCLE_1)
	s_add_co_i32 s3, s9, s3
	s_lshr_b32 s24, s3, s31
	s_mov_b32 s3, s21
	s_wait_kmcnt 0x0
	s_mul_i32 s2, s24, s2
	s_lshl_b32 s21, s24, 3
	s_sub_co_i32 s2, s9, s2
	s_delay_alu instid0(SALU_CYCLE_1) | instskip(SKIP_2) | instid1(SALU_CYCLE_1)
	s_mul_u64 s[10:11], s[2:3], s[22:23]
	s_lshr_b32 s3, ttmp7, 16
	s_add_co_i32 s2, s2, s11
	s_lshr_b32 s15, s2, s13
	s_and_b32 s2, ttmp7, 0xffff
	s_lshl_b32 s9, s15, 1
	s_delay_alu instid0(SALU_CYCLE_1) | instskip(NEXT) | instid1(SALU_CYCLE_1)
	s_add_co_i32 s9, s9, s2
	s_cmp_lt_i32 s9, s4
	s_cselect_b32 s9, -1, 0
	s_add_co_i32 s10, s21, s3
	s_delay_alu instid0(SALU_CYCLE_1) | instskip(SKIP_1) | instid1(SALU_CYCLE_1)
	s_cmp_lt_i32 s10, s6
	s_cselect_b32 s10, -1, 0
	s_and_b32 s9, s9, s10
	s_delay_alu instid0(SALU_CYCLE_1)
	s_and_not1_b32 vcc_lo, exec_lo, s9
	s_cbranch_vccnz .LBB8_24
; %bb.8:
	s_mul_i32 s4, s7, s4
	s_mul_i32 s6, s8, s6
	s_add_co_i32 s4, s4, s2
	s_load_b128 s[8:11], s[0:1], 0x0
	s_mul_i32 s4, s4, s5
	s_mul_i32 s1, s5, s15
	s_add_co_i32 s4, s4, s3
	s_lshl_b32 s1, s1, 9
	s_add_co_i32 s0, s4, s6
	s_lshl_b32 s15, s2, 3
	s_add_co_i32 s0, s0, s21
	s_add_co_i32 s15, s15, s3
	s_lshl_b32 s0, s0, 8
	v_cvt_f32_u32_e32 v4, s16
	s_add_co_i32 s1, s1, s0
	s_add_co_i32 s34, ttmp9, -1
	v_or_b32_e32 v1, s1, v0
	s_add_nc_u64 s[0:1], s[16:17], 0
	v_rcp_iflag_f32_e32 v4, v4
	s_wait_alu 0xfffe
	s_xor_b64 s[6:7], s[0:1], 0
	s_lshl_b32 s0, ttmp9, 4
	v_ashrrev_i32_e32 v2, 31, v1
	s_wait_alu 0xfffe
	s_cvt_f32_u32 s1, s6
	s_cvt_f32_u32 s2, s7
	s_add_co_i32 s0, s15, s0
	v_lshl_or_b32 v0, s15, 8, v0
	v_lshlrev_b64_e32 v[1:2], 2, v[1:2]
	s_wait_alu 0xfffe
	s_fmamk_f32 s2, s2, 0x4f800000, s1
	s_ashr_i32 s1, s0, 31
	s_sub_nc_u64 s[30:31], 0, s[6:7]
	s_wait_alu 0xfffe
	s_lshl_b64 s[0:1], s[0:1], 3
	v_s_rcp_f32 s2, s2
	s_wait_kmcnt 0x0
	v_add_co_u32 v1, vcc_lo, s8, v1
	s_delay_alu instid0(VALU_DEP_1)
	v_add_co_ci_u32_e64 v2, null, s9, v2, vcc_lo
	s_wait_alu 0xfffe
	s_add_nc_u64 s[0:1], s[10:11], s[0:1]
	s_mov_b32 s8, 0
	s_load_b64 s[26:27], s[0:1], 0x0
	global_load_b32 v3, v[1:2], off
	s_mul_f32 s2, s2, 0x5f7ffffc
	v_mul_f32_e32 v4, 0x4f7ffffe, v4
	s_lshl_b32 s0, s16, 6
	s_wait_alu 0xfffe
	s_mul_f32 s1, s2, 0x2f800000
	s_wait_alu 0xfffe
	s_delay_alu instid0(SALU_CYCLE_2)
	s_trunc_f32 s3, s1
	s_mov_b32 s1, s8
	s_wait_alu 0xfffe
	s_lshl_b64 s[0:1], s[0:1], 2
	s_fmamk_f32 s2, s3, 0xcf800000, s2
	s_cvt_u32_f32 s29, s3
	s_wait_alu 0xfffe
	s_add_nc_u64 s[24:25], s[10:11], s[0:1]
	s_cvt_u32_f32 s28, s2
	s_wait_kmcnt 0x0
	v_mov_b32_e32 v5, s27
	v_cvt_u32_f32_e32 v4, v4
.LBB8_9:                                ; =>This Inner Loop Header: Depth=1
	s_wait_alu 0xfffe
	s_ashr_i32 s35, s34, 31
	s_mov_b32 s2, -1
	s_wait_alu 0xfffe
	s_mul_u64 s[0:1], s[34:35], s[18:19]
                                        ; implicit-def: $sgpr38_sgpr39
	s_wait_alu 0xfffe
	s_mov_b32 s9, s1
	s_wait_alu 0xfffe
	s_cmp_lg_u64 s[8:9], 0
	s_cbranch_scc0 .LBB8_11
; %bb.10:                               ;   in Loop: Header=BB8_9 Depth=1
	s_mul_u64 s[2:3], s[30:31], s[28:29]
	s_mov_b32 s37, s8
	s_wait_alu 0xfffe
	s_mul_hi_u32 s5, s28, s3
	s_mul_i32 s4, s28, s3
	s_mul_hi_u32 s36, s28, s2
	s_mul_hi_u32 s9, s29, s2
	s_wait_alu 0xfffe
	s_add_nc_u64 s[4:5], s[36:37], s[4:5]
	s_mul_i32 s2, s29, s2
	s_mul_hi_u32 s17, s29, s3
	s_wait_alu 0xfffe
	s_add_co_u32 s2, s4, s2
	s_add_co_ci_u32 s2, s5, s9
	s_add_co_ci_u32 s5, s17, 0
	s_mul_i32 s4, s29, s3
	s_mov_b32 s3, s8
	s_mov_b32 s39, s8
	s_wait_alu 0xfffe
	s_add_nc_u64 s[2:3], s[2:3], s[4:5]
	s_wait_alu 0xfffe
	s_add_co_u32 s2, s28, s2
	s_cselect_b32 s4, -1, 0
	s_wait_alu 0xfffe
	s_cmp_lg_u32 s4, 0
	s_add_co_ci_u32 s3, s29, s3
	s_wait_alu 0xfffe
	s_mul_u64 s[4:5], s[30:31], s[2:3]
	s_wait_alu 0xfffe
	s_mul_hi_u32 s37, s2, s5
	s_mul_i32 s36, s2, s5
	s_mul_hi_u32 s38, s2, s4
	s_mul_hi_u32 s9, s3, s4
	s_mul_i32 s4, s3, s4
	s_wait_alu 0xfffe
	s_add_nc_u64 s[36:37], s[38:39], s[36:37]
	s_mul_hi_u32 s17, s3, s5
	s_wait_alu 0xfffe
	s_add_co_u32 s4, s36, s4
	s_add_co_ci_u32 s4, s37, s9
	s_add_co_ci_u32 s37, s17, 0
	s_mul_i32 s36, s3, s5
	s_mov_b32 s5, s8
	s_wait_alu 0xfffe
	s_add_nc_u64 s[4:5], s[4:5], s[36:37]
	s_mov_b32 s37, s8
	s_wait_alu 0xfffe
	s_add_co_u32 s9, s2, s4
	s_cselect_b32 s2, -1, 0
	s_wait_alu 0xfffe
	s_cmp_lg_u32 s2, 0
	s_add_co_ci_u32 s17, s3, s5
	s_ashr_i32 s2, s1, 31
	s_wait_alu 0xfffe
	s_mov_b32 s3, s2
	s_wait_alu 0xfffe
	s_add_nc_u64 s[4:5], s[0:1], s[2:3]
	s_wait_alu 0xfffe
	s_xor_b64 s[4:5], s[4:5], s[2:3]
	s_wait_alu 0xfffe
	s_mul_hi_u32 s39, s4, s17
	s_mul_i32 s38, s4, s17
	s_mul_hi_u32 s36, s4, s9
	s_mul_i32 s21, s5, s9
	s_wait_alu 0xfffe
	s_add_nc_u64 s[36:37], s[36:37], s[38:39]
	s_mul_hi_u32 s9, s5, s9
	s_mul_hi_u32 s1, s5, s17
	s_wait_alu 0xfffe
	s_add_co_u32 s21, s36, s21
	s_add_co_ci_u32 s36, s37, s9
	s_add_co_ci_u32 s39, s1, 0
	s_mul_i32 s38, s5, s17
	s_mov_b32 s37, s8
	s_wait_alu 0xfffe
	s_add_nc_u64 s[36:37], s[36:37], s[38:39]
	s_wait_alu 0xfffe
	s_mul_u64 s[38:39], s[6:7], s[36:37]
	s_add_nc_u64 s[40:41], s[36:37], 1
	s_sub_co_u32 s1, s4, s38
	s_cselect_b32 s4, -1, 0
	s_sub_co_i32 s9, s5, s39
	s_wait_alu 0xfffe
	s_cmp_lg_u32 s4, 0
	s_add_nc_u64 s[42:43], s[36:37], 2
	s_sub_co_ci_u32 s9, s9, s7
	s_sub_co_u32 s17, s1, s6
	s_cselect_b32 s21, -1, 0
	s_delay_alu instid0(SALU_CYCLE_1)
	s_cmp_lg_u32 s21, 0
	s_wait_alu 0xfffe
	s_sub_co_ci_u32 s9, s9, 0
	s_wait_alu 0xfffe
	s_cmp_ge_u32 s9, s7
	s_cselect_b32 s21, -1, 0
	s_cmp_ge_u32 s17, s6
	s_cselect_b32 s17, -1, 0
	s_cmp_eq_u32 s9, s7
	s_wait_alu 0xfffe
	s_cselect_b32 s9, s17, s21
	s_wait_alu 0xfffe
	s_cmp_lg_u32 s9, 0
	s_cselect_b32 s9, s42, s40
	s_cselect_b32 s17, s43, s41
	s_cmp_lg_u32 s4, 0
	s_sub_co_ci_u32 s4, s5, s39
	s_wait_alu 0xfffe
	s_cmp_ge_u32 s4, s7
	s_cselect_b32 s5, -1, 0
	s_cmp_ge_u32 s1, s6
	s_cselect_b32 s1, -1, 0
	s_cmp_eq_u32 s4, s7
	s_wait_alu 0xfffe
	s_cselect_b32 s1, s1, s5
	s_wait_alu 0xfffe
	s_cmp_lg_u32 s1, 0
	s_cselect_b32 s5, s17, s37
	s_cselect_b32 s4, s9, s36
	s_xor_b64 s[2:3], s[2:3], 0
	s_wait_alu 0xfffe
	s_xor_b64 s[4:5], s[4:5], s[2:3]
	s_wait_alu 0xfffe
	s_sub_nc_u64 s[38:39], s[4:5], s[2:3]
	s_mov_b32 s2, 0
.LBB8_11:                               ;   in Loop: Header=BB8_9 Depth=1
	s_wait_alu 0xfffe
	s_and_not1_b32 vcc_lo, exec_lo, s2
	s_wait_alu 0xfffe
	s_cbranch_vccnz .LBB8_13
; %bb.12:                               ;   in Loop: Header=BB8_9 Depth=1
	v_readfirstlane_b32 s1, v4
	s_sub_co_i32 s2, 0, s16
	s_wait_alu 0xfffe
	s_mul_i32 s2, s2, s1
	s_wait_alu 0xfffe
	s_mul_hi_u32 s2, s1, s2
	s_wait_alu 0xfffe
	s_add_co_i32 s1, s1, s2
	s_wait_alu 0xfffe
	s_mul_hi_u32 s1, s0, s1
	s_wait_alu 0xfffe
	s_mul_i32 s2, s1, s16
	s_wait_alu 0xfffe
	s_sub_co_i32 s0, s0, s2
	s_add_co_i32 s2, s1, 1
	s_wait_alu 0xfffe
	s_sub_co_i32 s3, s0, s16
	s_cmp_ge_u32 s0, s16
	s_cselect_b32 s1, s2, s1
	s_wait_alu 0xfffe
	s_cselect_b32 s0, s3, s0
	s_add_co_i32 s2, s1, 1
	s_wait_alu 0xfffe
	s_cmp_ge_u32 s0, s16
	s_cselect_b32 s38, s2, s1
.LBB8_13:                               ;   in Loop: Header=BB8_9 Depth=1
	v_readfirstlane_b32 s9, v0
	s_cmp_lg_u32 s20, s38
	s_mov_b32 s0, -1
                                        ; implicit-def: $sgpr21
                                        ; implicit-def: $vgpr6
                                        ; implicit-def: $vgpr7
                                        ; implicit-def: $sgpr17
                                        ; implicit-def: $sgpr27
	s_cbranch_scc1 .LBB8_16
; %bb.14:                               ;   in Loop: Header=BB8_9 Depth=1
	s_wait_alu 0xfffe
	s_and_not1_b32 vcc_lo, exec_lo, s0
	s_wait_alu 0xfffe
	s_cbranch_vccz .LBB8_19
.LBB8_15:                               ;   in Loop: Header=BB8_9 Depth=1
	s_and_not1_b32 vcc_lo, exec_lo, s21
	s_wait_alu 0xfffe
	s_cbranch_vccnz .LBB8_20
	s_branch .LBB8_23
.LBB8_16:                               ;   in Loop: Header=BB8_9 Depth=1
	s_add_co_i32 s0, s34, s16
	s_mov_b32 s1, s8
	s_wait_alu 0xfffe
	s_lshl_b32 s0, s0, 4
	v_max_num_f32_e64 v6, s26, s26
	s_wait_alu 0xfffe
	s_add_co_i32 s0, s0, s15
	s_mov_b32 s39, s8
	s_wait_alu 0xfffe
	s_lshl_b64 s[0:1], s[0:1], 3
	s_mul_u64 s[40:41], s[38:39], s[22:23]
	s_wait_alu 0xfffe
	s_add_nc_u64 s[0:1], s[10:11], s[0:1]
	s_mov_b32 s27, s20
	s_load_b64 s[36:37], s[0:1], 0x0
	v_readfirstlane_b32 s0, v6
	s_wait_kmcnt 0x0
	v_max_num_f32_e64 v7, s36, s36
	s_delay_alu instid0(VALU_DEP_1) | instskip(SKIP_2) | instid1(SALU_CYCLE_2)
	v_readfirstlane_b32 s1, v7
	s_max_num_f32 s9, s0, s1
	s_wait_alu 0xfffe
	s_sub_f32 s33, s26, s9
	s_sub_f32 s35, s36, s9
	s_wait_alu 0xfffe
	s_delay_alu instid0(SALU_CYCLE_1)
	s_cmp_nlt_f32 s33, 0xc2ce8ed0
	s_cselect_b32 s0, -1, 0
	s_cmp_ngt_f32 s33, 0x42b17218
	s_cselect_b32 s1, -1, 0
	s_cmp_ge_f32 s33, 0xc1a00000
	s_cselect_b32 s2, -1, 0
	s_cmp_nlt_f32 s35, 0xc2ce8ed0
	s_cselect_b32 s3, -1, 0
	s_cmp_ngt_f32 s35, 0x42b17218
	s_cselect_b32 s4, -1, 0
	s_cmp_ge_f32 s35, 0xc1a00000
	s_cselect_b32 s5, -1, 0
	s_add_co_i32 s17, s41, s38
	s_wait_alu 0xfffe
	s_lshr_b32 s17, s17, s13
	s_wait_alu 0xfffe
	s_mul_i32 s21, s17, s14
	s_delay_alu instid0(SALU_CYCLE_1)
	s_cmp_eq_u32 s21, s38
	s_cselect_b32 s21, -1, 0
	s_cmp_lt_u32 s17, s12
	s_cselect_b32 s17, -1, 0
	s_wait_alu 0xfffe
	s_or_b32 s17, s17, s21
	s_mov_b32 s21, -1
	s_wait_alu 0xfffe
	s_and_b32 vcc_lo, exec_lo, s17
	s_mov_b32 s17, s34
	s_wait_alu 0xfffe
	s_cbranch_vccnz .LBB8_18
; %bb.17:                               ;   in Loop: Header=BB8_9 Depth=1
	s_add_co_i32 s17, s34, -1
	s_mov_b32 s21, 0
	s_mov_b32 s27, s38
.LBB8_18:                               ;   in Loop: Header=BB8_9 Depth=1
	v_lshl_add_u32 v6, s34, 12, v0
	s_mul_f32 s36, s35, 0x3fb8aa3b
	s_mul_f32 s38, s33, 0x3fb8aa3b
	s_wait_alu 0xfffe
	s_delay_alu instid0(SALU_CYCLE_1)
	s_xor_b32 s39, s36, 0x80000000
	v_ashrrev_i32_e32 v7, 31, v6
	s_rndne_f32 s40, s36
	s_fmamk_f32 s39, s35, 0x3fb8aa3b, s39
	s_xor_b32 s41, s38, 0x80000000
	s_rndne_f32 s42, s38
	v_lshlrev_b64_e32 v[6:7], 2, v[6:7]
	s_sub_f32 s36, s36, s40
	s_fmamk_f32 s35, s35, 0x32a5705f, s39
	s_fmamk_f32 s39, s33, 0x3fb8aa3b, s41
	s_sub_f32 s38, s38, s42
	s_delay_alu instid0(VALU_DEP_1)
	v_add_co_u32 v6, vcc_lo, s24, v6
	s_wait_alu 0xfffd
	v_add_co_ci_u32_e64 v7, null, s25, v7, vcc_lo
	s_wait_alu 0xfffe
	s_add_f32 s35, s36, s35
	s_fmamk_f32 s33, s33, 0x32a5705f, s39
	s_cvt_i32_f32 s36, s40
	global_load_b32 v6, v[6:7], off
	s_wait_alu 0xfffe
	v_s_exp_f32 s35, s35
	s_add_f32 s33, s38, s33
	s_wait_alu 0xfffe
	s_delay_alu instid0(SALU_CYCLE_2) | instskip(NEXT) | instid1(TRANS32_DEP_2)
	v_s_exp_f32 s33, s33
	v_ldexp_f32 v7, s35, s36
	s_cvt_i32_f32 s35, s42
	s_wait_alu 0xf1fe
	s_delay_alu instid0(TRANS32_DEP_1) | instid1(SALU_CYCLE_2)
	v_ldexp_f32 v8, s33, s35
	s_delay_alu instid0(VALU_DEP_2) | instskip(NEXT) | instid1(VALU_DEP_2)
	v_cndmask_b32_e64 v7, 0, v7, s3
	v_cndmask_b32_e64 v8, 0, v8, s0
	s_delay_alu instid0(VALU_DEP_2) | instskip(NEXT) | instid1(VALU_DEP_2)
	v_cndmask_b32_e64 v7, 0x7f800000, v7, s4
	v_cndmask_b32_e64 v8, 0x7f800000, v8, s1
	;; [unrolled: 3-line block ×3, first 2 shown]
	s_wait_loadcnt 0x0
	s_delay_alu instid0(VALU_DEP_2) | instskip(SKIP_1) | instid1(VALU_DEP_1)
	v_mul_f32_e32 v6, v6, v7
	v_mul_f32_e32 v7, s37, v7
	v_fmac_f32_e32 v7, v5, v8
	s_delay_alu instid0(VALU_DEP_3)
	v_fmac_f32_e32 v6, v3, v8
	s_cbranch_execnz .LBB8_15
.LBB8_19:                               ;   in Loop: Header=BB8_9 Depth=1
	s_wait_loadcnt 0x0
	v_dual_mov_b32 v7, v5 :: v_dual_mov_b32 v6, v3
	s_add_co_i32 s17, s34, -1
	s_mov_b32 s27, s20
	s_mov_b32 s9, s26
	s_cbranch_execz .LBB8_23
.LBB8_20:                               ;   in Loop: Header=BB8_9 Depth=1
	v_mov_b32_e32 v5, v7
	s_wait_loadcnt 0x0
	v_mov_b32_e32 v3, v6
	s_wait_alu 0xfffe
	s_mov_b32 s20, s27
	s_mov_b32 s34, s17
	;; [unrolled: 1-line block ×3, first 2 shown]
	s_branch .LBB8_9
.LBB8_21:
                                        ; implicit-def: $sgpr20_sgpr21
	s_branch .LBB8_2
.LBB8_22:
                                        ; implicit-def: $sgpr10_sgpr11
	s_load_b96 s[12:14], s[0:1], 0x44
	s_branch .LBB8_5
.LBB8_23:
	v_div_scale_f32 v0, null, v7, v7, v6
	s_wait_loadcnt 0x0
	s_delay_alu instid0(VALU_DEP_1) | instskip(NEXT) | instid1(TRANS32_DEP_1)
	v_rcp_f32_e32 v3, v0
	v_fma_f32 v4, -v0, v3, 1.0
	s_delay_alu instid0(VALU_DEP_1) | instskip(SKIP_1) | instid1(VALU_DEP_1)
	v_fmac_f32_e32 v3, v4, v3
	v_div_scale_f32 v4, vcc_lo, v6, v7, v6
	v_mul_f32_e32 v5, v4, v3
	s_delay_alu instid0(VALU_DEP_1) | instskip(NEXT) | instid1(VALU_DEP_1)
	v_fma_f32 v8, -v0, v5, v4
	v_fmac_f32_e32 v5, v8, v3
	s_delay_alu instid0(VALU_DEP_1) | instskip(SKIP_1) | instid1(VALU_DEP_1)
	v_fma_f32 v0, -v0, v5, v4
	s_wait_alu 0xfffd
	v_div_fmas_f32 v0, v0, v3, v5
	s_delay_alu instid0(VALU_DEP_1)
	v_div_fixup_f32 v0, v0, v7, v6
	global_store_b32 v[1:2], v0, off
.LBB8_24:
	s_endpgm
	.section	.rodata,"a",@progbits
	.p2align	6, 0x0
	.amdhsa_kernel _ZL33flash_attn_stream_k_fixup_generalILi256ELi2ELi8EEvPfPK15HIP_vector_typeIfLj2EEiiiiS1_IjLj3EES5_S5_S5_
		.amdhsa_group_segment_fixed_size 0
		.amdhsa_private_segment_fixed_size 0
		.amdhsa_kernarg_size 336
		.amdhsa_user_sgpr_count 2
		.amdhsa_user_sgpr_dispatch_ptr 0
		.amdhsa_user_sgpr_queue_ptr 0
		.amdhsa_user_sgpr_kernarg_segment_ptr 1
		.amdhsa_user_sgpr_dispatch_id 0
		.amdhsa_user_sgpr_private_segment_size 0
		.amdhsa_wavefront_size32 1
		.amdhsa_uses_dynamic_stack 0
		.amdhsa_enable_private_segment 0
		.amdhsa_system_sgpr_workgroup_id_x 1
		.amdhsa_system_sgpr_workgroup_id_y 1
		.amdhsa_system_sgpr_workgroup_id_z 1
		.amdhsa_system_sgpr_workgroup_info 0
		.amdhsa_system_vgpr_workitem_id 0
		.amdhsa_next_free_vgpr 9
		.amdhsa_next_free_sgpr 44
		.amdhsa_reserve_vcc 1
		.amdhsa_float_round_mode_32 0
		.amdhsa_float_round_mode_16_64 0
		.amdhsa_float_denorm_mode_32 3
		.amdhsa_float_denorm_mode_16_64 3
		.amdhsa_fp16_overflow 0
		.amdhsa_workgroup_processor_mode 1
		.amdhsa_memory_ordered 1
		.amdhsa_forward_progress 1
		.amdhsa_inst_pref_size 28
		.amdhsa_round_robin_scheduling 0
		.amdhsa_exception_fp_ieee_invalid_op 0
		.amdhsa_exception_fp_denorm_src 0
		.amdhsa_exception_fp_ieee_div_zero 0
		.amdhsa_exception_fp_ieee_overflow 0
		.amdhsa_exception_fp_ieee_underflow 0
		.amdhsa_exception_fp_ieee_inexact 0
		.amdhsa_exception_int_div_zero 0
	.end_amdhsa_kernel
	.section	.text._ZL33flash_attn_stream_k_fixup_generalILi256ELi2ELi8EEvPfPK15HIP_vector_typeIfLj2EEiiiiS1_IjLj3EES5_S5_S5_,"axG",@progbits,_ZL33flash_attn_stream_k_fixup_generalILi256ELi2ELi8EEvPfPK15HIP_vector_typeIfLj2EEiiiiS1_IjLj3EES5_S5_S5_,comdat
.Lfunc_end8:
	.size	_ZL33flash_attn_stream_k_fixup_generalILi256ELi2ELi8EEvPfPK15HIP_vector_typeIfLj2EEiiiiS1_IjLj3EES5_S5_S5_, .Lfunc_end8-_ZL33flash_attn_stream_k_fixup_generalILi256ELi2ELi8EEvPfPK15HIP_vector_typeIfLj2EEiiiiS1_IjLj3EES5_S5_S5_
                                        ; -- End function
	.set _ZL33flash_attn_stream_k_fixup_generalILi256ELi2ELi8EEvPfPK15HIP_vector_typeIfLj2EEiiiiS1_IjLj3EES5_S5_S5_.num_vgpr, 9
	.set _ZL33flash_attn_stream_k_fixup_generalILi256ELi2ELi8EEvPfPK15HIP_vector_typeIfLj2EEiiiiS1_IjLj3EES5_S5_S5_.num_agpr, 0
	.set _ZL33flash_attn_stream_k_fixup_generalILi256ELi2ELi8EEvPfPK15HIP_vector_typeIfLj2EEiiiiS1_IjLj3EES5_S5_S5_.numbered_sgpr, 44
	.set _ZL33flash_attn_stream_k_fixup_generalILi256ELi2ELi8EEvPfPK15HIP_vector_typeIfLj2EEiiiiS1_IjLj3EES5_S5_S5_.num_named_barrier, 0
	.set _ZL33flash_attn_stream_k_fixup_generalILi256ELi2ELi8EEvPfPK15HIP_vector_typeIfLj2EEiiiiS1_IjLj3EES5_S5_S5_.private_seg_size, 0
	.set _ZL33flash_attn_stream_k_fixup_generalILi256ELi2ELi8EEvPfPK15HIP_vector_typeIfLj2EEiiiiS1_IjLj3EES5_S5_S5_.uses_vcc, 1
	.set _ZL33flash_attn_stream_k_fixup_generalILi256ELi2ELi8EEvPfPK15HIP_vector_typeIfLj2EEiiiiS1_IjLj3EES5_S5_S5_.uses_flat_scratch, 0
	.set _ZL33flash_attn_stream_k_fixup_generalILi256ELi2ELi8EEvPfPK15HIP_vector_typeIfLj2EEiiiiS1_IjLj3EES5_S5_S5_.has_dyn_sized_stack, 0
	.set _ZL33flash_attn_stream_k_fixup_generalILi256ELi2ELi8EEvPfPK15HIP_vector_typeIfLj2EEiiiiS1_IjLj3EES5_S5_S5_.has_recursion, 0
	.set _ZL33flash_attn_stream_k_fixup_generalILi256ELi2ELi8EEvPfPK15HIP_vector_typeIfLj2EEiiiiS1_IjLj3EES5_S5_S5_.has_indirect_call, 0
	.section	.AMDGPU.csdata,"",@progbits
; Kernel info:
; codeLenInByte = 3548
; TotalNumSgprs: 46
; NumVgprs: 9
; ScratchSize: 0
; MemoryBound: 0
; FloatMode: 240
; IeeeMode: 1
; LDSByteSize: 0 bytes/workgroup (compile time only)
; SGPRBlocks: 0
; VGPRBlocks: 1
; NumSGPRsForWavesPerEU: 46
; NumVGPRsForWavesPerEU: 9
; Occupancy: 16
; WaveLimiterHint : 0
; COMPUTE_PGM_RSRC2:SCRATCH_EN: 0
; COMPUTE_PGM_RSRC2:USER_SGPR: 2
; COMPUTE_PGM_RSRC2:TRAP_HANDLER: 0
; COMPUTE_PGM_RSRC2:TGID_X_EN: 1
; COMPUTE_PGM_RSRC2:TGID_Y_EN: 1
; COMPUTE_PGM_RSRC2:TGID_Z_EN: 1
; COMPUTE_PGM_RSRC2:TIDIG_COMP_CNT: 0
	.section	.text._ZL15flash_attn_tileILi256ELi256ELi1ELi8ELb0EEvPKcS1_S1_S1_S1_PKiPfP15HIP_vector_typeIfLj2EEffffjfiS5_IjLj3EEiiiiiiiiiiiliiliiiiil,"axG",@progbits,_ZL15flash_attn_tileILi256ELi256ELi1ELi8ELb0EEvPKcS1_S1_S1_S1_PKiPfP15HIP_vector_typeIfLj2EEffffjfiS5_IjLj3EEiiiiiiiiiiiliiliiiiil,comdat
	.globl	_ZL15flash_attn_tileILi256ELi256ELi1ELi8ELb0EEvPKcS1_S1_S1_S1_PKiPfP15HIP_vector_typeIfLj2EEffffjfiS5_IjLj3EEiiiiiiiiiiiliiliiiiil ; -- Begin function _ZL15flash_attn_tileILi256ELi256ELi1ELi8ELb0EEvPKcS1_S1_S1_S1_PKiPfP15HIP_vector_typeIfLj2EEffffjfiS5_IjLj3EEiiiiiiiiiiiliiliiiiil
	.p2align	8
	.type	_ZL15flash_attn_tileILi256ELi256ELi1ELi8ELb0EEvPKcS1_S1_S1_S1_PKiPfP15HIP_vector_typeIfLj2EEffffjfiS5_IjLj3EEiiiiiiiiiiiliiliiiiil,@function
_ZL15flash_attn_tileILi256ELi256ELi1ELi8ELb0EEvPKcS1_S1_S1_S1_PKiPfP15HIP_vector_typeIfLj2EEffffjfiS5_IjLj3EEiiiiiiiiiiiliiliiiiil: ; @_ZL15flash_attn_tileILi256ELi256ELi1ELi8ELb0EEvPKcS1_S1_S1_S1_PKiPfP15HIP_vector_typeIfLj2EEffffjfiS5_IjLj3EEiiiiiiiiiiiliiliiiiil
; %bb.0:
	s_clause 0x1
	s_load_b128 s[20:23], s[0:1], 0x5c
	s_load_b64 s[30:31], s[0:1], 0x80
	s_lshr_b32 s5, ttmp7, 16
	s_load_b64 s[36:37], s[0:1], 0xb8
	s_mov_b64 s[34:35], 0
	s_wait_kmcnt 0x0
	s_ashr_i32 s2, s23, 31
	s_delay_alu instid0(SALU_CYCLE_1) | instskip(NEXT) | instid1(SALU_CYCLE_1)
	s_lshr_b32 s2, s2, 29
	s_add_co_i32 s2, s23, s2
	s_delay_alu instid0(SALU_CYCLE_1) | instskip(NEXT) | instid1(SALU_CYCLE_1)
	s_ashr_i32 s2, s2, 3
	s_cvt_f32_u32 s3, s2
	s_sub_co_i32 s4, 0, s2
	s_delay_alu instid0(SALU_CYCLE_2) | instskip(NEXT) | instid1(TRANS32_DEP_1)
	v_rcp_iflag_f32_e32 v1, s3
	v_readfirstlane_b32 s3, v1
	s_mul_f32 s3, s3, 0x4f7ffffe
	s_wait_alu 0xfffe
	s_delay_alu instid0(SALU_CYCLE_2) | instskip(SKIP_1) | instid1(SALU_CYCLE_2)
	s_cvt_u32_f32 s3, s3
	s_wait_alu 0xfffe
	s_mul_i32 s4, s4, s3
	s_delay_alu instid0(SALU_CYCLE_1) | instskip(NEXT) | instid1(SALU_CYCLE_1)
	s_mul_hi_u32 s4, s3, s4
	s_add_co_i32 s3, s3, s4
	s_wait_alu 0xfffe
	s_mul_hi_u32 s3, s5, s3
	s_wait_alu 0xfffe
	s_mul_i32 s4, s3, s2
	s_add_co_i32 s6, s3, 1
	s_sub_co_i32 s4, s5, s4
	s_delay_alu instid0(SALU_CYCLE_1)
	s_sub_co_i32 s7, s4, s2
	s_cmp_ge_u32 s4, s2
	s_cselect_b32 s3, s6, s3
	s_cselect_b32 s4, s7, s4
	s_wait_alu 0xfffe
	s_add_co_i32 s6, s3, 1
	s_cmp_ge_u32 s4, s2
	s_cselect_b32 s28, s6, s3
	s_abs_i32 s2, s31
	s_abs_i32 s7, s23
	s_wait_alu 0xfffe
	s_cvt_f32_u32 s3, s2
	s_sub_co_i32 s4, 0, s2
	s_lshl_b32 s5, s5, 3
	s_mul_i32 s6, s28, s23
	s_wait_alu 0xfffe
	v_rcp_iflag_f32_e32 v1, s3
	s_sub_co_i32 s33, s5, s6
	s_delay_alu instid0(TRANS32_DEP_1) | instskip(SKIP_2) | instid1(SALU_CYCLE_2)
	v_readfirstlane_b32 s3, v1
	s_mul_f32 s3, s3, 0x4f7ffffe
	s_wait_alu 0xfffe
	s_cvt_u32_f32 s3, s3
	s_wait_alu 0xfffe
	s_delay_alu instid0(SALU_CYCLE_2) | instskip(NEXT) | instid1(SALU_CYCLE_1)
	s_mul_i32 s4, s4, s3
	s_mul_hi_u32 s4, s3, s4
	s_delay_alu instid0(SALU_CYCLE_1)
	s_add_co_i32 s3, s3, s4
	s_xor_b32 s4, s23, s31
	s_wait_alu 0xfffe
	s_mul_hi_u32 s3, s7, s3
	s_ashr_i32 s24, s4, 31
	s_wait_alu 0xfffe
	s_mul_i32 s5, s3, s2
	s_delay_alu instid0(SALU_CYCLE_1)
	s_sub_co_i32 s4, s7, s5
	s_add_co_i32 s5, s3, 1
	s_sub_co_i32 s6, s4, s2
	s_cmp_ge_u32 s4, s2
	s_cselect_b32 s3, s5, s3
	s_cselect_b32 s4, s6, s4
	s_wait_alu 0xfffe
	s_add_co_i32 s5, s3, 1
	s_cmp_ge_u32 s4, s2
	s_cselect_b32 s2, s5, s3
	s_load_b512 s[4:19], s[0:1], 0x0
	s_xor_b32 s2, s2, s24
	s_mov_b32 s3, 0
	s_wait_alu 0xfffe
	s_sub_co_i32 s38, s2, s24
	s_delay_alu instid0(SALU_CYCLE_1) | instskip(NEXT) | instid1(SALU_CYCLE_1)
	s_abs_i32 s31, s38
	s_cvt_f32_u32 s2, s31
	s_wait_alu 0xfffe
	s_delay_alu instid0(SALU_CYCLE_2) | instskip(SKIP_2) | instid1(TRANS32_DEP_1)
	v_rcp_iflag_f32_e32 v1, s2
	s_wait_kmcnt 0x0
	s_cmp_eq_u64 s[10:11], 0
	v_readfirstlane_b32 s2, v1
	s_cbranch_scc1 .LBB9_2
; %bb.1:
	s_abs_i32 s26, s36
	s_delay_alu instid0(SALU_CYCLE_1) | instskip(NEXT) | instid1(SALU_CYCLE_3)
	s_cvt_f32_u32 s24, s26
	v_rcp_iflag_f32_e32 v1, s24
	s_delay_alu instid0(TRANS32_DEP_1) | instskip(SKIP_2) | instid1(SALU_CYCLE_2)
	v_readfirstlane_b32 s24, v1
	s_mul_f32 s24, s24, 0x4f7ffffe
	s_wait_alu 0xfffe
	s_cvt_u32_f32 s27, s24
	s_sub_co_i32 s24, 0, s26
	s_wait_alu 0xfffe
	s_delay_alu instid0(SALU_CYCLE_1) | instskip(SKIP_4) | instid1(SALU_CYCLE_1)
	s_mul_i32 s24, s24, s27
	s_wait_alu 0xfffe
	s_mul_hi_u32 s29, s27, s24
	s_load_b64 s[24:25], s[0:1], 0xc8
	s_add_co_i32 s27, s27, s29
	s_mul_hi_u32 s27, s28, s27
	s_delay_alu instid0(SALU_CYCLE_1) | instskip(NEXT) | instid1(SALU_CYCLE_1)
	s_mul_i32 s27, s27, s26
	s_sub_co_i32 s27, s28, s27
	s_delay_alu instid0(SALU_CYCLE_1) | instskip(SKIP_2) | instid1(SALU_CYCLE_1)
	s_sub_co_i32 s29, s27, s26
	s_cmp_ge_u32 s27, s26
	s_cselect_b32 s27, s29, s27
	s_sub_co_i32 s29, s27, s26
	s_cmp_ge_u32 s27, s26
	s_cselect_b32 s26, s29, s27
	s_delay_alu instid0(SALU_CYCLE_1)
	s_ashr_i32 s27, s26, 31
	s_wait_kmcnt 0x0
	s_mul_u64 s[24:25], s[24:25], s[26:27]
	s_wait_alu 0xfffe
	s_add_nc_u64 s[34:35], s[10:11], s[24:25]
.LBB9_2:
	v_lshrrev_b32_e32 v1, 10, v0
	s_load_b96 s[24:26], s[0:1], 0x70
	s_delay_alu instid0(VALU_DEP_1) | instskip(NEXT) | instid1(VALU_DEP_1)
	v_bfe_u32 v1, v1, 2, 8
	v_add_nc_u32_e32 v1, ttmp9, v1
	s_delay_alu instid0(VALU_DEP_1) | instskip(SKIP_3) | instid1(VALU_DEP_1)
	v_mul_hi_u32 v2, s20, v1
	s_wait_kmcnt 0x0
	s_mul_i32 s10, s33, s25
	s_mov_b32 s20, s25
	v_add_nc_u32_e32 v2, v1, v2
	s_delay_alu instid0(VALU_DEP_1)
	v_lshrrev_b32_e32 v3, s21, v2
	v_bfe_u32 v2, v0, 10, 10
	s_ashr_i32 s21, s25, 31
	s_ashr_i32 s25, s24, 31
	v_and_b32_e32 v0, 0x3ff, v0
	v_mul_lo_u32 v3, v3, s22
	v_lshlrev_b32_e32 v6, 1, v2
	s_wait_alu 0xfffe
	s_lshr_b64 s[40:41], s[24:25], 2
	s_lshr_b32 s11, s25, 2
	s_mul_i32 s24, s28, s26
	v_lshlrev_b32_e32 v12, 4, v0
	v_and_b32_e32 v40, 6, v6
	v_or_b32_e32 v21, 1, v6
	v_sub_nc_u32_e32 v3, v1, v3
	s_wait_alu 0xfffe
	s_ashr_i32 s25, s24, 31
	v_lshlrev_b32_e32 v41, 3, v0
	s_wait_alu 0xfffe
	s_add_nc_u64 s[4:5], s[4:5], s[24:25]
	v_and_b32_e32 v11, 7, v21
	v_mad_co_u64_u32 v[4:5], null, s40, v3, 0
	s_lshr_b64 s[40:41], s[20:21], 2
	s_lshr_b32 s20, s21, 2
	s_wait_alu 0xfffe
	v_mad_co_u64_u32 v[6:7], null, s40, v40, 0
	v_add_nc_u32_e32 v22, 0x4200, v41
	s_delay_alu instid0(VALU_DEP_1) | instskip(NEXT) | instid1(VALU_DEP_3)
	v_lshl_add_u32 v21, v21, 9, v22
	v_mad_co_u64_u32 v[8:9], null, s11, v3, v[5:6]
	v_mad_co_u64_u32 v[9:10], null, s40, v11, 0
	s_ashr_i32 s11, s10, 31
	s_cmp_eq_u64 s[14:15], 0
	s_wait_alu 0xfffe
	s_add_nc_u64 s[4:5], s[4:5], s[10:11]
	v_mov_b32_e32 v5, v8
	v_mad_co_u64_u32 v[7:8], null, s20, v40, v[7:8]
	v_mov_b32_e32 v8, v10
	s_delay_alu instid0(VALU_DEP_3) | instskip(NEXT) | instid1(VALU_DEP_2)
	v_lshlrev_b64_e32 v[4:5], 2, v[4:5]
	v_mad_co_u64_u32 v[10:11], null, s20, v11, v[8:9]
	s_delay_alu instid0(VALU_DEP_2) | instskip(NEXT) | instid1(VALU_DEP_1)
	v_add_co_u32 v8, vcc_lo, s4, v4
	v_add_co_ci_u32_e64 v11, null, s5, v5, vcc_lo
	v_lshlrev_b64_e32 v[4:5], 2, v[6:7]
	s_delay_alu instid0(VALU_DEP_3) | instskip(SKIP_3) | instid1(VALU_DEP_3)
	v_add_co_u32 v13, vcc_lo, v8, v12
	v_lshlrev_b64_e32 v[9:10], 2, v[9:10]
	s_wait_alu 0xfffd
	v_add_co_ci_u32_e64 v14, null, 0, v11, vcc_lo
	v_add_co_u32 v11, vcc_lo, v13, v4
	s_load_b32 s4, s[0:1], 0x40
	v_add_co_ci_u32_e64 v12, null, v14, v5, vcc_lo
	v_add_co_u32 v17, vcc_lo, v13, v9
	s_wait_alu 0xfffd
	v_add_co_ci_u32_e64 v18, null, v14, v10, vcc_lo
	s_clause 0x3
	global_load_b128 v[5:8], v[11:12], off
	global_load_b128 v[9:12], v[11:12], off offset:512
	global_load_b128 v[13:16], v[17:18], off
	global_load_b128 v[17:20], v[17:18], off offset:512
	v_lshlrev_b32_e32 v4, 10, v2
	s_delay_alu instid0(VALU_DEP_1)
	v_add_nc_u32_e32 v23, v22, v4
	s_wait_loadcnt 0x2
	s_wait_kmcnt 0x0
	v_fma_mixlo_f16 v9, s4, v9, 0
	v_fma_mixlo_f16 v5, s4, v5, 0
	;; [unrolled: 1-line block ×8, first 2 shown]
	s_wait_loadcnt 0x1
	v_fma_mixlo_f16 v13, s4, v13, 0
	v_fma_mixlo_f16 v14, s4, v14, 0
	s_wait_loadcnt 0x0
	v_fma_mixlo_f16 v17, s4, v17, 0
	v_fma_mixlo_f16 v18, s4, v18, 0
	v_lshlrev_b32_e32 v6, 16, v6
	v_and_b32_e32 v5, 0xffff, v5
	v_lshlrev_b32_e32 v8, 16, v8
	v_and_b32_e32 v7, 0xffff, v7
	;; [unrolled: 2-line block ×3, first 2 shown]
	v_fma_mixlo_f16 v15, s4, v15, 0
	v_fma_mixlo_f16 v16, s4, v16, 0
	;; [unrolled: 1-line block ×4, first 2 shown]
	v_lshlrev_b32_e32 v12, 16, v12
	v_and_b32_e32 v11, 0xffff, v11
	v_lshlrev_b32_e32 v14, 16, v14
	v_and_b32_e32 v13, 0xffff, v13
	;; [unrolled: 2-line block ×3, first 2 shown]
	v_or_b32_e32 v5, v6, v5
	v_or3_b32 v6, v8, v7, 0
	v_or_b32_e32 v7, v10, v9
	v_lshlrev_b32_e32 v16, 16, v16
	v_and_b32_e32 v15, 0xffff, v15
	v_lshlrev_b32_e32 v20, 16, v20
	v_and_b32_e32 v19, 0xffff, v19
	v_or3_b32 v8, v12, v11, 0
	v_or_b32_e32 v9, v14, v13
	v_or_b32_e32 v11, v18, v17
	v_or3_b32 v5, 0, 0, v5
	v_or3_b32 v7, 0, 0, v7
	v_or3_b32 v10, v16, v15, 0
	v_or3_b32 v12, v20, v19, 0
	v_or3_b32 v9, 0, 0, v9
	v_or3_b32 v11, 0, 0, v11
	ds_store_2addr_b64 v23, v[5:6], v[7:8] offset1:32
	ds_store_2addr_b64 v21, v[9:10], v[11:12] offset1:32
	s_wait_dscnt 0x0
	s_barrier_signal -1
	s_barrier_wait -1
	global_inv scope:SCOPE_SE
	s_cbranch_scc1 .LBB9_4
; %bb.3:
	s_load_b32 s4, s[0:1], 0xd0
	s_mov_b32 s5, 0
	s_wait_kmcnt 0x0
	s_mul_i32 s4, s4, s28
	s_wait_alu 0xfffe
	s_add_co_i32 s4, s4, ttmp9
	s_wait_alu 0xfffe
	s_lshl_b64 s[4:5], s[4:5], 2
	s_wait_alu 0xfffe
	s_add_nc_u64 s[4:5], s[14:15], s[4:5]
	s_load_b32 s30, s[4:5], 0x0
.LBB9_4:
	s_and_b32 s10, ttmp7, 0xffff
	v_lshlrev_b32_e32 v39, 2, v0
	v_mbcnt_lo_u32_b32 v42, -1, 0
	s_wait_alu 0xfffe
	s_lshl_b32 s14, s10, 5
	s_wait_kmcnt 0x0
	s_cmp_lt_i32 s14, s30
	s_cbranch_scc1 .LBB9_7
; %bb.5:
	v_mbcnt_lo_u32_b32 v5, -1, 0
	v_mov_b32_e32 v44, 32
	s_delay_alu instid0(VALU_DEP_2)
	v_xor_b32_e32 v51, 16, v5
	v_xor_b32_e32 v49, 8, v5
	v_xor_b32_e32 v47, 4, v5
	v_xor_b32_e32 v46, 2, v5
	v_xor_b32_e32 v45, 1, v5
	s_mov_b32 s29, 0
	s_cbranch_execz .LBB9_8
; %bb.6:
	v_dual_mov_b32 v83, 0 :: v_dual_mov_b32 v58, 0
	v_dual_mov_b32 v3, 0xfeffffff :: v_dual_mov_b32 v2, 0xfeffffff
	;; [unrolled: 1-line block ×5, first 2 shown]
	v_mov_b32_e32 v82, 0
	v_mov_b32_e32 v80, 0
	s_branch .LBB9_11
.LBB9_7:
                                        ; implicit-def: $vgpr5
                                        ; implicit-def: $vgpr44
                                        ; implicit-def: $vgpr51
                                        ; implicit-def: $vgpr49
                                        ; implicit-def: $vgpr47
                                        ; implicit-def: $vgpr46
                                        ; implicit-def: $vgpr45
	s_mov_b32 s29, 0
.LBB9_8:
	s_mul_f32 s2, s2, 0x4f7ffffe
	s_clause 0x1
	s_load_b128 s[24:27], s[0:1], 0x98
	s_load_b64 s[4:5], s[0:1], 0x8c
	s_sub_co_i32 s15, 0, s31
	s_load_b64 s[40:41], s[0:1], 0xa8
	s_cvt_u32_f32 s11, s2
	s_abs_i32 s2, s33
	s_mov_b32 s21, s3
	v_dual_mov_b32 v52, 0 :: v_dual_lshlrev_b32 v43, 2, v39
	s_wait_alu 0xfffe
	s_mul_i32 s15, s15, s11
	v_lshl_add_u32 v63, v2, 7, 0x5200
	s_mul_hi_u32 s15, s11, s15
	v_mad_u32_u24 v48, 0x210, v2, v43
	s_add_co_i32 s20, s11, s15
	s_ashr_i32 s11, s33, 31
	s_wait_alu 0xfffe
	s_mul_u64 s[20:21], s[2:3], s[20:21]
	s_ashr_i32 s3, s38, 31
	s_ashr_i32 s15, s37, 1
	s_wait_alu 0xfffe
	s_xor_b32 s11, s11, s3
	s_mul_i32 s3, s21, s31
	s_add_co_i32 s37, s21, 1
	s_wait_alu 0xfffe
	s_sub_co_i32 s38, s2, s3
	s_wait_kmcnt 0x0
	s_ashr_i32 s20, s26, 2
	s_ashr_i32 s36, s4, 2
	s_mul_u64 s[2:3], s[24:25], s[28:29]
	s_sub_co_i32 s24, s38, s31
	s_cmp_ge_u32 s38, s31
	v_mul_lo_u32 v6, s36, v2
	s_cselect_b32 s21, s37, s21
	s_wait_alu 0xfffe
	s_cselect_b32 s24, s24, s38
	s_add_co_i32 s37, s21, 1
	s_wait_alu 0xfffe
	s_cmp_ge_u32 s24, s31
	s_mul_u64 s[24:25], s[40:41], s[28:29]
	s_cselect_b32 s21, s37, s21
	s_and_b32 s29, s4, -4
	s_wait_alu 0xfffe
	s_xor_b32 s4, s21, s11
	s_add_nc_u64 s[2:3], s[6:7], s[2:3]
	s_wait_alu 0xfffe
	s_sub_co_i32 s11, s4, s11
	v_mul_lo_u32 v21, s20, v2
	s_wait_alu 0xfffe
	s_mul_i32 s4, s11, s5
	s_add_nc_u64 s[8:9], s[8:9], s[24:25]
	s_wait_alu 0xfffe
	s_ashr_i32 s5, s4, 31
	v_dual_mov_b32 v79, 0 :: v_dual_add_nc_u32 v8, s29, v6
	s_wait_alu 0xfffe
	s_add_nc_u64 s[6:7], s[2:3], s[4:5]
	s_mul_i32 s2, s11, s27
	v_lshl_add_u32 v62, v2, 9, v43
	s_wait_alu 0xfffe
	s_ashr_i32 s3, s2, 31
	v_dual_mov_b32 v81, 0 :: v_dual_add_nc_u32 v10, s29, v8
	s_wait_alu 0xfffe
	s_add_nc_u64 s[8:9], s[8:9], s[2:3]
	s_and_b32 s2, s26, -4
	s_wait_alu 0xfffe
	v_dual_mov_b32 v2, 0xfeffffff :: v_dual_add_nc_u32 v23, s2, v21
	v_dual_mov_b32 v85, 0 :: v_dual_add_nc_u32 v12, s29, v10
	;; [unrolled: 1-line block ×3, first 2 shown]
	s_delay_alu instid0(VALU_DEP_3) | instskip(NEXT) | instid1(VALU_DEP_3)
	v_add_nc_u32_e32 v25, s2, v23
	v_add_nc_u32_e32 v14, s29, v12
	v_mad_co_u64_u32 v[4:5], null, v3, s15, v[0:1]
	v_mov_b32_e32 v3, 0xfeffffff
	s_delay_alu instid0(VALU_DEP_4) | instskip(NEXT) | instid1(VALU_DEP_4)
	v_add_nc_u32_e32 v29, s2, v25
	v_add_nc_u32_e32 v16, s29, v14
	v_ashrrev_i32_e32 v7, 31, v6
	v_ashrrev_i32_e32 v9, 31, v8
	;; [unrolled: 1-line block ×3, first 2 shown]
	v_add_nc_u32_e32 v31, s2, v29
	v_add_nc_u32_e32 v18, s29, v16
	v_ashrrev_i32_e32 v13, 31, v12
	v_ashrrev_i32_e32 v15, 31, v14
	;; [unrolled: 1-line block ×3, first 2 shown]
	v_add_nc_u32_e32 v33, s2, v31
	v_dual_mov_b32 v84, 0 :: v_dual_add_nc_u32 v27, s29, v18
	v_ashrrev_i32_e32 v19, 31, v18
	v_ashrrev_i32_e32 v22, 31, v21
	s_delay_alu instid0(VALU_DEP_4) | instskip(NEXT) | instid1(VALU_DEP_4)
	v_add_nc_u32_e32 v35, s2, v33
	v_ashrrev_i32_e32 v28, 31, v27
	v_ashrrev_i32_e32 v24, 31, v23
	;; [unrolled: 1-line block ×4, first 2 shown]
	v_add_nc_u32_e32 v37, s2, v35
	v_ashrrev_i32_e32 v32, 31, v31
	v_ashrrev_i32_e32 v34, 31, v33
	;; [unrolled: 1-line block ×3, first 2 shown]
	v_lshlrev_b64_e32 v[5:6], 2, v[6:7]
	v_ashrrev_i32_e32 v38, 31, v37
	v_lshlrev_b64_e32 v[7:8], 2, v[8:9]
	v_lshlrev_b64_e32 v[9:10], 2, v[10:11]
	;; [unrolled: 1-line block ×15, first 2 shown]
	v_dual_mov_b32 v83, 0 :: v_dual_add_nc_u32 v50, 0x840, v48
	v_dual_mov_b32 v44, 32 :: v_dual_add_nc_u32 v53, 0x1080, v48
	v_add_nc_u32_e32 v54, 0x18c0, v48
	v_dual_mov_b32 v80, 0 :: v_dual_add_nc_u32 v55, 0x2100, v48
	v_add_nc_u32_e32 v56, 0x2940, v48
	v_dual_mov_b32 v86, 0 :: v_dual_add_nc_u32 v57, 0x3180, v48
	v_dual_mov_b32 v58, 0 :: v_dual_add_nc_u32 v59, 0x39c0, v48
	v_mul_u32_u24_e32 v60, 0x210, v0
	v_add_nc_u32_e32 v64, 0x800, v62
	v_add_nc_u32_e32 v65, 0x1000, v62
	;; [unrolled: 1-line block ×7, first 2 shown]
	v_xor_b32_e32 v51, 16, v42
	v_xor_b32_e32 v49, 8, v42
	;; [unrolled: 1-line block ×5, first 2 shown]
	v_add_nc_u32_e32 v71, v63, v39
	v_add_nc_u32_e32 v72, 0x800, v41
	v_add_nc_u32_e32 v73, 0x1000, v41
	v_add_nc_u32_e32 v74, 0x1800, v41
	v_add_nc_u32_e32 v75, 0x2000, v41
	v_add_nc_u32_e32 v76, 0x2800, v41
	v_add_nc_u32_e32 v77, 0x3000, v41
	v_add_nc_u32_e32 v78, 0x3800, v41
	s_ashr_i32 s37, s36, 31
	s_ashr_i32 s21, s20, 31
	s_add_nc_u64 s[24:25], s[0:1], 0xd0
.LBB9_9:                                ; =>This Inner Loop Header: Depth=1
	s_ashr_i32 s15, s14, 31
	s_wait_alu 0xfffe
	s_mul_u64 s[2:3], s[14:15], s[36:37]
	s_wait_alu 0xfffe
	s_lshl_b64 s[2:3], s[2:3], 2
	s_wait_alu 0xfffe
	s_add_nc_u64 s[2:3], s[6:7], s[2:3]
	s_wait_alu 0xfffe
	v_add_co_u32 v37, vcc_lo, s2, v5
	s_wait_alu 0xfffd
	v_add_co_ci_u32_e64 v38, null, s3, v6, vcc_lo
	s_delay_alu instid0(VALU_DEP_2) | instskip(SKIP_1) | instid1(VALU_DEP_2)
	v_add_co_u32 v37, vcc_lo, v37, v43
	s_wait_alu 0xfffd
	v_add_co_ci_u32_e64 v38, null, 0, v38, vcc_lo
	global_load_b128 v[87:90], v[37:38], off
	v_add_co_u32 v37, vcc_lo, s2, v7
	s_wait_alu 0xfffd
	v_add_co_ci_u32_e64 v38, null, s3, v8, vcc_lo
	s_delay_alu instid0(VALU_DEP_2) | instskip(SKIP_1) | instid1(VALU_DEP_2)
	v_add_co_u32 v37, vcc_lo, v37, v43
	s_wait_alu 0xfffd
	v_add_co_ci_u32_e64 v38, null, 0, v38, vcc_lo
	s_wait_loadcnt 0x0
	ds_store_b128 v48, v[87:90]
	global_load_b128 v[87:90], v[37:38], off
	v_add_co_u32 v37, vcc_lo, s2, v9
	s_wait_alu 0xfffd
	v_add_co_ci_u32_e64 v38, null, s3, v10, vcc_lo
	s_delay_alu instid0(VALU_DEP_2) | instskip(SKIP_1) | instid1(VALU_DEP_2)
	v_add_co_u32 v37, vcc_lo, v37, v43
	s_wait_alu 0xfffd
	v_add_co_ci_u32_e64 v38, null, 0, v38, vcc_lo
	s_wait_loadcnt 0x0
	ds_store_b128 v50, v[87:90]
	;; [unrolled: 10-line block ×6, first 2 shown]
	global_load_b128 v[87:90], v[37:38], off
	v_add_co_u32 v37, vcc_lo, s2, v19
	s_wait_alu 0xfffd
	v_add_co_ci_u32_e64 v38, null, s3, v20, vcc_lo
	s_mul_u64 s[2:3], s[14:15], s[20:21]
	v_add_co_u32 v37, vcc_lo, v37, v43
	s_wait_alu 0xfffd
	v_add_co_ci_u32_e64 v38, null, 0, v38, vcc_lo
	s_wait_alu 0xfffe
	s_lshl_b64 s[2:3], s[2:3], 2
	s_wait_alu 0xfffe
	s_add_nc_u64 s[26:27], s[8:9], s[2:3]
	s_wait_loadcnt 0x0
	ds_store_b128 v57, v[87:90]
	global_load_b128 v[87:90], v[37:38], off
	v_dual_mov_b32 v38, 0 :: v_dual_mov_b32 v37, 0
	s_wait_loadcnt 0x0
	ds_store_b128 v59, v[87:90]
	s_wait_dscnt 0x0
	s_barrier_signal -1
	s_barrier_wait -1
	global_inv scope:SCOPE_SE
	ds_load_b128 v[87:90], v60
	ds_load_b128 v[91:94], v61
	ds_load_b128 v[95:98], v61 offset:512
	s_wait_dscnt 0x1
	;;#ASMSTART
	v_dot2_f32_f16 v38, v87, v91, v38
	;;#ASMEND
	;;#ASMSTART
	v_dot2_f32_f16 v38, v88, v92, v38
	;;#ASMEND
	;;#ASMSTART
	v_dot2_f32_f16 v38, v89, v93, v38
	;;#ASMEND
	;;#ASMSTART
	v_dot2_f32_f16 v38, v90, v94, v38
	;;#ASMEND
	s_wait_dscnt 0x0
	;;#ASMSTART
	v_dot2_f32_f16 v37, v87, v95, v37
	;;#ASMEND
	;;#ASMSTART
	v_dot2_f32_f16 v37, v88, v96, v37
	;;#ASMEND
	;;#ASMSTART
	v_dot2_f32_f16 v37, v89, v97, v37
	;;#ASMEND
	;;#ASMSTART
	v_dot2_f32_f16 v37, v90, v98, v37
	;;#ASMEND
	ds_load_b128 v[87:90], v60 offset:16
	ds_load_b128 v[91:94], v61 offset:16
	ds_load_b128 v[95:98], v61 offset:528
	s_wait_dscnt 0x1
	;;#ASMSTART
	v_dot2_f32_f16 v38, v87, v91, v38
	;;#ASMEND
	;;#ASMSTART
	v_dot2_f32_f16 v38, v88, v92, v38
	;;#ASMEND
	;;#ASMSTART
	v_dot2_f32_f16 v38, v89, v93, v38
	;;#ASMEND
	;;#ASMSTART
	v_dot2_f32_f16 v38, v90, v94, v38
	;;#ASMEND
	s_wait_dscnt 0x0
	;;#ASMSTART
	v_dot2_f32_f16 v37, v87, v95, v37
	;;#ASMEND
	;;#ASMSTART
	v_dot2_f32_f16 v37, v88, v96, v37
	;;#ASMEND
	;;#ASMSTART
	v_dot2_f32_f16 v37, v89, v97, v37
	;;#ASMEND
	;;#ASMSTART
	v_dot2_f32_f16 v37, v90, v98, v37
	;;#ASMEND
	ds_load_b128 v[87:90], v60 offset:32
	ds_load_b128 v[91:94], v61 offset:32
	;; [unrolled: 29-line block ×31, first 2 shown]
	ds_load_b128 v[95:98], v61 offset:1008
	s_wait_dscnt 0x1
	;;#ASMSTART
	v_dot2_f32_f16 v38, v87, v91, v38
	;;#ASMEND
	;;#ASMSTART
	v_dot2_f32_f16 v38, v88, v92, v38
	;;#ASMEND
	;; [unrolled: 3-line block ×4, first 2 shown]
	s_wait_dscnt 0x0
	;;#ASMSTART
	v_dot2_f32_f16 v37, v87, v95, v37
	;;#ASMEND
	v_add_nc_u32_e32 v87, s14, v4
	;;#ASMSTART
	v_dot2_f32_f16 v37, v88, v96, v37
	;;#ASMEND
	;;#ASMSTART
	v_dot2_f32_f16 v37, v89, v97, v37
	;;#ASMEND
	;; [unrolled: 3-line block ×3, first 2 shown]
	v_mov_b32_e32 v90, v2
	v_ashrrev_i32_e32 v88, 31, v87
	s_delay_alu instid0(VALU_DEP_1) | instskip(NEXT) | instid1(VALU_DEP_1)
	v_lshlrev_b64_e32 v[87:88], 1, v[87:88]
	v_add_co_u32 v87, vcc_lo, s34, v87
	s_wait_alu 0xfffd
	s_delay_alu instid0(VALU_DEP_2)
	v_add_co_ci_u32_e64 v88, null, s35, v88, vcc_lo
	v_cmp_gt_i32_e32 vcc_lo, 32, v51
	global_load_u16 v2, v[87:88], off
	s_wait_loadcnt 0x0
	s_barrier_signal -1
	s_barrier_wait -1
	global_inv scope:SCOPE_SE
	v_cvt_f32_f16_e32 v2, v2
	s_delay_alu instid0(VALU_DEP_1) | instskip(SKIP_1) | instid1(VALU_DEP_2)
	v_dual_mov_b32 v89, v3 :: v_dual_add_f32 v88, v37, v2
	v_add_f32_e32 v87, v38, v2
	v_dual_max_num_f32 v2, v90, v90 :: v_dual_add_f32 v37, 0x40051340, v88
	s_delay_alu instid0(VALU_DEP_2) | instskip(NEXT) | instid1(VALU_DEP_1)
	v_add_f32_e32 v3, 0x40051340, v87
	v_dual_max_num_f32 v2, v2, v3 :: v_dual_max_num_f32 v3, v89, v89
	s_delay_alu instid0(VALU_DEP_1) | instskip(SKIP_3) | instid1(VALU_DEP_2)
	v_max_num_f32_e32 v3, v3, v37
	s_wait_alu 0xfffd
	v_cndmask_b32_e32 v37, v42, v51, vcc_lo
	v_cmp_gt_i32_e32 vcc_lo, 32, v49
	v_lshlrev_b32_e32 v37, 2, v37
	ds_bpermute_b32 v38, v37, v2
	s_wait_dscnt 0x0
	v_max_num_f32_e32 v38, v38, v38
	s_delay_alu instid0(VALU_DEP_1) | instskip(SKIP_3) | instid1(VALU_DEP_1)
	v_max_num_f32_e32 v2, v2, v38
	ds_bpermute_b32 v37, v37, v3
	s_wait_dscnt 0x0
	v_max_num_f32_e32 v37, v37, v37
	v_max_num_f32_e32 v3, v3, v37
	s_wait_alu 0xfffd
	v_cndmask_b32_e32 v37, v42, v49, vcc_lo
	v_cmp_gt_i32_e32 vcc_lo, 32, v47
	s_delay_alu instid0(VALU_DEP_2) | instskip(SKIP_4) | instid1(VALU_DEP_1)
	v_lshlrev_b32_e32 v37, 2, v37
	ds_bpermute_b32 v38, v37, v2
	ds_bpermute_b32 v37, v37, v3
	s_wait_dscnt 0x0
	v_dual_max_num_f32 v38, v38, v38 :: v_dual_max_num_f32 v37, v37, v37
	v_dual_max_num_f32 v2, v2, v38 :: v_dual_max_num_f32 v3, v3, v37
	s_wait_alu 0xfffd
	v_cndmask_b32_e32 v37, v42, v47, vcc_lo
	v_cmp_gt_i32_e32 vcc_lo, 32, v46
	s_delay_alu instid0(VALU_DEP_2) | instskip(SKIP_4) | instid1(VALU_DEP_1)
	v_lshlrev_b32_e32 v37, 2, v37
	ds_bpermute_b32 v38, v37, v2
	ds_bpermute_b32 v37, v37, v3
	s_wait_dscnt 0x0
	v_dual_max_num_f32 v38, v38, v38 :: v_dual_max_num_f32 v37, v37, v37
	v_dual_max_num_f32 v2, v2, v38 :: v_dual_max_num_f32 v3, v3, v37
	;; [unrolled: 10-line block ×3, first 2 shown]
	s_wait_alu 0xfffd
	v_cndmask_b32_e32 v37, v42, v45, vcc_lo
	s_delay_alu instid0(VALU_DEP_1) | instskip(SKIP_4) | instid1(VALU_DEP_1)
	v_lshlrev_b32_e32 v37, 2, v37
	ds_bpermute_b32 v38, v37, v2
	ds_bpermute_b32 v37, v37, v3
	s_wait_dscnt 0x0
	v_dual_max_num_f32 v38, v38, v38 :: v_dual_max_num_f32 v37, v37, v37
	v_dual_max_num_f32 v2, v2, v38 :: v_dual_max_num_f32 v3, v3, v37
	s_wait_alu 0xfffe
	v_add_co_u32 v37, vcc_lo, s26, v21
	s_wait_alu 0xfffd
	v_add_co_ci_u32_e64 v38, null, s27, v22, vcc_lo
	v_sub_f32_e32 v87, v87, v2
	s_delay_alu instid0(VALU_DEP_3) | instskip(SKIP_1) | instid1(VALU_DEP_3)
	v_add_co_u32 v37, vcc_lo, v37, v43
	s_wait_alu 0xfffd
	v_add_co_ci_u32_e64 v38, null, 0, v38, vcc_lo
	s_delay_alu instid0(VALU_DEP_3) | instskip(SKIP_2) | instid1(VALU_DEP_3)
	v_mul_f32_e32 v91, 0x3fb8aa3b, v87
	v_cmp_ngt_f32_e32 vcc_lo, 0xc2ce8ed0, v87
	v_cmp_nlt_f32_e64 s2, 0x42b17218, v87
	v_fma_f32 v92, 0x3fb8aa3b, v87, -v91
	s_delay_alu instid0(VALU_DEP_1) | instskip(SKIP_1) | instid1(VALU_DEP_1)
	v_fmac_f32_e32 v92, 0x32a5705f, v87
	v_sub_f32_e32 v87, v88, v3
	v_mul_f32_e32 v88, 0x3fb8aa3b, v87
	v_cmp_ngt_f32_e64 s3, 0xc2ce8ed0, v87
	v_cmp_nlt_f32_e64 s4, 0x42b17218, v87
	s_delay_alu instid0(VALU_DEP_3) | instskip(NEXT) | instid1(VALU_DEP_1)
	v_fma_f32 v93, 0x3fb8aa3b, v87, -v88
	v_fmac_f32_e32 v93, 0x32a5705f, v87
	v_rndne_f32_e32 v87, v91
	s_delay_alu instid0(VALU_DEP_1) | instskip(SKIP_1) | instid1(VALU_DEP_2)
	v_sub_f32_e32 v91, v91, v87
	v_cvt_i32_f32_e32 v87, v87
	v_add_f32_e32 v91, v91, v92
	v_rndne_f32_e32 v92, v88
	s_delay_alu instid0(VALU_DEP_2) | instskip(NEXT) | instid1(VALU_DEP_1)
	v_exp_f32_e32 v91, v91
	v_sub_f32_e32 v88, v88, v92
	s_delay_alu instid0(VALU_DEP_1) | instskip(NEXT) | instid1(TRANS32_DEP_1)
	v_add_f32_e32 v88, v88, v93
	v_ldexp_f32 v91, v91, v87
	s_delay_alu instid0(VALU_DEP_2)
	v_exp_f32_e32 v88, v88
	v_cvt_i32_f32_e32 v87, v92
	s_delay_alu instid0(TRANS32_DEP_1) | instid1(VALU_DEP_1)
	v_ldexp_f32 v88, v88, v87
	s_wait_alu 0xfffd
	v_dual_mov_b32 v87, v52 :: v_dual_cndmask_b32 v52, 0, v91
	s_wait_alu 0xf1ff
	s_delay_alu instid0(VALU_DEP_2) | instskip(NEXT) | instid1(VALU_DEP_2)
	v_cndmask_b32_e64 v88, 0, v88, s3
	v_cndmask_b32_e64 v52, 0x7f800000, v52, s2
	s_delay_alu instid0(VALU_DEP_2) | instskip(NEXT) | instid1(VALU_DEP_2)
	v_cndmask_b32_e64 v88, 0x7f800000, v88, s4
	v_cvt_f16_f32_e32 v91, v52
	s_delay_alu instid0(VALU_DEP_2) | instskip(NEXT) | instid1(VALU_DEP_1)
	v_cvt_f16_f32_e32 v92, v88
	v_pack_b32_f16 v91, v91, v92
	ds_store_b32 v71, v91
	global_load_b128 v[91:94], v[37:38], off
	v_add_co_u32 v37, vcc_lo, s26, v23
	s_wait_alu 0xfffd
	v_add_co_ci_u32_e64 v38, null, s27, v24, vcc_lo
	s_delay_alu instid0(VALU_DEP_2) | instskip(SKIP_1) | instid1(VALU_DEP_2)
	v_add_co_u32 v37, vcc_lo, v37, v43
	s_wait_alu 0xfffd
	v_add_co_ci_u32_e64 v38, null, 0, v38, vcc_lo
	s_wait_loadcnt 0x0
	ds_store_b128 v62, v[91:94]
	global_load_b128 v[91:94], v[37:38], off
	v_add_co_u32 v37, vcc_lo, s26, v25
	s_wait_alu 0xfffd
	v_add_co_ci_u32_e64 v38, null, s27, v26, vcc_lo
	s_delay_alu instid0(VALU_DEP_2) | instskip(SKIP_1) | instid1(VALU_DEP_2)
	v_add_co_u32 v37, vcc_lo, v37, v43
	s_wait_alu 0xfffd
	v_add_co_ci_u32_e64 v38, null, 0, v38, vcc_lo
	s_wait_loadcnt 0x0
	ds_store_b128 v64, v[91:94]
	global_load_b128 v[91:94], v[37:38], off
	v_add_co_u32 v37, vcc_lo, s26, v27
	s_wait_alu 0xfffd
	v_add_co_ci_u32_e64 v38, null, s27, v28, vcc_lo
	s_delay_alu instid0(VALU_DEP_2) | instskip(SKIP_1) | instid1(VALU_DEP_2)
	v_add_co_u32 v37, vcc_lo, v37, v43
	s_wait_alu 0xfffd
	v_add_co_ci_u32_e64 v38, null, 0, v38, vcc_lo
	s_wait_loadcnt 0x0
	ds_store_b128 v65, v[91:94]
	global_load_b128 v[91:94], v[37:38], off
	v_add_co_u32 v37, vcc_lo, s26, v29
	s_wait_alu 0xfffd
	v_add_co_ci_u32_e64 v38, null, s27, v30, vcc_lo
	s_delay_alu instid0(VALU_DEP_2) | instskip(SKIP_1) | instid1(VALU_DEP_2)
	v_add_co_u32 v37, vcc_lo, v37, v43
	s_wait_alu 0xfffd
	v_add_co_ci_u32_e64 v38, null, 0, v38, vcc_lo
	s_wait_loadcnt 0x0
	ds_store_b128 v66, v[91:94]
	global_load_b128 v[91:94], v[37:38], off
	v_add_co_u32 v37, vcc_lo, s26, v31
	s_wait_alu 0xfffd
	v_add_co_ci_u32_e64 v38, null, s27, v32, vcc_lo
	s_delay_alu instid0(VALU_DEP_2) | instskip(SKIP_1) | instid1(VALU_DEP_2)
	v_add_co_u32 v37, vcc_lo, v37, v43
	s_wait_alu 0xfffd
	v_add_co_ci_u32_e64 v38, null, 0, v38, vcc_lo
	s_wait_loadcnt 0x0
	ds_store_b128 v67, v[91:94]
	global_load_b128 v[91:94], v[37:38], off
	v_add_co_u32 v37, vcc_lo, s26, v33
	s_wait_alu 0xfffd
	v_add_co_ci_u32_e64 v38, null, s27, v34, vcc_lo
	s_delay_alu instid0(VALU_DEP_2) | instskip(SKIP_1) | instid1(VALU_DEP_2)
	v_add_co_u32 v37, vcc_lo, v37, v43
	s_wait_alu 0xfffd
	v_add_co_ci_u32_e64 v38, null, 0, v38, vcc_lo
	s_wait_loadcnt 0x0
	ds_store_b128 v68, v[91:94]
	global_load_b128 v[91:94], v[37:38], off
	v_add_co_u32 v37, vcc_lo, s26, v35
	s_wait_alu 0xfffd
	v_add_co_ci_u32_e64 v38, null, s27, v36, vcc_lo
	s_delay_alu instid0(VALU_DEP_2) | instskip(SKIP_1) | instid1(VALU_DEP_2)
	v_add_co_u32 v37, vcc_lo, v37, v43
	s_wait_alu 0xfffd
	v_add_co_ci_u32_e64 v38, null, 0, v38, vcc_lo
	s_wait_loadcnt 0x0
	ds_store_b128 v69, v[91:94]
	global_load_b128 v[91:94], v[37:38], off
	v_sub_f32_e32 v37, v90, v2
	s_delay_alu instid0(VALU_DEP_1) | instskip(SKIP_2) | instid1(VALU_DEP_3)
	v_mul_f32_e32 v38, 0x3fb8aa3b, v37
	v_cmp_ngt_f32_e32 vcc_lo, 0xc2ce8ed0, v37
	v_cmp_nlt_f32_e64 s2, 0x42b17218, v37
	v_fma_f32 v90, 0x3fb8aa3b, v37, -v38
	s_delay_alu instid0(VALU_DEP_1) | instskip(NEXT) | instid1(VALU_DEP_1)
	v_dual_fmac_f32 v90, 0x32a5705f, v37 :: v_dual_sub_f32 v37, v89, v3
	v_mul_f32_e32 v89, 0x3fb8aa3b, v37
	v_cmp_ngt_f32_e64 s3, 0xc2ce8ed0, v37
	v_cmp_nlt_f32_e64 s4, 0x42b17218, v37
	s_wait_loadcnt 0x0
	ds_store_b128 v70, v[91:94]
	v_fma_f32 v91, 0x3fb8aa3b, v37, -v89
	s_wait_dscnt 0x0
	s_barrier_signal -1
	s_barrier_wait -1
	global_inv scope:SCOPE_SE
	v_fmac_f32_e32 v91, 0x32a5705f, v37
	v_rndne_f32_e32 v37, v38
	s_delay_alu instid0(VALU_DEP_1) | instskip(SKIP_1) | instid1(VALU_DEP_2)
	v_sub_f32_e32 v38, v38, v37
	v_cvt_i32_f32_e32 v37, v37
	v_add_f32_e32 v38, v38, v90
	v_rndne_f32_e32 v90, v89
	s_delay_alu instid0(VALU_DEP_2) | instskip(NEXT) | instid1(VALU_DEP_1)
	v_exp_f32_e32 v38, v38
	v_sub_f32_e32 v89, v89, v90
	s_delay_alu instid0(VALU_DEP_1) | instskip(NEXT) | instid1(TRANS32_DEP_1)
	v_add_f32_e32 v89, v89, v91
	v_ldexp_f32 v37, v38, v37
	s_delay_alu instid0(VALU_DEP_2) | instskip(SKIP_2) | instid1(VALU_DEP_2)
	v_exp_f32_e32 v89, v89
	v_cvt_i32_f32_e32 v38, v90
	s_wait_alu 0xfffd
	v_cndmask_b32_e32 v37, 0, v37, vcc_lo
	s_delay_alu instid0(TRANS32_DEP_1) | instid1(VALU_DEP_2)
	v_ldexp_f32 v38, v89, v38
	s_wait_alu 0xf1ff
	s_delay_alu instid0(VALU_DEP_1) | instskip(NEXT) | instid1(VALU_DEP_3)
	v_cndmask_b32_e64 v89, 0, v38, s3
	v_cndmask_b32_e64 v38, 0x7f800000, v37, s2
	s_delay_alu instid0(VALU_DEP_2) | instskip(NEXT) | instid1(VALU_DEP_2)
	v_cndmask_b32_e64 v37, 0x7f800000, v89, s4
	v_cvt_f16_f32_e32 v89, v38
	s_delay_alu instid0(VALU_DEP_2) | instskip(NEXT) | instid1(VALU_DEP_2)
	v_cvt_f16_f32_e32 v90, v37
	v_and_b32_e32 v89, 0xffff, v89
	s_delay_alu instid0(VALU_DEP_2) | instskip(NEXT) | instid1(VALU_DEP_2)
	v_and_b32_e32 v90, 0xffff, v90
	v_mul_u32_u24_e32 v97, 0x10001, v89
	s_delay_alu instid0(VALU_DEP_2)
	v_mul_u32_u24_e32 v98, 0x10001, v90
	ds_load_b128 v[89:92], v63
	v_pk_mul_f16 v85, v85, v97
	v_pk_mul_f16 v86, v86, v97
	;; [unrolled: 1-line block ×6, first 2 shown]
	s_wait_dscnt 0x0
	v_and_b32_e32 v93, 0xffff, v89
	v_lshrrev_b32_e32 v89, 16, v89
	s_delay_alu instid0(VALU_DEP_2) | instskip(SKIP_4) | instid1(VALU_DEP_2)
	v_mul_u32_u24_e32 v99, 0x10001, v93
	ds_load_2addr_b64 v[93:96], v41 offset1:32
	v_mul_u32_u24_e32 v89, 0x10001, v89
	s_wait_dscnt 0x0
	v_pk_fma_f16 v85, v96, v99, v85
	v_pk_fma_f16 v96, v96, v89, v79
	v_pk_mul_f16 v79, v93, v89
	v_pk_fma_f16 v86, v94, v99, v86
	v_pk_fma_f16 v84, v95, v99, v84
	;; [unrolled: 1-line block ×5, first 2 shown]
	v_and_b32_e32 v79, 0xffff, v90
	v_pk_mul_f16 v99, v93, v99
	v_lshrrev_b32_e32 v90, 16, v90
	s_delay_alu instid0(VALU_DEP_3) | instskip(SKIP_4) | instid1(VALU_DEP_2)
	v_mul_u32_u24_e32 v93, 0x10001, v79
	ds_load_2addr_b64 v[79:82], v41 offset0:64 offset1:96
	v_pk_fma_f16 v83, v83, v97, v99
	v_mul_u32_u24_e32 v90, 0x10001, v90
	s_wait_dscnt 0x0
	v_pk_fma_f16 v83, v79, v93, v83
	s_delay_alu instid0(VALU_DEP_2)
	v_pk_fma_f16 v89, v79, v90, v89
	v_and_b32_e32 v79, 0xffff, v91
	v_pk_fma_f16 v86, v80, v93, v86
	v_pk_fma_f16 v84, v81, v93, v84
	;; [unrolled: 1-line block ×6, first 2 shown]
	v_mul_u32_u24_e32 v90, 0x10001, v79
	ds_load_2addr_b64 v[79:82], v41 offset0:128 offset1:160
	s_wait_dscnt 0x0
	v_pk_fma_f16 v86, v80, v90, v86
	v_pk_fma_f16 v84, v81, v90, v84
	;; [unrolled: 1-line block ×4, first 2 shown]
	v_lshrrev_b32_e32 v90, 16, v91
	s_delay_alu instid0(VALU_DEP_1) | instskip(NEXT) | instid1(VALU_DEP_1)
	v_mul_u32_u24_e32 v90, 0x10001, v90
	v_pk_fma_f16 v89, v79, v90, v89
	v_and_b32_e32 v79, 0xffff, v92
	v_pk_fma_f16 v91, v80, v90, v93
	v_pk_fma_f16 v93, v81, v90, v94
	;; [unrolled: 1-line block ×3, first 2 shown]
	v_lshrrev_b32_e32 v90, 16, v92
	v_mul_u32_u24_e32 v92, 0x10001, v79
	ds_load_2addr_b64 v[79:82], v41 offset0:192 offset1:224
	s_wait_dscnt 0x0
	v_pk_fma_f16 v95, v80, v92, v86
	v_pk_fma_f16 v96, v81, v92, v84
	v_pk_fma_f16 v97, v82, v92, v85
	v_pk_fma_f16 v92, v79, v92, v83
	v_mul_u32_u24_e32 v83, 0x10001, v90
	s_delay_alu instid0(VALU_DEP_1)
	v_pk_fma_f16 v90, v80, v83, v91
	v_pk_fma_f16 v91, v81, v83, v93
	;; [unrolled: 1-line block ×4, first 2 shown]
	ds_load_b128 v[79:82], v63 offset:16
	s_wait_dscnt 0x0
	v_and_b32_e32 v83, 0xffff, v79
	v_lshrrev_b32_e32 v79, 16, v79
	s_delay_alu instid0(VALU_DEP_2) | instskip(SKIP_4) | instid1(VALU_DEP_2)
	v_mul_u32_u24_e32 v94, 0x10001, v83
	ds_load_2addr_b64 v[83:86], v72 offset1:32
	v_mul_u32_u24_e32 v79, 0x10001, v79
	s_wait_dscnt 0x0
	v_pk_fma_f16 v92, v83, v94, v92
	v_pk_fma_f16 v90, v84, v79, v90
	;; [unrolled: 1-line block ×5, first 2 shown]
	v_and_b32_e32 v83, 0xffff, v80
	v_pk_fma_f16 v95, v84, v94, v95
	v_pk_fma_f16 v96, v85, v94, v96
	;; [unrolled: 1-line block ×3, first 2 shown]
	v_lshrrev_b32_e32 v80, 16, v80
	v_mul_u32_u24_e32 v89, 0x10001, v83
	ds_load_2addr_b64 v[83:86], v72 offset0:64 offset1:96
	v_mul_u32_u24_e32 v80, 0x10001, v80
	s_wait_dscnt 0x0
	v_pk_fma_f16 v94, v84, v89, v95
	v_pk_fma_f16 v95, v85, v89, v96
	;; [unrolled: 1-line block ×8, first 2 shown]
	ds_load_2addr_b64 v[83:86], v72 offset0:128 offset1:160
	v_and_b32_e32 v80, 0xffff, v81
	s_delay_alu instid0(VALU_DEP_1) | instskip(SKIP_1) | instid1(VALU_DEP_1)
	v_mul_u32_u24_e32 v80, 0x10001, v80
	s_wait_dscnt 0x0
	v_pk_fma_f16 v93, v84, v80, v94
	v_pk_fma_f16 v94, v85, v80, v95
	;; [unrolled: 1-line block ×4, first 2 shown]
	v_lshrrev_b32_e32 v80, 16, v81
	s_delay_alu instid0(VALU_DEP_1) | instskip(NEXT) | instid1(VALU_DEP_1)
	v_mul_u32_u24_e32 v80, 0x10001, v80
	v_pk_fma_f16 v83, v83, v80, v79
	v_and_b32_e32 v79, 0xffff, v82
	v_pk_fma_f16 v84, v84, v80, v90
	v_pk_fma_f16 v85, v85, v80, v91
	;; [unrolled: 1-line block ×3, first 2 shown]
	v_lshrrev_b32_e32 v90, 16, v82
	v_mul_u32_u24_e32 v91, 0x10001, v79
	ds_load_2addr_b64 v[79:82], v72 offset0:192 offset1:224
	v_mul_u32_u24_e32 v90, 0x10001, v90
	s_wait_dscnt 0x0
	v_pk_fma_f16 v92, v80, v91, v93
	v_pk_fma_f16 v93, v81, v91, v94
	v_pk_fma_f16 v94, v82, v91, v95
	v_pk_fma_f16 v89, v79, v91, v89
	v_pk_fma_f16 v91, v80, v90, v84
	v_pk_fma_f16 v95, v81, v90, v85
	v_pk_fma_f16 v96, v82, v90, v86
	v_pk_fma_f16 v90, v79, v90, v83
	ds_load_b128 v[79:82], v63 offset:32
	s_wait_dscnt 0x0
	v_and_b32_e32 v83, 0xffff, v79
	v_lshrrev_b32_e32 v79, 16, v79
	s_delay_alu instid0(VALU_DEP_2) | instskip(SKIP_4) | instid1(VALU_DEP_2)
	v_mul_u32_u24_e32 v97, 0x10001, v83
	ds_load_2addr_b64 v[83:86], v73 offset1:32
	v_mul_u32_u24_e32 v79, 0x10001, v79
	s_wait_dscnt 0x0
	v_pk_fma_f16 v89, v83, v97, v89
	v_pk_fma_f16 v91, v84, v79, v91
	;; [unrolled: 1-line block ×5, first 2 shown]
	v_and_b32_e32 v83, 0xffff, v80
	v_pk_fma_f16 v92, v84, v97, v92
	v_pk_fma_f16 v93, v85, v97, v93
	v_pk_fma_f16 v94, v86, v97, v94
	v_lshrrev_b32_e32 v80, 16, v80
	v_mul_u32_u24_e32 v90, 0x10001, v83
	ds_load_2addr_b64 v[83:86], v73 offset0:64 offset1:96
	v_mul_u32_u24_e32 v80, 0x10001, v80
	s_wait_dscnt 0x0
	v_pk_fma_f16 v92, v84, v90, v92
	v_pk_fma_f16 v93, v85, v90, v93
	v_pk_fma_f16 v94, v86, v90, v94
	v_pk_fma_f16 v89, v83, v90, v89
	v_pk_fma_f16 v90, v84, v80, v91
	v_pk_fma_f16 v91, v85, v80, v95
	v_pk_fma_f16 v95, v86, v80, v96
	v_pk_fma_f16 v79, v83, v80, v79
	ds_load_2addr_b64 v[83:86], v73 offset0:128 offset1:160
	v_and_b32_e32 v80, 0xffff, v81
	s_delay_alu instid0(VALU_DEP_1) | instskip(SKIP_1) | instid1(VALU_DEP_1)
	v_mul_u32_u24_e32 v80, 0x10001, v80
	s_wait_dscnt 0x0
	v_pk_fma_f16 v92, v84, v80, v92
	v_pk_fma_f16 v93, v85, v80, v93
	;; [unrolled: 1-line block ×4, first 2 shown]
	v_lshrrev_b32_e32 v80, 16, v81
	s_delay_alu instid0(VALU_DEP_1) | instskip(NEXT) | instid1(VALU_DEP_1)
	v_mul_u32_u24_e32 v80, 0x10001, v80
	v_pk_fma_f16 v83, v83, v80, v79
	v_and_b32_e32 v79, 0xffff, v82
	v_pk_fma_f16 v84, v84, v80, v90
	v_pk_fma_f16 v85, v85, v80, v91
	;; [unrolled: 1-line block ×3, first 2 shown]
	v_lshrrev_b32_e32 v90, 16, v82
	v_mul_u32_u24_e32 v91, 0x10001, v79
	ds_load_2addr_b64 v[79:82], v73 offset0:192 offset1:224
	v_mul_u32_u24_e32 v90, 0x10001, v90
	s_wait_dscnt 0x0
	v_pk_fma_f16 v92, v80, v91, v92
	v_pk_fma_f16 v93, v81, v91, v93
	;; [unrolled: 1-line block ×8, first 2 shown]
	ds_load_b128 v[79:82], v63 offset:48
	s_wait_dscnt 0x0
	v_and_b32_e32 v83, 0xffff, v79
	v_lshrrev_b32_e32 v79, 16, v79
	s_delay_alu instid0(VALU_DEP_2) | instskip(SKIP_4) | instid1(VALU_DEP_2)
	v_mul_u32_u24_e32 v97, 0x10001, v83
	ds_load_2addr_b64 v[83:86], v74 offset1:32
	v_mul_u32_u24_e32 v79, 0x10001, v79
	s_wait_dscnt 0x0
	v_pk_fma_f16 v89, v83, v97, v89
	v_pk_fma_f16 v91, v84, v79, v91
	;; [unrolled: 1-line block ×5, first 2 shown]
	v_and_b32_e32 v83, 0xffff, v80
	v_pk_fma_f16 v92, v84, v97, v92
	v_pk_fma_f16 v93, v85, v97, v93
	;; [unrolled: 1-line block ×3, first 2 shown]
	v_lshrrev_b32_e32 v80, 16, v80
	v_mul_u32_u24_e32 v90, 0x10001, v83
	ds_load_2addr_b64 v[83:86], v74 offset0:64 offset1:96
	v_mul_u32_u24_e32 v80, 0x10001, v80
	s_wait_dscnt 0x0
	v_pk_fma_f16 v92, v84, v90, v92
	v_pk_fma_f16 v93, v85, v90, v93
	;; [unrolled: 1-line block ×8, first 2 shown]
	ds_load_2addr_b64 v[83:86], v74 offset0:128 offset1:160
	v_and_b32_e32 v80, 0xffff, v81
	v_fmac_f32_e32 v52, v87, v38
	v_mov_b32_e32 v38, v58
	v_mov_b32_e32 v58, v88
	s_delay_alu instid0(VALU_DEP_4) | instskip(NEXT) | instid1(VALU_DEP_2)
	v_mul_u32_u24_e32 v80, 0x10001, v80
	v_fmac_f32_e32 v58, v38, v37
	s_wait_dscnt 0x0
	s_delay_alu instid0(VALU_DEP_2) | instskip(SKIP_4) | instid1(VALU_DEP_1)
	v_pk_fma_f16 v92, v84, v80, v92
	v_pk_fma_f16 v93, v85, v80, v93
	;; [unrolled: 1-line block ×4, first 2 shown]
	v_lshrrev_b32_e32 v80, 16, v81
	v_mul_u32_u24_e32 v80, 0x10001, v80
	s_delay_alu instid0(VALU_DEP_1)
	v_pk_fma_f16 v83, v83, v80, v79
	v_and_b32_e32 v79, 0xffff, v82
	v_pk_fma_f16 v84, v84, v80, v90
	v_pk_fma_f16 v85, v85, v80, v91
	v_pk_fma_f16 v86, v86, v80, v95
	v_lshrrev_b32_e32 v90, 16, v82
	v_mul_u32_u24_e32 v91, 0x10001, v79
	ds_load_2addr_b64 v[79:82], v74 offset0:192 offset1:224
	v_mul_u32_u24_e32 v90, 0x10001, v90
	s_wait_dscnt 0x0
	v_pk_fma_f16 v92, v80, v91, v92
	v_pk_fma_f16 v93, v81, v91, v93
	v_pk_fma_f16 v94, v82, v91, v94
	v_pk_fma_f16 v89, v79, v91, v89
	v_pk_fma_f16 v91, v80, v90, v84
	v_pk_fma_f16 v95, v81, v90, v85
	v_pk_fma_f16 v96, v82, v90, v86
	v_pk_fma_f16 v90, v79, v90, v83
	ds_load_b128 v[79:82], v63 offset:64
	s_wait_dscnt 0x0
	v_and_b32_e32 v83, 0xffff, v79
	v_lshrrev_b32_e32 v79, 16, v79
	s_delay_alu instid0(VALU_DEP_2) | instskip(SKIP_4) | instid1(VALU_DEP_2)
	v_mul_u32_u24_e32 v97, 0x10001, v83
	ds_load_2addr_b64 v[83:86], v75 offset1:32
	v_mul_u32_u24_e32 v79, 0x10001, v79
	s_wait_dscnt 0x0
	v_pk_fma_f16 v89, v83, v97, v89
	v_pk_fma_f16 v91, v84, v79, v91
	v_pk_fma_f16 v95, v85, v79, v95
	v_pk_fma_f16 v96, v86, v79, v96
	v_pk_fma_f16 v79, v83, v79, v90
	v_and_b32_e32 v83, 0xffff, v80
	v_pk_fma_f16 v92, v84, v97, v92
	v_pk_fma_f16 v93, v85, v97, v93
	v_pk_fma_f16 v94, v86, v97, v94
	v_lshrrev_b32_e32 v80, 16, v80
	v_mul_u32_u24_e32 v90, 0x10001, v83
	ds_load_2addr_b64 v[83:86], v75 offset0:64 offset1:96
	v_mul_u32_u24_e32 v80, 0x10001, v80
	s_wait_dscnt 0x0
	v_pk_fma_f16 v92, v84, v90, v92
	v_pk_fma_f16 v93, v85, v90, v93
	v_pk_fma_f16 v94, v86, v90, v94
	v_pk_fma_f16 v89, v83, v90, v89
	v_pk_fma_f16 v90, v84, v80, v91
	v_pk_fma_f16 v91, v85, v80, v95
	v_pk_fma_f16 v95, v86, v80, v96
	v_pk_fma_f16 v79, v83, v80, v79
	ds_load_2addr_b64 v[83:86], v75 offset0:128 offset1:160
	v_and_b32_e32 v80, 0xffff, v81
	s_delay_alu instid0(VALU_DEP_1) | instskip(SKIP_1) | instid1(VALU_DEP_1)
	v_mul_u32_u24_e32 v80, 0x10001, v80
	s_wait_dscnt 0x0
	v_pk_fma_f16 v92, v84, v80, v92
	v_pk_fma_f16 v93, v85, v80, v93
	v_pk_fma_f16 v94, v86, v80, v94
	v_pk_fma_f16 v89, v83, v80, v89
	v_lshrrev_b32_e32 v80, 16, v81
	s_delay_alu instid0(VALU_DEP_1) | instskip(NEXT) | instid1(VALU_DEP_1)
	v_mul_u32_u24_e32 v80, 0x10001, v80
	v_pk_fma_f16 v83, v83, v80, v79
	v_and_b32_e32 v79, 0xffff, v82
	v_pk_fma_f16 v84, v84, v80, v90
	v_pk_fma_f16 v85, v85, v80, v91
	v_pk_fma_f16 v86, v86, v80, v95
	v_lshrrev_b32_e32 v90, 16, v82
	v_mul_u32_u24_e32 v91, 0x10001, v79
	ds_load_2addr_b64 v[79:82], v75 offset0:192 offset1:224
	v_mul_u32_u24_e32 v90, 0x10001, v90
	s_wait_dscnt 0x0
	v_pk_fma_f16 v92, v80, v91, v92
	v_pk_fma_f16 v93, v81, v91, v93
	v_pk_fma_f16 v94, v82, v91, v94
	v_pk_fma_f16 v89, v79, v91, v89
	v_pk_fma_f16 v91, v80, v90, v84
	v_pk_fma_f16 v95, v81, v90, v85
	v_pk_fma_f16 v96, v82, v90, v86
	v_pk_fma_f16 v90, v79, v90, v83
	ds_load_b128 v[79:82], v63 offset:80
	s_wait_dscnt 0x0
	v_and_b32_e32 v83, 0xffff, v79
	v_lshrrev_b32_e32 v79, 16, v79
	s_delay_alu instid0(VALU_DEP_2) | instskip(SKIP_4) | instid1(VALU_DEP_2)
	v_mul_u32_u24_e32 v97, 0x10001, v83
	ds_load_2addr_b64 v[83:86], v76 offset1:32
	v_mul_u32_u24_e32 v79, 0x10001, v79
	s_wait_dscnt 0x0
	v_pk_fma_f16 v89, v83, v97, v89
	v_pk_fma_f16 v91, v84, v79, v91
	v_pk_fma_f16 v95, v85, v79, v95
	v_pk_fma_f16 v96, v86, v79, v96
	v_pk_fma_f16 v79, v83, v79, v90
	v_and_b32_e32 v83, 0xffff, v80
	v_pk_fma_f16 v92, v84, v97, v92
	v_pk_fma_f16 v93, v85, v97, v93
	v_pk_fma_f16 v94, v86, v97, v94
	v_lshrrev_b32_e32 v80, 16, v80
	v_mul_u32_u24_e32 v90, 0x10001, v83
	ds_load_2addr_b64 v[83:86], v76 offset0:64 offset1:96
	v_mul_u32_u24_e32 v80, 0x10001, v80
	s_wait_dscnt 0x0
	v_pk_fma_f16 v92, v84, v90, v92
	v_pk_fma_f16 v93, v85, v90, v93
	v_pk_fma_f16 v94, v86, v90, v94
	v_pk_fma_f16 v89, v83, v90, v89
	v_pk_fma_f16 v90, v84, v80, v91
	v_pk_fma_f16 v91, v85, v80, v95
	v_pk_fma_f16 v95, v86, v80, v96
	v_pk_fma_f16 v79, v83, v80, v79
	ds_load_2addr_b64 v[83:86], v76 offset0:128 offset1:160
	v_and_b32_e32 v80, 0xffff, v81
	s_delay_alu instid0(VALU_DEP_1) | instskip(SKIP_1) | instid1(VALU_DEP_1)
	v_mul_u32_u24_e32 v80, 0x10001, v80
	s_wait_dscnt 0x0
	v_pk_fma_f16 v92, v84, v80, v92
	v_pk_fma_f16 v93, v85, v80, v93
	v_pk_fma_f16 v94, v86, v80, v94
	v_pk_fma_f16 v89, v83, v80, v89
	v_lshrrev_b32_e32 v80, 16, v81
	s_delay_alu instid0(VALU_DEP_1) | instskip(NEXT) | instid1(VALU_DEP_1)
	v_mul_u32_u24_e32 v80, 0x10001, v80
	;; [unrolled: 61-line block ×3, first 2 shown]
	v_pk_fma_f16 v83, v83, v80, v79
	v_and_b32_e32 v79, 0xffff, v82
	v_pk_fma_f16 v84, v84, v80, v90
	v_pk_fma_f16 v85, v85, v80, v91
	;; [unrolled: 1-line block ×3, first 2 shown]
	v_lshrrev_b32_e32 v90, 16, v82
	v_mul_u32_u24_e32 v91, 0x10001, v79
	ds_load_2addr_b64 v[79:82], v77 offset0:192 offset1:224
	v_mul_u32_u24_e32 v90, 0x10001, v90
	s_wait_dscnt 0x0
	v_pk_fma_f16 v92, v80, v91, v92
	v_pk_fma_f16 v93, v81, v91, v93
	;; [unrolled: 1-line block ×8, first 2 shown]
	ds_load_b128 v[79:82], v63 offset:112
	s_wait_dscnt 0x0
	v_and_b32_e32 v83, 0xffff, v79
	v_lshrrev_b32_e32 v79, 16, v79
	s_delay_alu instid0(VALU_DEP_2) | instskip(SKIP_4) | instid1(VALU_DEP_2)
	v_mul_u32_u24_e32 v97, 0x10001, v83
	ds_load_2addr_b64 v[83:86], v78 offset1:32
	v_mul_u32_u24_e32 v79, 0x10001, v79
	s_wait_dscnt 0x0
	v_pk_fma_f16 v89, v83, v97, v89
	v_pk_fma_f16 v91, v84, v79, v91
	;; [unrolled: 1-line block ×5, first 2 shown]
	v_and_b32_e32 v83, 0xffff, v80
	v_pk_fma_f16 v92, v84, v97, v92
	v_pk_fma_f16 v93, v85, v97, v93
	;; [unrolled: 1-line block ×3, first 2 shown]
	v_lshrrev_b32_e32 v80, 16, v80
	v_mul_u32_u24_e32 v90, 0x10001, v83
	ds_load_2addr_b64 v[83:86], v78 offset0:64 offset1:96
	v_mul_u32_u24_e32 v80, 0x10001, v80
	s_wait_dscnt 0x0
	v_pk_fma_f16 v92, v84, v90, v92
	v_pk_fma_f16 v93, v85, v90, v93
	;; [unrolled: 1-line block ×8, first 2 shown]
	ds_load_2addr_b64 v[83:86], v78 offset0:128 offset1:160
	v_and_b32_e32 v80, 0xffff, v81
	v_lshrrev_b32_e32 v81, 16, v81
	s_delay_alu instid0(VALU_DEP_2) | instskip(NEXT) | instid1(VALU_DEP_2)
	v_mul_u32_u24_e32 v80, 0x10001, v80
	v_mul_u32_u24_e32 v81, 0x10001, v81
	s_wait_dscnt 0x0
	s_delay_alu instid0(VALU_DEP_2)
	v_pk_fma_f16 v96, v84, v80, v92
	v_pk_fma_f16 v93, v85, v80, v93
	;; [unrolled: 1-line block ×6, first 2 shown]
	ds_load_2addr_b64 v[89:92], v78 offset0:192 offset1:224
	s_wait_loadcnt_dscnt 0x0
	s_barrier_signal -1
	s_barrier_wait -1
	global_inv scope:SCOPE_SE
	s_load_b32 s2, s[24:25], 0x4
	v_pk_fma_f16 v95, v86, v81, v95
	v_pk_fma_f16 v81, v83, v81, v79
	v_and_b32_e32 v79, 0xffff, v82
	v_lshrrev_b32_e32 v82, 16, v82
	s_delay_alu instid0(VALU_DEP_2) | instskip(NEXT) | instid1(VALU_DEP_1)
	v_mul_u32_u24_e32 v79, 0x10001, v79
	v_pk_fma_f16 v84, v91, v79, v93
	s_delay_alu instid0(VALU_DEP_3)
	v_mul_u32_u24_e32 v93, 0x10001, v82
	v_pk_fma_f16 v86, v90, v79, v96
	v_pk_fma_f16 v85, v92, v79, v94
	;; [unrolled: 1-line block ×3, first 2 shown]
	s_wait_kmcnt 0x0
	s_lshl_b32 s2, s2, 5
	v_pk_fma_f16 v82, v90, v93, v97
	v_pk_fma_f16 v80, v91, v93, v98
	;; [unrolled: 1-line block ×4, first 2 shown]
	s_wait_alu 0xfffe
	s_add_co_i32 s14, s2, s14
	s_wait_alu 0xfffe
	s_cmp_ge_i32 s14, s30
	s_cbranch_scc0 .LBB9_9
; %bb.10:
	v_mov_b32_e32 v5, v42
.LBB9_11:
	v_cmp_lt_i32_e32 vcc_lo, v51, v44
	s_cmp_lg_u64 s[12:13], 0
	s_cselect_b32 s2, -1, 0
	s_cmp_eq_u32 s10, 0
	s_wait_alu 0xfffd
	v_cndmask_b32_e32 v4, v5, v51, vcc_lo
	v_cmp_lt_i32_e32 vcc_lo, v49, v44
	s_cselect_b32 s3, -1, 0
	s_wait_alu 0xfffe
	s_and_b32 s2, s3, s2
	s_wait_alu 0xfffd
	v_cndmask_b32_e32 v7, v5, v49, vcc_lo
	v_cmp_lt_i32_e32 vcc_lo, v47, v44
	s_wait_alu 0xfffd
	v_cndmask_b32_e32 v9, v5, v47, vcc_lo
	v_cmp_lt_i32_e32 vcc_lo, v46, v44
	s_delay_alu instid0(VALU_DEP_2)
	v_lshlrev_b32_e32 v9, 2, v9
	v_lshlrev_b32_e32 v4, 2, v4
	ds_bpermute_b32 v6, v4, v52
	ds_bpermute_b32 v4, v4, v58
	s_wait_dscnt 0x1
	v_dual_add_f32 v6, v52, v6 :: v_dual_lshlrev_b32 v7, 2, v7
	s_wait_dscnt 0x0
	v_add_f32_e32 v4, v58, v4
	ds_bpermute_b32 v8, v7, v6
	ds_bpermute_b32 v7, v7, v4
	s_wait_dscnt 0x1
	v_add_f32_e32 v6, v6, v8
	s_wait_dscnt 0x0
	v_add_f32_e32 v4, v4, v7
	ds_bpermute_b32 v7, v9, v6
	ds_bpermute_b32 v8, v9, v4
	s_wait_alu 0xfffd
	v_cndmask_b32_e32 v9, v5, v46, vcc_lo
	v_cmp_lt_i32_e32 vcc_lo, v45, v44
	s_delay_alu instid0(VALU_DEP_2)
	v_lshlrev_b32_e32 v9, 2, v9
	s_wait_alu 0xfffd
	v_cndmask_b32_e32 v5, v5, v45, vcc_lo
	s_wait_alu 0xfffe
	s_and_b32 vcc_lo, exec_lo, s2
	s_mov_b32 s2, 0
	s_wait_dscnt 0x1
	v_dual_add_f32 v6, v6, v7 :: v_dual_lshlrev_b32 v5, 2, v5
	s_wait_dscnt 0x0
	v_add_f32_e32 v4, v4, v8
	ds_bpermute_b32 v7, v9, v6
	ds_bpermute_b32 v8, v9, v4
	s_wait_dscnt 0x0
	v_dual_add_f32 v6, v6, v7 :: v_dual_add_f32 v7, v4, v8
	v_add_nc_u32_e32 v8, s33, v40
	ds_bpermute_b32 v4, v5, v6
	ds_bpermute_b32 v5, v5, v7
	s_wait_dscnt 0x0
	v_dual_add_f32 v4, v6, v4 :: v_dual_add_f32 v5, v7, v5
	s_wait_alu 0xfffe
	s_cbranch_vccnz .LBB9_14
; %bb.12:
	s_delay_alu instid0(VALU_DEP_1) | instskip(NEXT) | instid1(VALU_DEP_2)
	v_mov_b32_e32 v7, v5
	v_dual_mov_b32 v6, v4 :: v_dual_add_nc_u32 v9, s33, v40
	s_and_not1_b32 vcc_lo, exec_lo, s2
	s_wait_alu 0xfffe
	s_cbranch_vccz .LBB9_15
; %bb.13:
	s_delay_alu instid0(VALU_DEP_1)
	v_mov_b32_e32 v8, v9
	s_branch .LBB9_16
.LBB9_14:
                                        ; implicit-def: $vgpr9
                                        ; implicit-def: $vgpr6_vgpr7
.LBB9_15:
	v_ashrrev_i32_e32 v9, 31, v8
	v_max_num_f32_e32 v11, v3, v3
	s_delay_alu instid0(VALU_DEP_2) | instskip(NEXT) | instid1(VALU_DEP_1)
	v_lshlrev_b64_e32 v[6:7], 2, v[8:9]
	v_add_co_u32 v6, vcc_lo, s12, v6
	s_wait_alu 0xfffd
	s_delay_alu instid0(VALU_DEP_2) | instskip(SKIP_4) | instid1(VALU_DEP_1)
	v_add_co_ci_u32_e64 v7, null, s13, v7, vcc_lo
	global_load_b64 v[6:7], v[6:7], off
	s_wait_loadcnt 0x0
	v_dual_max_num_f32 v9, v2, v2 :: v_dual_max_num_f32 v12, v7, v7
	v_max_num_f32_e32 v10, v6, v6
	v_dual_max_num_f32 v9, v9, v10 :: v_dual_max_num_f32 v10, v11, v12
	s_delay_alu instid0(VALU_DEP_1) | instskip(SKIP_1) | instid1(VALU_DEP_2)
	v_dual_sub_f32 v2, v2, v9 :: v_dual_sub_f32 v3, v3, v10
	v_dual_sub_f32 v6, v6, v9 :: v_dual_sub_f32 v7, v7, v10
	v_mul_f32_e32 v11, 0x3fb8aa3b, v2
	s_delay_alu instid0(VALU_DEP_2) | instskip(NEXT) | instid1(VALU_DEP_3)
	v_dual_mul_f32 v13, 0x3fb8aa3b, v3 :: v_dual_mul_f32 v12, 0x3fb8aa3b, v6
	v_mul_f32_e32 v14, 0x3fb8aa3b, v7
	v_cmp_ngt_f32_e32 vcc_lo, 0xc2ce8ed0, v2
	s_delay_alu instid0(VALU_DEP_4) | instskip(NEXT) | instid1(VALU_DEP_4)
	v_fma_f32 v15, 0x3fb8aa3b, v2, -v11
	v_fma_f32 v19, 0x3fb8aa3b, v3, -v13
	v_rndne_f32_e32 v16, v11
	v_fma_f32 v21, 0x3fb8aa3b, v7, -v14
	v_rndne_f32_e32 v22, v14
	;; [unrolled: 2-line block ×3, first 2 shown]
	v_fmac_f32_e32 v19, 0x32a5705f, v3
	s_delay_alu instid0(VALU_DEP_4) | instskip(NEXT) | instid1(VALU_DEP_3)
	v_dual_fmac_f32 v21, 0x32a5705f, v7 :: v_dual_sub_f32 v14, v14, v22
	v_dual_sub_f32 v11, v11, v16 :: v_dual_sub_f32 v12, v12, v18
	v_fmac_f32_e32 v17, 0x32a5705f, v6
	v_rndne_f32_e32 v20, v13
	s_delay_alu instid0(VALU_DEP_4) | instskip(NEXT) | instid1(VALU_DEP_3)
	v_dual_add_f32 v14, v14, v21 :: v_dual_fmac_f32 v15, 0x32a5705f, v2
	v_add_f32_e32 v12, v12, v17
	s_delay_alu instid0(VALU_DEP_3) | instskip(NEXT) | instid1(VALU_DEP_3)
	v_cvt_i32_f32_e32 v17, v20
	v_exp_f32_e32 v14, v14
	s_delay_alu instid0(VALU_DEP_3) | instskip(SKIP_3) | instid1(VALU_DEP_3)
	v_add_f32_e32 v11, v11, v15
	v_cvt_i32_f32_e32 v15, v16
	v_exp_f32_e32 v12, v12
	v_cvt_i32_f32_e32 v16, v18
	v_exp_f32_e32 v11, v11
	s_delay_alu instid0(TRANS32_DEP_2) | instid1(VALU_DEP_1)
	v_ldexp_f32 v12, v12, v16
	s_delay_alu instid0(TRANS32_DEP_1) | instskip(SKIP_2) | instid1(VALU_DEP_2)
	v_ldexp_f32 v11, v11, v15
	v_cvt_i32_f32_e32 v15, v22
	s_wait_alu 0xfffd
	v_cndmask_b32_e32 v11, 0, v11, vcc_lo
	v_sub_f32_e32 v13, v13, v20
	v_cmp_ngt_f32_e32 vcc_lo, 0xc2ce8ed0, v3
	v_ldexp_f32 v14, v14, v15
	s_delay_alu instid0(VALU_DEP_3) | instskip(NEXT) | instid1(VALU_DEP_1)
	v_add_f32_e32 v13, v13, v19
	v_exp_f32_e32 v13, v13
	s_delay_alu instid0(TRANS32_DEP_1) | instskip(SKIP_1) | instid1(VALU_DEP_1)
	v_ldexp_f32 v13, v13, v17
	s_wait_alu 0xfffd
	v_cndmask_b32_e32 v13, 0, v13, vcc_lo
	v_cmp_nlt_f32_e32 vcc_lo, 0x42b17218, v2
	s_wait_alu 0xfffd
	v_cndmask_b32_e32 v2, 0x7f800000, v11, vcc_lo
	v_cmp_ngt_f32_e32 vcc_lo, 0xc2ce8ed0, v6
	s_wait_alu 0xfffd
	v_cndmask_b32_e32 v11, 0, v12, vcc_lo
	v_cmp_nlt_f32_e32 vcc_lo, 0x42b17218, v3
	v_cvt_f16_f32_e32 v3, v2
	s_wait_alu 0xfffd
	v_cndmask_b32_e32 v12, 0x7f800000, v13, vcc_lo
	v_cmp_ngt_f32_e32 vcc_lo, 0xc2ce8ed0, v7
	s_delay_alu instid0(VALU_DEP_3)
	v_and_b32_e32 v3, 0xffff, v3
	s_wait_alu 0xfffd
	v_cndmask_b32_e32 v13, 0, v14, vcc_lo
	v_cmp_nlt_f32_e32 vcc_lo, 0x42b17218, v6
	s_wait_alu 0xfffd
	v_cndmask_b32_e32 v6, 0x7f800000, v11, vcc_lo
	v_cvt_f16_f32_e32 v11, v12
	v_cmp_nlt_f32_e32 vcc_lo, 0x42b17218, v7
	s_delay_alu instid0(VALU_DEP_2) | instskip(SKIP_4) | instid1(VALU_DEP_3)
	v_dual_fmac_f32 v6, v4, v2 :: v_dual_and_b32 v11, 0xffff, v11
	s_wait_alu 0xfffd
	v_cndmask_b32_e32 v7, 0x7f800000, v13, vcc_lo
	v_mul_u32_u24_e32 v13, 0x10001, v3
	v_dual_mov_b32 v2, v9 :: v_dual_mov_b32 v3, v10
	v_dual_mov_b32 v4, v6 :: v_dual_fmac_f32 v7, v5, v12
	v_mul_u32_u24_e32 v5, 0x10001, v11
	s_delay_alu instid0(VALU_DEP_4)
	v_pk_mul_f16 v83, v83, v13
	v_pk_mul_f16 v86, v86, v13
	;; [unrolled: 1-line block ×8, first 2 shown]
	v_mov_b32_e32 v5, v7
.LBB9_16:
	s_load_b32 s1, s[0:1], 0xd4
	v_mov_b32_e32 v9, 1.0
	s_wait_kmcnt 0x0
	s_cmp_lg_u32 s1, 1
	s_cselect_b32 s3, -1, 0
	s_cmp_eq_u32 s1, 1
	s_cselect_b32 s2, -1, 0
	s_wait_alu 0xfffe
	s_and_b32 vcc_lo, exec_lo, s3
	s_wait_alu 0xfffe
	s_cbranch_vccnz .LBB9_18
; %bb.17:
	v_div_scale_f32 v9, null, v4, v4, 1.0
	s_delay_alu instid0(VALU_DEP_1) | instskip(NEXT) | instid1(TRANS32_DEP_1)
	v_rcp_f32_e32 v10, v9
	v_fma_f32 v11, -v9, v10, 1.0
	s_delay_alu instid0(VALU_DEP_1) | instskip(SKIP_1) | instid1(VALU_DEP_1)
	v_fmac_f32_e32 v10, v11, v10
	v_div_scale_f32 v11, vcc_lo, 1.0, v4, 1.0
	v_mul_f32_e32 v12, v11, v10
	s_delay_alu instid0(VALU_DEP_1) | instskip(NEXT) | instid1(VALU_DEP_1)
	v_fma_f32 v13, -v9, v12, v11
	v_fmac_f32_e32 v12, v13, v10
	s_delay_alu instid0(VALU_DEP_1) | instskip(SKIP_1) | instid1(VALU_DEP_1)
	v_fma_f32 v9, -v9, v12, v11
	s_wait_alu 0xfffd
	v_div_fmas_f32 v9, v9, v10, v12
	s_delay_alu instid0(VALU_DEP_1)
	v_div_fixup_f32 v9, v9, v4, 1.0
.LBB9_18:
	v_mad_co_u64_u32 v[10:11], null, s28, s22, v[1:2]
	v_cmp_eq_u32_e32 vcc_lo, 0, v0
	v_lshrrev_b32_e32 v4, 16, v86
	v_lshrrev_b32_e32 v13, 16, v85
	v_lshrrev_b32_e32 v14, 16, v84
	v_cvt_f32_f16_e32 v11, v83
	v_cvt_f32_f16_e32 v15, v84
	v_mad_co_u64_u32 v[0:1], null, v10, s23, v[8:9]
	v_cvt_f32_f16_e32 v8, v86
	v_lshrrev_b32_e32 v10, 16, v83
	v_mov_b32_e32 v19, 0
	v_cvt_f32_f16_e32 v4, v4
	v_cvt_f32_f16_e32 v17, v13
	v_mul_f32_e32 v12, v9, v8
	v_mad_co_u64_u32 v[0:1], null, s1, v0, s[10:11]
	v_cvt_f32_f16_e32 v1, v85
	v_cvt_f32_f16_e32 v8, v10
	v_mul_f32_e32 v10, v9, v11
	v_mul_f32_e32 v17, v9, v17
	;; [unrolled: 1-line block ×4, first 2 shown]
	v_lshl_add_u32 v18, v0, 8, v39
	v_cvt_f32_f16_e32 v1, v14
	v_mul_f32_e32 v14, v9, v15
	v_mul_f32_e32 v11, v9, v8
	s_delay_alu instid0(VALU_DEP_4) | instskip(NEXT) | instid1(VALU_DEP_4)
	v_lshlrev_b64_e32 v[20:21], 2, v[18:19]
	v_dual_mul_f32 v15, v9, v1 :: v_dual_add_nc_u32 v18, 0x80, v18
	s_delay_alu instid0(VALU_DEP_1) | instskip(NEXT) | instid1(VALU_DEP_3)
	v_lshlrev_b64_e32 v[8:9], 2, v[18:19]
	v_add_co_u32 v18, s0, s16, v20
	s_wait_alu 0xf1ff
	s_delay_alu instid0(VALU_DEP_4) | instskip(NEXT) | instid1(VALU_DEP_3)
	v_add_co_ci_u32_e64 v19, null, s17, v21, s0
	v_add_co_u32 v8, s0, s16, v8
	s_wait_alu 0xf1ff
	v_add_co_ci_u32_e64 v9, null, s17, v9, s0
	s_and_b32 s0, vcc_lo, s3
	s_clause 0x1
	global_store_b128 v[18:19], v[10:13], off
	global_store_b128 v[8:9], v[14:17], off
	s_wait_alu 0xfffe
	s_and_saveexec_b32 s3, s0
	s_cbranch_execz .LBB9_20
; %bb.19:
	v_ashrrev_i32_e32 v1, 31, v0
	s_delay_alu instid0(VALU_DEP_1) | instskip(SKIP_1) | instid1(VALU_DEP_2)
	v_lshlrev_b64_e32 v[8:9], 3, v[0:1]
	v_dual_mov_b32 v1, v2 :: v_dual_mov_b32 v2, v6
	v_add_co_u32 v8, vcc_lo, s18, v8
	s_wait_alu 0xfffd
	s_delay_alu instid0(VALU_DEP_3)
	v_add_co_ci_u32_e64 v9, null, s19, v9, vcc_lo
	global_store_b64 v[8:9], v[1:2], off
.LBB9_20:
	s_wait_alu 0xfffe
	s_or_b32 exec_lo, exec_lo, s3
	v_mov_b32_e32 v1, 1.0
	s_and_not1_b32 vcc_lo, exec_lo, s2
	s_wait_alu 0xfffe
	s_cbranch_vccnz .LBB9_22
; %bb.21:
	v_div_scale_f32 v1, null, v5, v5, 1.0
	s_delay_alu instid0(VALU_DEP_1) | instskip(NEXT) | instid1(TRANS32_DEP_1)
	v_rcp_f32_e32 v2, v1
	v_fma_f32 v4, -v1, v2, 1.0
	s_delay_alu instid0(VALU_DEP_1) | instskip(SKIP_1) | instid1(VALU_DEP_1)
	v_fmac_f32_e32 v2, v4, v2
	v_div_scale_f32 v4, vcc_lo, 1.0, v5, 1.0
	v_mul_f32_e32 v6, v4, v2
	s_delay_alu instid0(VALU_DEP_1) | instskip(NEXT) | instid1(VALU_DEP_1)
	v_fma_f32 v8, -v1, v6, v4
	v_fmac_f32_e32 v6, v8, v2
	s_delay_alu instid0(VALU_DEP_1) | instskip(SKIP_1) | instid1(VALU_DEP_1)
	v_fma_f32 v1, -v1, v6, v4
	s_wait_alu 0xfffd
	v_div_fmas_f32 v1, v1, v2, v6
	s_delay_alu instid0(VALU_DEP_1)
	v_div_fixup_f32 v1, v1, v5, 1.0
.LBB9_22:
	v_lshrrev_b32_e32 v2, 16, v82
	v_dual_mov_b32 v5, 0 :: v_dual_add_nc_u32 v0, s1, v0
	v_lshrrev_b32_e32 v6, 16, v81
	v_cvt_f32_f16_e32 v8, v82
	s_delay_alu instid0(VALU_DEP_4) | instskip(NEXT) | instid1(VALU_DEP_4)
	v_cvt_f32_f16_e32 v2, v2
	v_lshl_add_u32 v4, v0, 8, v39
	v_cvt_f32_f16_e32 v14, v81
	v_cvt_f32_f16_e32 v6, v6
	;; [unrolled: 1-line block ×3, first 2 shown]
	v_mul_f32_e32 v11, v1, v2
	v_lshlrev_b64_e32 v[12:13], 2, v[4:5]
	s_delay_alu instid0(VALU_DEP_4) | instskip(SKIP_3) | instid1(VALU_DEP_4)
	v_dual_mul_f32 v9, v1, v6 :: v_dual_add_nc_u32 v4, 0x80, v4
	v_lshrrev_b32_e32 v2, 16, v79
	v_lshrrev_b32_e32 v6, 16, v80
	v_mul_f32_e32 v10, v1, v8
	v_lshlrev_b64_e32 v[4:5], 2, v[4:5]
	v_add_co_u32 v16, vcc_lo, s16, v12
	v_cvt_f32_f16_e32 v2, v2
	v_cvt_f32_f16_e32 v12, v79
	;; [unrolled: 1-line block ×3, first 2 shown]
	v_mul_f32_e32 v8, v1, v14
	s_wait_alu 0xfffd
	v_add_co_ci_u32_e64 v17, null, s17, v13, vcc_lo
	v_mul_f32_e32 v15, v1, v2
	v_mul_f32_e32 v14, v1, v12
	;; [unrolled: 1-line block ×4, first 2 shown]
	v_add_co_u32 v1, vcc_lo, s16, v4
	s_wait_alu 0xfffd
	v_add_co_ci_u32_e64 v2, null, s17, v5, vcc_lo
	s_clause 0x1
	global_store_b128 v[16:17], v[8:11], off
	global_store_b128 v[1:2], v[12:15], off
	s_and_saveexec_b32 s1, s0
	s_cbranch_execz .LBB9_24
; %bb.23:
	v_ashrrev_i32_e32 v1, 31, v0
	v_mov_b32_e32 v6, v3
	s_delay_alu instid0(VALU_DEP_2) | instskip(NEXT) | instid1(VALU_DEP_1)
	v_lshlrev_b64_e32 v[0:1], 3, v[0:1]
	v_add_co_u32 v0, vcc_lo, s18, v0
	s_wait_alu 0xfffd
	s_delay_alu instid0(VALU_DEP_2)
	v_add_co_ci_u32_e64 v1, null, s19, v1, vcc_lo
	global_store_b64 v[0:1], v[6:7], off
.LBB9_24:
	s_nop 0
	s_sendmsg sendmsg(MSG_DEALLOC_VGPRS)
	s_endpgm
	.section	.rodata,"a",@progbits
	.p2align	6, 0x0
	.amdhsa_kernel _ZL15flash_attn_tileILi256ELi256ELi1ELi8ELb0EEvPKcS1_S1_S1_S1_PKiPfP15HIP_vector_typeIfLj2EEffffjfiS5_IjLj3EEiiiiiiiiiiiliiliiiiil
		.amdhsa_group_segment_fixed_size 21504
		.amdhsa_private_segment_fixed_size 0
		.amdhsa_kernarg_size 464
		.amdhsa_user_sgpr_count 2
		.amdhsa_user_sgpr_dispatch_ptr 0
		.amdhsa_user_sgpr_queue_ptr 0
		.amdhsa_user_sgpr_kernarg_segment_ptr 1
		.amdhsa_user_sgpr_dispatch_id 0
		.amdhsa_user_sgpr_private_segment_size 0
		.amdhsa_wavefront_size32 1
		.amdhsa_uses_dynamic_stack 0
		.amdhsa_enable_private_segment 0
		.amdhsa_system_sgpr_workgroup_id_x 1
		.amdhsa_system_sgpr_workgroup_id_y 1
		.amdhsa_system_sgpr_workgroup_id_z 1
		.amdhsa_system_sgpr_workgroup_info 0
		.amdhsa_system_vgpr_workitem_id 1
		.amdhsa_next_free_vgpr 217
		.amdhsa_next_free_sgpr 42
		.amdhsa_reserve_vcc 1
		.amdhsa_float_round_mode_32 0
		.amdhsa_float_round_mode_16_64 0
		.amdhsa_float_denorm_mode_32 3
		.amdhsa_float_denorm_mode_16_64 3
		.amdhsa_fp16_overflow 0
		.amdhsa_workgroup_processor_mode 1
		.amdhsa_memory_ordered 1
		.amdhsa_forward_progress 1
		.amdhsa_inst_pref_size 86
		.amdhsa_round_robin_scheduling 0
		.amdhsa_exception_fp_ieee_invalid_op 0
		.amdhsa_exception_fp_denorm_src 0
		.amdhsa_exception_fp_ieee_div_zero 0
		.amdhsa_exception_fp_ieee_overflow 0
		.amdhsa_exception_fp_ieee_underflow 0
		.amdhsa_exception_fp_ieee_inexact 0
		.amdhsa_exception_int_div_zero 0
	.end_amdhsa_kernel
	.section	.text._ZL15flash_attn_tileILi256ELi256ELi1ELi8ELb0EEvPKcS1_S1_S1_S1_PKiPfP15HIP_vector_typeIfLj2EEffffjfiS5_IjLj3EEiiiiiiiiiiiliiliiiiil,"axG",@progbits,_ZL15flash_attn_tileILi256ELi256ELi1ELi8ELb0EEvPKcS1_S1_S1_S1_PKiPfP15HIP_vector_typeIfLj2EEffffjfiS5_IjLj3EEiiiiiiiiiiiliiliiiiil,comdat
.Lfunc_end9:
	.size	_ZL15flash_attn_tileILi256ELi256ELi1ELi8ELb0EEvPKcS1_S1_S1_S1_PKiPfP15HIP_vector_typeIfLj2EEffffjfiS5_IjLj3EEiiiiiiiiiiiliiliiiiil, .Lfunc_end9-_ZL15flash_attn_tileILi256ELi256ELi1ELi8ELb0EEvPKcS1_S1_S1_S1_PKiPfP15HIP_vector_typeIfLj2EEffffjfiS5_IjLj3EEiiiiiiiiiiiliiliiiiil
                                        ; -- End function
	.set _ZL15flash_attn_tileILi256ELi256ELi1ELi8ELb0EEvPKcS1_S1_S1_S1_PKiPfP15HIP_vector_typeIfLj2EEffffjfiS5_IjLj3EEiiiiiiiiiiiliiliiiiil.num_vgpr, 100
	.set _ZL15flash_attn_tileILi256ELi256ELi1ELi8ELb0EEvPKcS1_S1_S1_S1_PKiPfP15HIP_vector_typeIfLj2EEffffjfiS5_IjLj3EEiiiiiiiiiiiliiliiiiil.num_agpr, 0
	.set _ZL15flash_attn_tileILi256ELi256ELi1ELi8ELb0EEvPKcS1_S1_S1_S1_PKiPfP15HIP_vector_typeIfLj2EEffffjfiS5_IjLj3EEiiiiiiiiiiiliiliiiiil.numbered_sgpr, 42
	.set _ZL15flash_attn_tileILi256ELi256ELi1ELi8ELb0EEvPKcS1_S1_S1_S1_PKiPfP15HIP_vector_typeIfLj2EEffffjfiS5_IjLj3EEiiiiiiiiiiiliiliiiiil.num_named_barrier, 0
	.set _ZL15flash_attn_tileILi256ELi256ELi1ELi8ELb0EEvPKcS1_S1_S1_S1_PKiPfP15HIP_vector_typeIfLj2EEffffjfiS5_IjLj3EEiiiiiiiiiiiliiliiiiil.private_seg_size, 0
	.set _ZL15flash_attn_tileILi256ELi256ELi1ELi8ELb0EEvPKcS1_S1_S1_S1_PKiPfP15HIP_vector_typeIfLj2EEffffjfiS5_IjLj3EEiiiiiiiiiiiliiliiiiil.uses_vcc, 1
	.set _ZL15flash_attn_tileILi256ELi256ELi1ELi8ELb0EEvPKcS1_S1_S1_S1_PKiPfP15HIP_vector_typeIfLj2EEffffjfiS5_IjLj3EEiiiiiiiiiiiliiliiiiil.uses_flat_scratch, 0
	.set _ZL15flash_attn_tileILi256ELi256ELi1ELi8ELb0EEvPKcS1_S1_S1_S1_PKiPfP15HIP_vector_typeIfLj2EEffffjfiS5_IjLj3EEiiiiiiiiiiiliiliiiiil.has_dyn_sized_stack, 0
	.set _ZL15flash_attn_tileILi256ELi256ELi1ELi8ELb0EEvPKcS1_S1_S1_S1_PKiPfP15HIP_vector_typeIfLj2EEffffjfiS5_IjLj3EEiiiiiiiiiiiliiliiiiil.has_recursion, 0
	.set _ZL15flash_attn_tileILi256ELi256ELi1ELi8ELb0EEvPKcS1_S1_S1_S1_PKiPfP15HIP_vector_typeIfLj2EEffffjfiS5_IjLj3EEiiiiiiiiiiiliiliiiiil.has_indirect_call, 0
	.section	.AMDGPU.csdata,"",@progbits
; Kernel info:
; codeLenInByte = 11004
; TotalNumSgprs: 44
; NumVgprs: 100
; ScratchSize: 0
; MemoryBound: 0
; FloatMode: 240
; IeeeMode: 1
; LDSByteSize: 21504 bytes/workgroup (compile time only)
; SGPRBlocks: 0
; VGPRBlocks: 27
; NumSGPRsForWavesPerEU: 44
; NumVGPRsForWavesPerEU: 217
; Occupancy: 6
; WaveLimiterHint : 1
; COMPUTE_PGM_RSRC2:SCRATCH_EN: 0
; COMPUTE_PGM_RSRC2:USER_SGPR: 2
; COMPUTE_PGM_RSRC2:TRAP_HANDLER: 0
; COMPUTE_PGM_RSRC2:TGID_X_EN: 1
; COMPUTE_PGM_RSRC2:TGID_Y_EN: 1
; COMPUTE_PGM_RSRC2:TGID_Z_EN: 1
; COMPUTE_PGM_RSRC2:TIDIG_COMP_CNT: 1
	.section	.text._ZL25flash_attn_mask_to_KV_maxILi1EEvPK7__half2Piiii,"axG",@progbits,_ZL25flash_attn_mask_to_KV_maxILi1EEvPK7__half2Piiii,comdat
	.globl	_ZL25flash_attn_mask_to_KV_maxILi1EEvPK7__half2Piiii ; -- Begin function _ZL25flash_attn_mask_to_KV_maxILi1EEvPK7__half2Piiii
	.p2align	8
	.type	_ZL25flash_attn_mask_to_KV_maxILi1EEvPK7__half2Piiii,@function
_ZL25flash_attn_mask_to_KV_maxILi1EEvPK7__half2Piiii: ; @_ZL25flash_attn_mask_to_KV_maxILi1EEvPK7__half2Piiii
; %bb.0:
	s_load_b64 s[4:5], s[0:1], 0x0
	s_mov_b32 s2, exec_lo
	v_cmpx_gt_u32_e32 32, v0
; %bb.1:
	v_dual_mov_b32 v2, 1 :: v_dual_lshlrev_b32 v1, 2, v0
	ds_store_b32 v1, v2
; %bb.2:
	s_or_b32 exec_lo, exec_lo, s2
	s_clause 0x2
	s_load_b96 s[8:10], s[0:1], 0x10
	s_load_b64 s[2:3], s[0:1], 0x8
	s_load_b32 s1, s[0:1], 0x20
	v_dual_mov_b32 v2, 0 :: v_dual_and_b32 v1, 31, v0
	v_lshrrev_b32_e32 v3, 3, v0
	s_wait_dscnt 0x0
	s_barrier_signal -1
	s_delay_alu instid0(VALU_DEP_2)
	v_lshlrev_b32_e32 v4, 2, v1
	s_barrier_wait -1
	global_inv scope:SCOPE_SE
	s_wait_kmcnt 0x0
	s_mul_i32 s0, s10, ttmp7
	s_mul_i32 s6, s9, ttmp9
	s_delay_alu instid0(SALU_CYCLE_1) | instskip(SKIP_2) | instid1(SALU_CYCLE_1)
	s_add_co_i32 s6, s0, s6
	v_cmp_eq_u32_e64 s0, 0, v1
	s_ashr_i32 s7, s6, 31
	s_lshl_b64 s[6:7], s[6:7], 2
	s_delay_alu instid0(SALU_CYCLE_1)
	s_add_nc_u64 s[4:5], s[4:5], s[6:7]
	s_lshl_b32 s7, s8, 8
	s_branch .LBB10_4
.LBB10_3:                               ;   in Loop: Header=BB10_4 Depth=1
	s_wait_alu 0xfffe
	s_or_b32 exec_lo, exec_lo, s9
	s_wait_dscnt 0x0
	s_barrier_signal -1
	s_barrier_wait -1
	global_inv scope:SCOPE_SE
	ds_load_b32 v1, v4
	s_wait_loadcnt_dscnt 0x0
	s_barrier_signal -1
	s_barrier_wait -1
	global_inv scope:SCOPE_SE
	v_cmp_ne_u32_e32 vcc_lo, 0, v1
	s_cmp_lg_u32 vcc_lo, exec_lo
	s_cselect_b32 s8, -1, 0
	s_wait_alu 0xfffe
	s_and_b32 vcc_lo, exec_lo, s8
	s_wait_alu 0xfffe
	s_cbranch_vccnz .LBB10_8
.LBB10_4:                               ; =>This Inner Loop Header: Depth=1
	s_mov_b32 s6, s7
	s_addk_co_i32 s7, 0xff00
	s_delay_alu instid0(SALU_CYCLE_1)
	s_cmp_lt_i32 s7, 0
	s_cbranch_scc1 .LBB10_7
; %bb.5:                                ;   in Loop: Header=BB10_4 Depth=1
	s_lshr_b32 s9, s7, 1
	s_mov_b32 s8, exec_lo
	s_wait_alu 0xfffe
	v_add_nc_u32_e32 v1, s9, v0
	s_delay_alu instid0(VALU_DEP_1) | instskip(NEXT) | instid1(VALU_DEP_1)
	v_lshlrev_b64_e32 v[5:6], 2, v[1:2]
	v_add_co_u32 v5, vcc_lo, s4, v5
	s_wait_alu 0xfffd
	s_delay_alu instid0(VALU_DEP_2) | instskip(SKIP_4) | instid1(VALU_DEP_2)
	v_add_co_ci_u32_e64 v6, null, s5, v6, vcc_lo
	global_load_b32 v1, v[5:6], off
	s_wait_loadcnt 0x0
	v_lshrrev_b32_e32 v5, 16, v1
	v_cmp_class_f16_e64 s9, v1, 0x204
	v_cmp_class_f16_e64 s10, v5, 0x204
	s_and_b32 s9, s9, s10
	s_wait_alu 0xfffe
	v_cndmask_b32_e64 v1, 0, 1, s9
	s_delay_alu instid0(VALU_DEP_1)
	v_cmp_ne_u32_e32 vcc_lo, 0, v1
	s_and_saveexec_b32 s9, s0
	s_cbranch_execz .LBB10_3
; %bb.6:                                ;   in Loop: Header=BB10_4 Depth=1
	s_cmp_eq_u32 vcc_lo, s8
	s_cselect_b32 s8, -1, 0
	s_wait_alu 0xfffe
	v_cndmask_b32_e64 v1, 0, 1, s8
	ds_store_b32 v3, v1
	s_branch .LBB10_3
.LBB10_7:                               ;   in Loop: Header=BB10_4 Depth=1
	s_cbranch_execz .LBB10_4
.LBB10_8:
	s_mov_b32 s0, exec_lo
	v_cmpx_eq_u32_e32 0, v0
	s_cbranch_execz .LBB10_10
; %bb.9:
	s_mul_i32 s0, s1, ttmp7
	v_dual_mov_b32 v0, 0 :: v_dual_mov_b32 v1, s6
	s_add_co_i32 s0, s0, ttmp9
	s_delay_alu instid0(SALU_CYCLE_1) | instskip(NEXT) | instid1(SALU_CYCLE_1)
	s_ashr_i32 s1, s0, 31
	s_lshl_b64 s[0:1], s[0:1], 2
	s_delay_alu instid0(SALU_CYCLE_1)
	s_add_nc_u64 s[0:1], s[2:3], s[0:1]
	global_store_b32 v0, v1, s[0:1]
.LBB10_10:
	s_endpgm
	.section	.rodata,"a",@progbits
	.p2align	6, 0x0
	.amdhsa_kernel _ZL25flash_attn_mask_to_KV_maxILi1EEvPK7__half2Piiii
		.amdhsa_group_segment_fixed_size 128
		.amdhsa_private_segment_fixed_size 0
		.amdhsa_kernarg_size 288
		.amdhsa_user_sgpr_count 2
		.amdhsa_user_sgpr_dispatch_ptr 0
		.amdhsa_user_sgpr_queue_ptr 0
		.amdhsa_user_sgpr_kernarg_segment_ptr 1
		.amdhsa_user_sgpr_dispatch_id 0
		.amdhsa_user_sgpr_private_segment_size 0
		.amdhsa_wavefront_size32 1
		.amdhsa_uses_dynamic_stack 0
		.amdhsa_enable_private_segment 0
		.amdhsa_system_sgpr_workgroup_id_x 1
		.amdhsa_system_sgpr_workgroup_id_y 1
		.amdhsa_system_sgpr_workgroup_id_z 0
		.amdhsa_system_sgpr_workgroup_info 0
		.amdhsa_system_vgpr_workitem_id 0
		.amdhsa_next_free_vgpr 7
		.amdhsa_next_free_sgpr 11
		.amdhsa_reserve_vcc 1
		.amdhsa_float_round_mode_32 0
		.amdhsa_float_round_mode_16_64 0
		.amdhsa_float_denorm_mode_32 3
		.amdhsa_float_denorm_mode_16_64 3
		.amdhsa_fp16_overflow 0
		.amdhsa_workgroup_processor_mode 1
		.amdhsa_memory_ordered 1
		.amdhsa_forward_progress 1
		.amdhsa_inst_pref_size 4
		.amdhsa_round_robin_scheduling 0
		.amdhsa_exception_fp_ieee_invalid_op 0
		.amdhsa_exception_fp_denorm_src 0
		.amdhsa_exception_fp_ieee_div_zero 0
		.amdhsa_exception_fp_ieee_overflow 0
		.amdhsa_exception_fp_ieee_underflow 0
		.amdhsa_exception_fp_ieee_inexact 0
		.amdhsa_exception_int_div_zero 0
	.end_amdhsa_kernel
	.section	.text._ZL25flash_attn_mask_to_KV_maxILi1EEvPK7__half2Piiii,"axG",@progbits,_ZL25flash_attn_mask_to_KV_maxILi1EEvPK7__half2Piiii,comdat
.Lfunc_end10:
	.size	_ZL25flash_attn_mask_to_KV_maxILi1EEvPK7__half2Piiii, .Lfunc_end10-_ZL25flash_attn_mask_to_KV_maxILi1EEvPK7__half2Piiii
                                        ; -- End function
	.set _ZL25flash_attn_mask_to_KV_maxILi1EEvPK7__half2Piiii.num_vgpr, 7
	.set _ZL25flash_attn_mask_to_KV_maxILi1EEvPK7__half2Piiii.num_agpr, 0
	.set _ZL25flash_attn_mask_to_KV_maxILi1EEvPK7__half2Piiii.numbered_sgpr, 11
	.set _ZL25flash_attn_mask_to_KV_maxILi1EEvPK7__half2Piiii.num_named_barrier, 0
	.set _ZL25flash_attn_mask_to_KV_maxILi1EEvPK7__half2Piiii.private_seg_size, 0
	.set _ZL25flash_attn_mask_to_KV_maxILi1EEvPK7__half2Piiii.uses_vcc, 1
	.set _ZL25flash_attn_mask_to_KV_maxILi1EEvPK7__half2Piiii.uses_flat_scratch, 0
	.set _ZL25flash_attn_mask_to_KV_maxILi1EEvPK7__half2Piiii.has_dyn_sized_stack, 0
	.set _ZL25flash_attn_mask_to_KV_maxILi1EEvPK7__half2Piiii.has_recursion, 0
	.set _ZL25flash_attn_mask_to_KV_maxILi1EEvPK7__half2Piiii.has_indirect_call, 0
	.section	.AMDGPU.csdata,"",@progbits
; Kernel info:
; codeLenInByte = 496
; TotalNumSgprs: 13
; NumVgprs: 7
; ScratchSize: 0
; MemoryBound: 0
; FloatMode: 240
; IeeeMode: 1
; LDSByteSize: 128 bytes/workgroup (compile time only)
; SGPRBlocks: 0
; VGPRBlocks: 0
; NumSGPRsForWavesPerEU: 13
; NumVGPRsForWavesPerEU: 7
; Occupancy: 16
; WaveLimiterHint : 0
; COMPUTE_PGM_RSRC2:SCRATCH_EN: 0
; COMPUTE_PGM_RSRC2:USER_SGPR: 2
; COMPUTE_PGM_RSRC2:TRAP_HANDLER: 0
; COMPUTE_PGM_RSRC2:TGID_X_EN: 1
; COMPUTE_PGM_RSRC2:TGID_Y_EN: 1
; COMPUTE_PGM_RSRC2:TGID_Z_EN: 0
; COMPUTE_PGM_RSRC2:TIDIG_COMP_CNT: 0
	.section	.text._ZL33flash_attn_stream_k_fixup_uniformILi256ELi1ELi8EEvPfPK15HIP_vector_typeIfLj2EEiiiiiiS1_IjLj3EES5_S5_,"axG",@progbits,_ZL33flash_attn_stream_k_fixup_uniformILi256ELi1ELi8EEvPfPK15HIP_vector_typeIfLj2EEiiiiiiS1_IjLj3EES5_S5_,comdat
	.globl	_ZL33flash_attn_stream_k_fixup_uniformILi256ELi1ELi8EEvPfPK15HIP_vector_typeIfLj2EEiiiiiiS1_IjLj3EES5_S5_ ; -- Begin function _ZL33flash_attn_stream_k_fixup_uniformILi256ELi1ELi8EEvPfPK15HIP_vector_typeIfLj2EEiiiiiiS1_IjLj3EES5_S5_
	.p2align	8
	.type	_ZL33flash_attn_stream_k_fixup_uniformILi256ELi1ELi8EEvPfPK15HIP_vector_typeIfLj2EEiiiiiiS1_IjLj3EES5_S5_,@function
_ZL33flash_attn_stream_k_fixup_uniformILi256ELi1ELi8EEvPfPK15HIP_vector_typeIfLj2EEiiiiiiS1_IjLj3EES5_S5_: ; @_ZL33flash_attn_stream_k_fixup_uniformILi256ELi1ELi8EEvPfPK15HIP_vector_typeIfLj2EEiiiiiiS1_IjLj3EES5_S5_
; %bb.0:
	s_clause 0x1
	s_load_b256 s[4:11], s[0:1], 0x1c
	s_load_b128 s[16:19], s[0:1], 0x3c
	s_wait_kmcnt 0x0
	s_mul_hi_u32 s2, s7, ttmp9
	s_delay_alu instid0(SALU_CYCLE_1) | instskip(NEXT) | instid1(SALU_CYCLE_1)
	s_add_co_i32 s2, ttmp9, s2
	s_lshr_b32 s12, s2, s8
	s_delay_alu instid0(SALU_CYCLE_1) | instskip(SKIP_2) | instid1(SALU_CYCLE_1)
	s_mul_i32 s2, s12, s9
	s_load_b64 s[8:9], s[0:1], 0x10
	s_sub_co_i32 s2, ttmp9, s2
	s_mul_hi_u32 s3, s2, s10
	s_and_b32 s10, ttmp7, 0xffff
	s_add_co_i32 s3, s2, s3
	s_delay_alu instid0(SALU_CYCLE_1) | instskip(NEXT) | instid1(SALU_CYCLE_1)
	s_lshr_b32 s11, s3, s11
	s_mul_i32 s3, s11, s16
	s_delay_alu instid0(SALU_CYCLE_1) | instskip(NEXT) | instid1(SALU_CYCLE_1)
	s_sub_co_i32 s2, s2, s3
	s_mul_hi_u32 s3, s2, s17
	s_delay_alu instid0(SALU_CYCLE_1) | instskip(NEXT) | instid1(SALU_CYCLE_1)
	s_add_co_i32 s3, s2, s3
	s_lshr_b32 s3, s3, s18
	s_delay_alu instid0(SALU_CYCLE_1)
	s_mul_i32 s7, s3, s19
	s_lshl_b32 s14, s3, 3
	s_sub_co_i32 s13, s2, s7
	s_lshr_b32 s7, ttmp7, 16
	s_add_co_i32 s13, s13, s10
	s_wait_kmcnt 0x0
	s_cmp_lt_i32 s13, s8
	s_cselect_b32 s2, -1, 0
	s_add_co_i32 s14, s14, s7
	s_delay_alu instid0(SALU_CYCLE_1) | instskip(SKIP_1) | instid1(SALU_CYCLE_1)
	s_cmp_lt_i32 s14, s5
	s_cselect_b32 s3, -1, 0
	s_and_b32 s2, s2, s3
	s_delay_alu instid0(SALU_CYCLE_1)
	s_and_not1_b32 vcc_lo, exec_lo, s2
	s_cbranch_vccnz .LBB11_6
; %bb.1:
	s_mul_i32 s12, s12, s8
	s_mul_i32 s11, s11, s5
	s_add_co_i32 s5, s13, s12
	s_load_b128 s[0:3], s[0:1], 0x0
	s_add_co_i32 s8, s14, s11
	s_mul_i32 s5, s5, s9
	s_delay_alu instid0(SALU_CYCLE_1) | instskip(NEXT) | instid1(SALU_CYCLE_1)
	s_add_co_i32 s8, s8, s5
	v_lshl_or_b32 v1, s8, 8, v0
	s_mul_i32 s8, s6, ttmp9
	s_wait_alu 0xfffe
	s_add_co_i32 s9, s8, s6
	s_delay_alu instid0(VALU_DEP_1) | instskip(SKIP_2) | instid1(VALU_DEP_1)
	v_ashrrev_i32_e32 v2, 31, v1
	s_wait_alu 0xfffe
	s_add_co_i32 s5, s9, -2
	v_lshlrev_b64_e32 v[1:2], 2, v[1:2]
	s_wait_kmcnt 0x0
	s_delay_alu instid0(VALU_DEP_1) | instskip(NEXT) | instid1(VALU_DEP_1)
	v_add_co_u32 v1, vcc_lo, s0, v1
	v_add_co_ci_u32_e64 v2, null, s1, v2, vcc_lo
	s_add_co_i32 s0, s10, s9
	s_wait_alu 0xfffe
	s_lshl_b32 s0, s0, 3
	global_load_b32 v5, v[1:2], off
	s_wait_alu 0xfffe
	s_add_co_i32 s0, s0, s7
	s_wait_alu 0xfffe
	s_add_co_i32 s0, s0, -8
	s_wait_alu 0xfffe
	s_ashr_i32 s1, s0, 31
	s_wait_alu 0xfffe
	s_lshl_b64 s[0:1], s[0:1], 3
	s_cmp_lt_i32 s5, s8
	s_wait_alu 0xfffe
	s_add_nc_u64 s[0:1], s[2:3], s[0:1]
	s_load_b32 s11, s[0:1], 0x4
	s_cbranch_scc1 .LBB11_4
; %bb.2:
	s_load_b32 s0, s[0:1], 0x0
	s_add_co_i32 s1, ttmp9, 1
	s_lshl_b32 s5, s7, 8
	s_wait_alu 0xfffe
	s_mul_i32 s1, s6, s1
	s_lshl_b32 s6, s10, 11
	s_wait_alu 0xfffe
	s_lshl_b32 s1, s1, 11
	s_add_co_i32 s5, s5, s6
	s_lshl_b32 s12, s4, 5
	s_wait_alu 0xfffe
	s_add_co_i32 s5, s5, s1
	s_add_co_i32 s1, s10, s4
	v_or_b32_e32 v0, s5, v0
	s_wait_alu 0xfffe
	s_add_co_i32 s1, s1, s9
	s_ashr_i32 s13, s12, 31
	s_wait_alu 0xfffe
	s_lshl_b32 s1, s1, 3
	s_wait_kmcnt 0x0
	v_dual_mov_b32 v6, s11 :: v_dual_add_nc_u32 v3, 0xfffff000, v0
	s_lshl_b64 s[4:5], s[12:13], 2
	s_wait_alu 0xfffe
	s_add_co_i32 s6, s7, s1
	s_add_nc_u64 s[4:5], s[2:3], s[4:5]
	s_add_co_i32 s1, s9, -1
	s_add_co_i32 s6, s6, -16
.LBB11_3:                               ; =>This Inner Loop Header: Depth=1
	v_ashrrev_i32_e32 v4, 31, v3
	s_ashr_i32 s7, s6, 31
	v_mov_b32_e32 v10, v6
	s_lshl_b64 s[10:11], s[6:7], 3
	s_wait_loadcnt 0x0
	v_mov_b32_e32 v9, v5
	v_lshlrev_b64_e32 v[7:8], 2, v[3:4]
	s_wait_alu 0xfffe
	s_add_nc_u64 s[10:11], s[2:3], s[10:11]
	v_max_num_f32_e64 v4, s0, s0
	s_load_b64 s[10:11], s[10:11], 0x0
	v_add_nc_u32_e32 v3, 0xfffff800, v3
	v_add_co_u32 v7, vcc_lo, s4, v7
	s_wait_alu 0xfffd
	v_add_co_ci_u32_e64 v8, null, s5, v8, vcc_lo
	v_readfirstlane_b32 s7, v4
	global_load_b32 v0, v[7:8], off
	s_wait_kmcnt 0x0
	v_max_num_f32_e64 v4, s10, s10
	s_delay_alu instid0(VALU_DEP_1) | instskip(SKIP_1) | instid1(SALU_CYCLE_3)
	v_readfirstlane_b32 s9, v4
	s_max_num_f32 s7, s7, s9
	s_sub_f32 s0, s0, s7
	s_sub_f32 s9, s10, s7
	s_wait_alu 0xfffe
	s_delay_alu instid0(SALU_CYCLE_1) | instskip(NEXT) | instid1(SALU_CYCLE_1)
	s_mul_f32 s10, s0, 0x3fb8aa3b
	s_mul_f32 s12, s9, 0x3fb8aa3b
	s_wait_alu 0xfffe
	s_delay_alu instid0(SALU_CYCLE_1)
	s_xor_b32 s13, s10, 0x80000000
	s_rndne_f32 s14, s10
	s_fmamk_f32 s13, s0, 0x3fb8aa3b, s13
	s_cmp_nlt_f32 s0, 0xc2ce8ed0
	s_rndne_f32 s15, s12
	s_wait_alu 0xfffe
	s_sub_f32 s10, s10, s14
	s_fmamk_f32 s13, s0, 0x32a5705f, s13
	s_cvt_i32_f32 s14, s14
	s_cselect_b32 vcc_lo, -1, 0
	s_cmp_ngt_f32 s0, 0x42b17218
	s_wait_alu 0xfffe
	s_add_f32 s10, s10, s13
	s_sub_f32 s13, s12, s15
	s_wait_alu 0xfffe
	s_delay_alu instid0(SALU_CYCLE_1) | instskip(SKIP_1) | instid1(TRANS32_DEP_1)
	v_s_exp_f32 s10, s10
	s_wait_alu 0xf1ff
	v_ldexp_f32 v4, s10, s14
	s_cvt_i32_f32 s10, s15
	s_delay_alu instid0(VALU_DEP_1) | instskip(SKIP_3) | instid1(VALU_DEP_1)
	v_cndmask_b32_e32 v4, 0, v4, vcc_lo
	s_cselect_b32 vcc_lo, -1, 0
	s_cmp_ge_f32 s0, 0xc1a00000
	s_wait_alu 0xfffe
	v_cndmask_b32_e32 v4, 0x7f800000, v4, vcc_lo
	s_cselect_b32 vcc_lo, -1, 0
	s_xor_b32 s0, s12, 0x80000000
	s_cmp_nlt_f32 s9, 0xc2ce8ed0
	s_wait_alu 0xfffe
	s_fmamk_f32 s0, s9, 0x3fb8aa3b, s0
	s_wait_alu 0xfffe
	s_delay_alu instid0(SALU_CYCLE_2) | instskip(SKIP_1) | instid1(SALU_CYCLE_2)
	s_fmamk_f32 s0, s9, 0x32a5705f, s0
	s_wait_alu 0xfffe
	s_add_f32 s0, s13, s0
	s_wait_alu 0xfffe
	s_delay_alu instid0(SALU_CYCLE_2) | instskip(SKIP_1) | instid1(TRANS32_DEP_1)
	v_s_exp_f32 s0, s0
	s_wait_alu 0xf1ff
	v_ldexp_f32 v7, s0, s10
	s_cselect_b32 s0, -1, 0
	s_cmp_ngt_f32 s9, 0x42b17218
	s_wait_alu 0xfffe
	s_delay_alu instid0(VALU_DEP_1) | instskip(SKIP_3) | instid1(VALU_DEP_1)
	v_cndmask_b32_e64 v7, 0, v7, s0
	s_cselect_b32 s0, -1, 0
	s_cmp_ge_f32 s9, 0xc1a00000
	s_wait_alu 0xfffe
	v_cndmask_b32_e64 v7, 0x7f800000, v7, s0
	s_cselect_b32 s0, -1, 0
	s_add_co_i32 s1, s1, -1
	s_add_co_i32 s6, s6, -8
	s_wait_alu 0xfffe
	s_cmp_le_i32 s1, s8
	v_cndmask_b32_e64 v7, 0, v7, s0
	s_mov_b32 s0, s7
	s_wait_loadcnt 0x0
	s_delay_alu instid0(VALU_DEP_1) | instskip(NEXT) | instid1(VALU_DEP_1)
	v_dual_mul_f32 v5, v0, v7 :: v_dual_cndmask_b32 v4, 0, v4
	v_dual_mul_f32 v8, s11, v7 :: v_dual_fmac_f32 v5, v9, v4
	s_delay_alu instid0(VALU_DEP_1) | instskip(NEXT) | instid1(VALU_DEP_1)
	v_mov_b32_e32 v6, v8
	v_fmac_f32_e32 v6, v10, v4
	s_cbranch_scc0 .LBB11_3
	s_branch .LBB11_5
.LBB11_4:
	s_wait_kmcnt 0x0
	v_mov_b32_e32 v6, s11
.LBB11_5:
	s_wait_loadcnt 0x0
	s_delay_alu instid0(VALU_DEP_1) | instskip(NEXT) | instid1(VALU_DEP_1)
	v_div_scale_f32 v0, null, v6, v6, v5
	v_rcp_f32_e32 v3, v0
	s_delay_alu instid0(TRANS32_DEP_1) | instskip(NEXT) | instid1(VALU_DEP_1)
	v_fma_f32 v4, -v0, v3, 1.0
	v_fmac_f32_e32 v3, v4, v3
	v_div_scale_f32 v4, vcc_lo, v5, v6, v5
	s_delay_alu instid0(VALU_DEP_1) | instskip(NEXT) | instid1(VALU_DEP_1)
	v_mul_f32_e32 v7, v4, v3
	v_fma_f32 v8, -v0, v7, v4
	s_delay_alu instid0(VALU_DEP_1) | instskip(NEXT) | instid1(VALU_DEP_1)
	v_fmac_f32_e32 v7, v8, v3
	v_fma_f32 v0, -v0, v7, v4
	s_wait_alu 0xfffd
	s_delay_alu instid0(VALU_DEP_1) | instskip(NEXT) | instid1(VALU_DEP_1)
	v_div_fmas_f32 v0, v0, v3, v7
	v_div_fixup_f32 v0, v0, v6, v5
	global_store_b32 v[1:2], v0, off
.LBB11_6:
	s_endpgm
	.section	.rodata,"a",@progbits
	.p2align	6, 0x0
	.amdhsa_kernel _ZL33flash_attn_stream_k_fixup_uniformILi256ELi1ELi8EEvPfPK15HIP_vector_typeIfLj2EEiiiiiiS1_IjLj3EES5_S5_
		.amdhsa_group_segment_fixed_size 0
		.amdhsa_private_segment_fixed_size 0
		.amdhsa_kernarg_size 76
		.amdhsa_user_sgpr_count 2
		.amdhsa_user_sgpr_dispatch_ptr 0
		.amdhsa_user_sgpr_queue_ptr 0
		.amdhsa_user_sgpr_kernarg_segment_ptr 1
		.amdhsa_user_sgpr_dispatch_id 0
		.amdhsa_user_sgpr_private_segment_size 0
		.amdhsa_wavefront_size32 1
		.amdhsa_uses_dynamic_stack 0
		.amdhsa_enable_private_segment 0
		.amdhsa_system_sgpr_workgroup_id_x 1
		.amdhsa_system_sgpr_workgroup_id_y 1
		.amdhsa_system_sgpr_workgroup_id_z 1
		.amdhsa_system_sgpr_workgroup_info 0
		.amdhsa_system_vgpr_workitem_id 0
		.amdhsa_next_free_vgpr 11
		.amdhsa_next_free_sgpr 20
		.amdhsa_reserve_vcc 1
		.amdhsa_float_round_mode_32 0
		.amdhsa_float_round_mode_16_64 0
		.amdhsa_float_denorm_mode_32 3
		.amdhsa_float_denorm_mode_16_64 3
		.amdhsa_fp16_overflow 0
		.amdhsa_workgroup_processor_mode 1
		.amdhsa_memory_ordered 1
		.amdhsa_forward_progress 1
		.amdhsa_inst_pref_size 9
		.amdhsa_round_robin_scheduling 0
		.amdhsa_exception_fp_ieee_invalid_op 0
		.amdhsa_exception_fp_denorm_src 0
		.amdhsa_exception_fp_ieee_div_zero 0
		.amdhsa_exception_fp_ieee_overflow 0
		.amdhsa_exception_fp_ieee_underflow 0
		.amdhsa_exception_fp_ieee_inexact 0
		.amdhsa_exception_int_div_zero 0
	.end_amdhsa_kernel
	.section	.text._ZL33flash_attn_stream_k_fixup_uniformILi256ELi1ELi8EEvPfPK15HIP_vector_typeIfLj2EEiiiiiiS1_IjLj3EES5_S5_,"axG",@progbits,_ZL33flash_attn_stream_k_fixup_uniformILi256ELi1ELi8EEvPfPK15HIP_vector_typeIfLj2EEiiiiiiS1_IjLj3EES5_S5_,comdat
.Lfunc_end11:
	.size	_ZL33flash_attn_stream_k_fixup_uniformILi256ELi1ELi8EEvPfPK15HIP_vector_typeIfLj2EEiiiiiiS1_IjLj3EES5_S5_, .Lfunc_end11-_ZL33flash_attn_stream_k_fixup_uniformILi256ELi1ELi8EEvPfPK15HIP_vector_typeIfLj2EEiiiiiiS1_IjLj3EES5_S5_
                                        ; -- End function
	.set _ZL33flash_attn_stream_k_fixup_uniformILi256ELi1ELi8EEvPfPK15HIP_vector_typeIfLj2EEiiiiiiS1_IjLj3EES5_S5_.num_vgpr, 11
	.set _ZL33flash_attn_stream_k_fixup_uniformILi256ELi1ELi8EEvPfPK15HIP_vector_typeIfLj2EEiiiiiiS1_IjLj3EES5_S5_.num_agpr, 0
	.set _ZL33flash_attn_stream_k_fixup_uniformILi256ELi1ELi8EEvPfPK15HIP_vector_typeIfLj2EEiiiiiiS1_IjLj3EES5_S5_.numbered_sgpr, 20
	.set _ZL33flash_attn_stream_k_fixup_uniformILi256ELi1ELi8EEvPfPK15HIP_vector_typeIfLj2EEiiiiiiS1_IjLj3EES5_S5_.num_named_barrier, 0
	.set _ZL33flash_attn_stream_k_fixup_uniformILi256ELi1ELi8EEvPfPK15HIP_vector_typeIfLj2EEiiiiiiS1_IjLj3EES5_S5_.private_seg_size, 0
	.set _ZL33flash_attn_stream_k_fixup_uniformILi256ELi1ELi8EEvPfPK15HIP_vector_typeIfLj2EEiiiiiiS1_IjLj3EES5_S5_.uses_vcc, 1
	.set _ZL33flash_attn_stream_k_fixup_uniformILi256ELi1ELi8EEvPfPK15HIP_vector_typeIfLj2EEiiiiiiS1_IjLj3EES5_S5_.uses_flat_scratch, 0
	.set _ZL33flash_attn_stream_k_fixup_uniformILi256ELi1ELi8EEvPfPK15HIP_vector_typeIfLj2EEiiiiiiS1_IjLj3EES5_S5_.has_dyn_sized_stack, 0
	.set _ZL33flash_attn_stream_k_fixup_uniformILi256ELi1ELi8EEvPfPK15HIP_vector_typeIfLj2EEiiiiiiS1_IjLj3EES5_S5_.has_recursion, 0
	.set _ZL33flash_attn_stream_k_fixup_uniformILi256ELi1ELi8EEvPfPK15HIP_vector_typeIfLj2EEiiiiiiS1_IjLj3EES5_S5_.has_indirect_call, 0
	.section	.AMDGPU.csdata,"",@progbits
; Kernel info:
; codeLenInByte = 1120
; TotalNumSgprs: 22
; NumVgprs: 11
; ScratchSize: 0
; MemoryBound: 0
; FloatMode: 240
; IeeeMode: 1
; LDSByteSize: 0 bytes/workgroup (compile time only)
; SGPRBlocks: 0
; VGPRBlocks: 1
; NumSGPRsForWavesPerEU: 22
; NumVGPRsForWavesPerEU: 11
; Occupancy: 16
; WaveLimiterHint : 0
; COMPUTE_PGM_RSRC2:SCRATCH_EN: 0
; COMPUTE_PGM_RSRC2:USER_SGPR: 2
; COMPUTE_PGM_RSRC2:TRAP_HANDLER: 0
; COMPUTE_PGM_RSRC2:TGID_X_EN: 1
; COMPUTE_PGM_RSRC2:TGID_Y_EN: 1
; COMPUTE_PGM_RSRC2:TGID_Z_EN: 1
; COMPUTE_PGM_RSRC2:TIDIG_COMP_CNT: 0
	.section	.text._ZL33flash_attn_stream_k_fixup_generalILi256ELi1ELi8EEvPfPK15HIP_vector_typeIfLj2EEiiiiS1_IjLj3EES5_S5_S5_,"axG",@progbits,_ZL33flash_attn_stream_k_fixup_generalILi256ELi1ELi8EEvPfPK15HIP_vector_typeIfLj2EEiiiiS1_IjLj3EES5_S5_S5_,comdat
	.globl	_ZL33flash_attn_stream_k_fixup_generalILi256ELi1ELi8EEvPfPK15HIP_vector_typeIfLj2EEiiiiS1_IjLj3EES5_S5_S5_ ; -- Begin function _ZL33flash_attn_stream_k_fixup_generalILi256ELi1ELi8EEvPfPK15HIP_vector_typeIfLj2EEiiiiS1_IjLj3EES5_S5_S5_
	.p2align	8
	.type	_ZL33flash_attn_stream_k_fixup_generalILi256ELi1ELi8EEvPfPK15HIP_vector_typeIfLj2EEiiiiS1_IjLj3EES5_S5_S5_,@function
_ZL33flash_attn_stream_k_fixup_generalILi256ELi1ELi8EEvPfPK15HIP_vector_typeIfLj2EEiiiiS1_IjLj3EES5_S5_S5_: ; @_ZL33flash_attn_stream_k_fixup_generalILi256ELi1ELi8EEvPfPK15HIP_vector_typeIfLj2EEiiiiS1_IjLj3EES5_S5_S5_
; %bb.0:
	s_clause 0x1
	s_load_b128 s[4:7], s[0:1], 0x10
	s_load_b32 s16, s[0:1], 0x50
	s_mov_b32 s2, ttmp9
	s_ashr_i32 s3, ttmp9, 31
	s_mov_b32 s17, 0
	s_delay_alu instid0(SALU_CYCLE_1) | instskip(SKIP_3) | instid1(SALU_CYCLE_1)
	s_mov_b32 s8, s17
	s_wait_kmcnt 0x0
	s_ashr_i32 s19, s7, 31
	s_mov_b32 s18, s7
	s_mul_u64 s[2:3], s[18:19], s[2:3]
	s_delay_alu instid0(SALU_CYCLE_1) | instskip(NEXT) | instid1(SALU_CYCLE_1)
	s_mov_b32 s9, s3
	s_cmp_lg_u64 s[8:9], 0
	s_cbranch_scc0 .LBB12_21
; %bb.1:
	s_add_nc_u64 s[8:9], s[16:17], 0
	s_mov_b32 s15, s17
	s_xor_b64 s[8:9], s[8:9], 0
	s_mov_b32 s23, s17
	s_cvt_f32_u32 s7, s8
	s_cvt_f32_u32 s10, s9
	s_sub_nc_u64 s[12:13], 0, s[8:9]
	s_delay_alu instid0(SALU_CYCLE_2) | instskip(NEXT) | instid1(SALU_CYCLE_3)
	s_fmamk_f32 s7, s10, 0x4f800000, s7
	v_s_rcp_f32 s7, s7
	s_delay_alu instid0(TRANS32_DEP_1) | instskip(SKIP_1) | instid1(SALU_CYCLE_2)
	s_mul_f32 s7, s7, 0x5f7ffffc
	s_wait_alu 0xfffe
	s_mul_f32 s10, s7, 0x2f800000
	s_delay_alu instid0(SALU_CYCLE_3) | instskip(NEXT) | instid1(SALU_CYCLE_3)
	s_trunc_f32 s10, s10
	s_fmamk_f32 s7, s10, 0xcf800000, s7
	s_cvt_u32_f32 s11, s10
	s_wait_alu 0xfffe
	s_delay_alu instid0(SALU_CYCLE_1) | instskip(NEXT) | instid1(SALU_CYCLE_3)
	s_cvt_u32_f32 s10, s7
	s_mul_u64 s[20:21], s[12:13], s[10:11]
	s_delay_alu instid0(SALU_CYCLE_1)
	s_mul_hi_u32 s25, s10, s21
	s_mul_i32 s24, s10, s21
	s_mul_hi_u32 s14, s10, s20
	s_mul_i32 s22, s11, s20
	s_add_nc_u64 s[14:15], s[14:15], s[24:25]
	s_mul_hi_u32 s7, s11, s20
	s_mul_hi_u32 s26, s11, s21
	s_add_co_u32 s14, s14, s22
	s_wait_alu 0xfffe
	s_add_co_ci_u32 s22, s15, s7
	s_mul_i32 s20, s11, s21
	s_add_co_ci_u32 s21, s26, 0
	s_delay_alu instid0(SALU_CYCLE_1)
	s_add_nc_u64 s[14:15], s[22:23], s[20:21]
	s_mov_b32 s21, s17
	s_add_co_u32 s10, s10, s14
	s_cselect_b32 s7, -1, 0
	s_wait_alu 0xfffe
	s_cmp_lg_u32 s7, 0
	s_add_co_ci_u32 s11, s11, s15
	s_mov_b32 s15, s17
	s_mul_u64 s[12:13], s[12:13], s[10:11]
	s_delay_alu instid0(SALU_CYCLE_1)
	s_mul_hi_u32 s23, s10, s13
	s_mul_i32 s22, s10, s13
	s_mul_hi_u32 s14, s10, s12
	s_mul_i32 s20, s11, s12
	s_add_nc_u64 s[14:15], s[14:15], s[22:23]
	s_mul_hi_u32 s7, s11, s12
	s_mul_hi_u32 s24, s11, s13
	s_mul_i32 s12, s11, s13
	s_add_co_u32 s13, s14, s20
	s_wait_alu 0xfffe
	s_add_co_ci_u32 s20, s15, s7
	s_add_co_ci_u32 s13, s24, 0
	s_mov_b32 s15, s17
	s_add_nc_u64 s[12:13], s[20:21], s[12:13]
	s_delay_alu instid0(SALU_CYCLE_1) | instskip(SKIP_1) | instid1(SALU_CYCLE_1)
	s_add_co_u32 s7, s10, s12
	s_cselect_b32 s10, -1, 0
	s_cmp_lg_u32 s10, 0
	s_add_co_ci_u32 s20, s11, s13
	s_ashr_i32 s10, s3, 31
	s_delay_alu instid0(SALU_CYCLE_1) | instskip(NEXT) | instid1(SALU_CYCLE_1)
	s_mov_b32 s11, s10
	s_add_nc_u64 s[12:13], s[2:3], s[10:11]
	s_delay_alu instid0(SALU_CYCLE_1) | instskip(NEXT) | instid1(SALU_CYCLE_1)
	s_xor_b64 s[12:13], s[12:13], s[10:11]
	s_mul_hi_u32 s23, s12, s20
	s_mul_i32 s22, s12, s20
	s_wait_alu 0xfffe
	s_mul_hi_u32 s14, s12, s7
	s_mul_hi_u32 s24, s13, s7
	s_mul_i32 s7, s13, s7
	s_add_nc_u64 s[14:15], s[14:15], s[22:23]
	s_mul_hi_u32 s3, s13, s20
	s_wait_alu 0xfffe
	s_add_co_u32 s7, s14, s7
	s_mul_i32 s22, s13, s20
	s_add_co_ci_u32 s20, s15, s24
	s_add_co_ci_u32 s23, s3, 0
	s_delay_alu instid0(SALU_CYCLE_1) | instskip(NEXT) | instid1(SALU_CYCLE_1)
	s_add_nc_u64 s[14:15], s[20:21], s[22:23]
	s_mul_u64 s[20:21], s[8:9], s[14:15]
	s_delay_alu instid0(SALU_CYCLE_1)
	s_sub_co_u32 s3, s12, s20
	s_cselect_b32 s7, -1, 0
	s_sub_co_i32 s12, s13, s21
	s_wait_alu 0xfffe
	s_cmp_lg_u32 s7, 0
	s_sub_co_ci_u32 s12, s12, s9
	s_sub_co_u32 s20, s3, s8
	s_cselect_b32 s22, -1, 0
	s_delay_alu instid0(SALU_CYCLE_1) | instskip(SKIP_2) | instid1(SALU_CYCLE_1)
	s_cmp_lg_u32 s22, 0
	s_add_nc_u64 s[22:23], s[14:15], 1
	s_sub_co_ci_u32 s12, s12, 0
	s_cmp_ge_u32 s12, s9
	s_cselect_b32 s24, -1, 0
	s_cmp_ge_u32 s20, s8
	s_cselect_b32 s20, -1, 0
	s_cmp_eq_u32 s12, s9
	s_cselect_b32 s12, s20, s24
	s_add_nc_u64 s[24:25], s[14:15], 2
	s_cmp_lg_u32 s12, 0
	s_cselect_b32 s12, s24, s22
	s_cselect_b32 s20, s25, s23
	s_cmp_lg_u32 s7, 0
	s_sub_co_ci_u32 s7, s13, s21
	s_wait_alu 0xfffe
	s_cmp_ge_u32 s7, s9
	s_cselect_b32 s13, -1, 0
	s_cmp_ge_u32 s3, s8
	s_cselect_b32 s3, -1, 0
	s_cmp_eq_u32 s7, s9
	s_cselect_b32 s3, s3, s13
	s_delay_alu instid0(SALU_CYCLE_1) | instskip(SKIP_4) | instid1(SALU_CYCLE_1)
	s_cmp_lg_u32 s3, 0
	s_mov_b32 s3, s17
	s_cselect_b32 s9, s20, s15
	s_cselect_b32 s8, s12, s14
	s_xor_b64 s[10:11], s[10:11], 0
	s_xor_b64 s[8:9], s[8:9], s[10:11]
	s_delay_alu instid0(SALU_CYCLE_1)
	s_sub_nc_u64 s[20:21], s[8:9], s[10:11]
	s_and_not1_b32 vcc_lo, exec_lo, s3
	s_cbranch_vccnz .LBB12_3
.LBB12_2:
	v_cvt_f32_u32_e32 v1, s16
	s_sub_co_i32 s7, 0, s16
	s_delay_alu instid0(VALU_DEP_1) | instskip(NEXT) | instid1(TRANS32_DEP_1)
	v_rcp_iflag_f32_e32 v1, v1
	v_mul_f32_e32 v1, 0x4f7ffffe, v1
	s_delay_alu instid0(VALU_DEP_1) | instskip(NEXT) | instid1(VALU_DEP_1)
	v_cvt_u32_f32_e32 v1, v1
	v_readfirstlane_b32 s3, v1
	s_wait_alu 0xfffe
	s_mul_i32 s7, s7, s3
	s_wait_alu 0xfffe
	s_mul_hi_u32 s7, s3, s7
	s_wait_alu 0xfffe
	s_add_co_i32 s3, s3, s7
	s_delay_alu instid0(SALU_CYCLE_1) | instskip(NEXT) | instid1(SALU_CYCLE_1)
	s_mul_hi_u32 s3, s2, s3
	s_mul_i32 s7, s3, s16
	s_wait_alu 0xfffe
	s_sub_co_i32 s2, s2, s7
	s_add_co_i32 s7, s3, 1
	s_sub_co_i32 s8, s2, s16
	s_cmp_ge_u32 s2, s16
	s_wait_alu 0xfffe
	s_cselect_b32 s3, s7, s3
	s_cselect_b32 s2, s8, s2
	s_add_co_i32 s7, s3, 1
	s_cmp_ge_u32 s2, s16
	s_wait_alu 0xfffe
	s_cselect_b32 s20, s7, s3
.LBB12_3:
	s_add_co_i32 s2, ttmp9, 1
	s_mov_b32 s8, 0
	s_ashr_i32 s3, s2, 31
	s_delay_alu instid0(SALU_CYCLE_1) | instskip(NEXT) | instid1(SALU_CYCLE_1)
	s_mul_u64 s[2:3], s[18:19], s[2:3]
	s_mov_b32 s9, s3
	s_delay_alu instid0(SALU_CYCLE_1)
	s_cmp_lg_u64 s[8:9], 0
	s_cbranch_scc0 .LBB12_22
; %bb.4:
	s_add_nc_u64 s[10:11], s[16:17], 0
	s_mov_b32 s23, s8
	s_xor_b64 s[10:11], s[10:11], 0
	s_mov_b32 s27, s8
	s_cvt_f32_u32 s7, s10
	s_cvt_f32_u32 s9, s11
	s_sub_nc_u64 s[14:15], 0, s[10:11]
	s_wait_alu 0xfffe
	s_delay_alu instid0(SALU_CYCLE_1) | instskip(SKIP_1) | instid1(SALU_CYCLE_2)
	s_fmamk_f32 s7, s9, 0x4f800000, s7
	s_wait_alu 0xfffe
	v_s_rcp_f32 s7, s7
	s_delay_alu instid0(TRANS32_DEP_1) | instskip(SKIP_1) | instid1(SALU_CYCLE_2)
	s_mul_f32 s7, s7, 0x5f7ffffc
	s_wait_alu 0xfffe
	s_mul_f32 s9, s7, 0x2f800000
	s_delay_alu instid0(SALU_CYCLE_3) | instskip(NEXT) | instid1(SALU_CYCLE_3)
	s_trunc_f32 s9, s9
	s_fmamk_f32 s7, s9, 0xcf800000, s7
	s_cvt_u32_f32 s13, s9
	s_wait_alu 0xfffe
	s_delay_alu instid0(SALU_CYCLE_1) | instskip(NEXT) | instid1(SALU_CYCLE_3)
	s_cvt_u32_f32 s12, s7
	s_mul_u64 s[24:25], s[14:15], s[12:13]
	s_delay_alu instid0(SALU_CYCLE_1)
	s_mul_hi_u32 s29, s12, s25
	s_mul_i32 s28, s12, s25
	s_mul_hi_u32 s22, s12, s24
	s_mul_i32 s9, s13, s24
	s_add_nc_u64 s[22:23], s[22:23], s[28:29]
	s_mul_hi_u32 s7, s13, s24
	s_mul_hi_u32 s21, s13, s25
	s_add_co_u32 s9, s22, s9
	s_wait_alu 0xfffe
	s_add_co_ci_u32 s26, s23, s7
	s_mul_i32 s24, s13, s25
	s_add_co_ci_u32 s25, s21, 0
	s_delay_alu instid0(SALU_CYCLE_1)
	s_add_nc_u64 s[22:23], s[26:27], s[24:25]
	s_mov_b32 s25, s8
	s_add_co_u32 s12, s12, s22
	s_cselect_b32 s7, -1, 0
	s_wait_alu 0xfffe
	s_cmp_lg_u32 s7, 0
	s_add_co_ci_u32 s13, s13, s23
	s_mov_b32 s23, s8
	s_mul_u64 s[14:15], s[14:15], s[12:13]
	s_delay_alu instid0(SALU_CYCLE_1)
	s_mul_hi_u32 s27, s12, s15
	s_mul_i32 s26, s12, s15
	s_mul_hi_u32 s22, s12, s14
	s_mul_i32 s9, s13, s14
	s_add_nc_u64 s[22:23], s[22:23], s[26:27]
	s_mul_hi_u32 s7, s13, s14
	s_mul_hi_u32 s21, s13, s15
	s_add_co_u32 s9, s22, s9
	s_wait_alu 0xfffe
	s_add_co_ci_u32 s24, s23, s7
	s_mul_i32 s14, s13, s15
	s_add_co_ci_u32 s15, s21, 0
	s_mov_b32 s23, s8
	s_add_nc_u64 s[14:15], s[24:25], s[14:15]
	s_delay_alu instid0(SALU_CYCLE_1) | instskip(SKIP_1) | instid1(SALU_CYCLE_1)
	s_add_co_u32 s7, s12, s14
	s_cselect_b32 s9, -1, 0
	s_cmp_lg_u32 s9, 0
	s_add_co_ci_u32 s9, s13, s15
	s_ashr_i32 s12, s3, 31
	s_delay_alu instid0(SALU_CYCLE_1) | instskip(NEXT) | instid1(SALU_CYCLE_1)
	s_mov_b32 s13, s12
	s_add_nc_u64 s[14:15], s[2:3], s[12:13]
	s_delay_alu instid0(SALU_CYCLE_1) | instskip(NEXT) | instid1(SALU_CYCLE_1)
	s_xor_b64 s[14:15], s[14:15], s[12:13]
	s_mul_hi_u32 s27, s14, s9
	s_mul_i32 s26, s14, s9
	s_wait_alu 0xfffe
	s_mul_hi_u32 s22, s14, s7
	s_mul_hi_u32 s21, s15, s7
	s_mul_i32 s7, s15, s7
	s_add_nc_u64 s[22:23], s[22:23], s[26:27]
	s_mul_hi_u32 s3, s15, s9
	s_wait_alu 0xfffe
	s_add_co_u32 s7, s22, s7
	s_add_co_ci_u32 s24, s23, s21
	s_mul_i32 s26, s15, s9
	s_add_co_ci_u32 s27, s3, 0
	s_delay_alu instid0(SALU_CYCLE_1) | instskip(NEXT) | instid1(SALU_CYCLE_1)
	s_add_nc_u64 s[22:23], s[24:25], s[26:27]
	s_mul_u64 s[24:25], s[10:11], s[22:23]
	s_add_nc_u64 s[26:27], s[22:23], 1
	s_sub_co_u32 s3, s14, s24
	s_cselect_b32 s7, -1, 0
	s_sub_co_i32 s9, s15, s25
	s_wait_alu 0xfffe
	s_cmp_lg_u32 s7, 0
	s_add_nc_u64 s[28:29], s[22:23], 2
	s_sub_co_ci_u32 s9, s9, s11
	s_sub_co_u32 s14, s3, s10
	s_cselect_b32 s21, -1, 0
	s_delay_alu instid0(SALU_CYCLE_1) | instskip(SKIP_1) | instid1(SALU_CYCLE_1)
	s_cmp_lg_u32 s21, 0
	s_sub_co_ci_u32 s9, s9, 0
	s_cmp_ge_u32 s9, s11
	s_cselect_b32 s21, -1, 0
	s_cmp_ge_u32 s14, s10
	s_cselect_b32 s14, -1, 0
	s_cmp_eq_u32 s9, s11
	s_cselect_b32 s9, s14, s21
	s_delay_alu instid0(SALU_CYCLE_1)
	s_cmp_lg_u32 s9, 0
	s_cselect_b32 s9, s28, s26
	s_cselect_b32 s14, s29, s27
	s_cmp_lg_u32 s7, 0
	s_sub_co_ci_u32 s7, s15, s25
	s_wait_alu 0xfffe
	s_cmp_ge_u32 s7, s11
	s_cselect_b32 s15, -1, 0
	s_cmp_ge_u32 s3, s10
	s_cselect_b32 s3, -1, 0
	s_cmp_eq_u32 s7, s11
	s_cselect_b32 s3, s3, s15
	s_delay_alu instid0(SALU_CYCLE_1) | instskip(SKIP_3) | instid1(SALU_CYCLE_1)
	s_cmp_lg_u32 s3, 0
	s_cselect_b32 s11, s14, s23
	s_cselect_b32 s10, s9, s22
	s_xor_b64 s[12:13], s[12:13], 0
	s_xor_b64 s[10:11], s[10:11], s[12:13]
	s_delay_alu instid0(SALU_CYCLE_1)
	s_sub_nc_u64 s[10:11], s[10:11], s[12:13]
	s_load_b96 s[12:14], s[0:1], 0x44
	s_and_not1_b32 vcc_lo, exec_lo, s8
	s_cbranch_vccnz .LBB12_6
.LBB12_5:
	v_cvt_f32_u32_e32 v1, s16
	s_sub_co_i32 s7, 0, s16
	s_delay_alu instid0(VALU_DEP_1) | instskip(NEXT) | instid1(TRANS32_DEP_1)
	v_rcp_iflag_f32_e32 v1, v1
	v_mul_f32_e32 v1, 0x4f7ffffe, v1
	s_delay_alu instid0(VALU_DEP_1) | instskip(NEXT) | instid1(VALU_DEP_1)
	v_cvt_u32_f32_e32 v1, v1
	v_readfirstlane_b32 s3, v1
	s_wait_alu 0xfffe
	s_mul_i32 s7, s7, s3
	s_wait_alu 0xfffe
	s_mul_hi_u32 s7, s3, s7
	s_wait_alu 0xfffe
	s_add_co_i32 s3, s3, s7
	s_delay_alu instid0(SALU_CYCLE_1) | instskip(NEXT) | instid1(SALU_CYCLE_1)
	s_mul_hi_u32 s3, s2, s3
	s_mul_i32 s7, s3, s16
	s_wait_alu 0xfffe
	s_sub_co_i32 s2, s2, s7
	s_add_co_i32 s7, s3, 1
	s_sub_co_i32 s8, s2, s16
	s_cmp_ge_u32 s2, s16
	s_wait_alu 0xfffe
	s_cselect_b32 s3, s7, s3
	s_cselect_b32 s2, s8, s2
	s_add_co_i32 s7, s3, 1
	s_cmp_ge_u32 s2, s16
	s_wait_alu 0xfffe
	s_cselect_b32 s10, s7, s3
.LBB12_6:
	s_mov_b32 s21, 0
	s_wait_kmcnt 0x0
	s_mov_b32 s22, s12
	s_mov_b32 s23, s21
	s_cmp_eq_u32 s20, s10
	s_mul_u64 s[2:3], s[20:21], s[22:23]
	s_cselect_b32 s7, -1, 0
	s_add_co_i32 s2, s3, s20
	s_mov_b32 s11, s21
	s_lshr_b32 s12, s2, s13
	s_mul_u64 s[2:3], s[10:11], s[22:23]
	s_mul_i32 s2, s12, s14
	s_delay_alu instid0(SALU_CYCLE_1) | instskip(SKIP_2) | instid1(SALU_CYCLE_1)
	s_cmp_eq_u32 s2, s20
	s_cselect_b32 s2, -1, 0
	s_add_co_i32 s3, s3, s10
	s_lshr_b32 s3, s3, s13
	s_delay_alu instid0(SALU_CYCLE_1)
	s_cmp_eq_u32 s12, s3
	s_mul_i32 s3, s3, s14
	s_cselect_b32 s8, -1, 0
	s_cmp_lg_u32 s3, s10
	s_cselect_b32 s3, -1, 0
	s_wait_alu 0xfffe
	s_or_b32 s2, s7, s2
	s_and_b32 s3, s8, s3
	s_delay_alu instid0(SALU_CYCLE_1) | instskip(NEXT) | instid1(SALU_CYCLE_1)
	s_or_b32 s2, s2, s3
	s_and_b32 vcc_lo, exec_lo, s2
	s_cbranch_vccnz .LBB12_24
; %bb.7:
	s_load_b256 s[24:31], s[0:1], 0x20
	s_mov_b32 s3, s21
	s_load_b32 s7, s[0:1], 0x40
	s_and_b32 s15, ttmp7, 0xffff
	s_wait_kmcnt 0x0
	s_mov_b32 s2, s24
	s_delay_alu instid0(SALU_CYCLE_1) | instskip(NEXT) | instid1(SALU_CYCLE_1)
	s_mul_u64 s[2:3], s[20:21], s[2:3]
	s_add_co_i32 s2, s3, s20
	s_delay_alu instid0(SALU_CYCLE_1) | instskip(NEXT) | instid1(SALU_CYCLE_1)
	s_lshr_b32 s2, s2, s25
	s_mul_i32 s3, s2, s26
	s_delay_alu instid0(SALU_CYCLE_1) | instskip(NEXT) | instid1(SALU_CYCLE_1)
	s_sub_co_i32 s8, s20, s3
	s_mul_hi_u32 s3, s8, s27
	s_delay_alu instid0(SALU_CYCLE_1) | instskip(NEXT) | instid1(SALU_CYCLE_1)
	s_add_co_i32 s3, s8, s3
	s_lshr_b32 s3, s3, s28
	s_delay_alu instid0(SALU_CYCLE_1) | instskip(NEXT) | instid1(SALU_CYCLE_1)
	s_mul_i32 s9, s3, s29
	s_sub_co_i32 s8, s8, s9
	s_delay_alu instid0(SALU_CYCLE_1) | instskip(NEXT) | instid1(SALU_CYCLE_1)
	s_mul_hi_u32 s9, s8, s30
	s_add_co_i32 s9, s8, s9
	s_delay_alu instid0(SALU_CYCLE_1)
	s_lshr_b32 s24, s9, s31
	s_mov_b32 s9, s21
	s_mul_i32 s7, s24, s7
	s_lshr_b32 s21, ttmp7, 16
	s_wait_alu 0xfffe
	s_sub_co_i32 s8, s8, s7
	s_lshl_b32 s24, s24, 3
	s_mul_u64 s[10:11], s[8:9], s[22:23]
	s_delay_alu instid0(SALU_CYCLE_1)
	s_add_co_i32 s7, s8, s11
	s_wait_alu 0xfffe
	s_lshr_b32 s7, s7, s13
	s_wait_alu 0xfffe
	s_add_co_i32 s7, s7, s15
	s_wait_alu 0xfffe
	s_cmp_lt_i32 s7, s4
	s_cselect_b32 s8, -1, 0
	s_add_co_i32 s24, s24, s21
	s_delay_alu instid0(SALU_CYCLE_1) | instskip(SKIP_1) | instid1(SALU_CYCLE_1)
	s_cmp_lt_i32 s24, s6
	s_cselect_b32 s9, -1, 0
	s_and_b32 s8, s8, s9
	s_delay_alu instid0(SALU_CYCLE_1)
	s_and_not1_b32 vcc_lo, exec_lo, s8
	s_cbranch_vccnz .LBB12_24
; %bb.8:
	s_mul_i32 s2, s2, s4
	s_load_b128 s[8:11], s[0:1], 0x0
	s_mul_i32 s3, s3, s6
	s_add_co_i32 s0, s7, s2
	s_add_co_i32 s1, s24, s3
	s_mul_i32 s0, s0, s5
	v_cvt_f32_u32_e32 v4, s16
	s_add_co_i32 s1, s1, s0
	s_add_co_i32 s34, ttmp9, -1
	v_lshl_or_b32 v1, s1, 8, v0
	s_add_nc_u64 s[0:1], s[16:17], 0
	v_rcp_iflag_f32_e32 v4, v4
	s_wait_alu 0xfffe
	s_xor_b64 s[6:7], s[0:1], 0
	s_add_co_i32 s0, s15, ttmp9
	v_ashrrev_i32_e32 v2, 31, v1
	s_wait_alu 0xfffe
	s_cvt_f32_u32 s1, s6
	s_cvt_f32_u32 s2, s7
	s_lshl_b32 s0, s0, 3
	v_lshl_or_b32 v0, s21, 8, v0
	v_lshlrev_b64_e32 v[1:2], 2, v[1:2]
	s_wait_alu 0xfffe
	s_add_co_i32 s0, s0, s21
	s_fmamk_f32 s2, s2, 0x4f800000, s1
	s_wait_alu 0xfffe
	s_ashr_i32 s1, s0, 31
	s_sub_nc_u64 s[30:31], 0, s[6:7]
	s_wait_alu 0xfffe
	s_lshl_b64 s[0:1], s[0:1], 3
	s_wait_kmcnt 0x0
	v_add_co_u32 v1, vcc_lo, s8, v1
	s_delay_alu instid0(VALU_DEP_1)
	v_add_co_ci_u32_e64 v2, null, s9, v2, vcc_lo
	v_s_rcp_f32 s2, s2
	s_wait_alu 0xfffe
	s_add_nc_u64 s[0:1], s[10:11], s[0:1]
	s_mov_b32 s8, 0
	global_load_b32 v3, v[1:2], off
	s_load_b64 s[26:27], s[0:1], 0x0
	v_mul_f32_e32 v4, 0x4f7ffffe, v4
	s_lshl_b32 s0, s16, 5
	s_mul_f32 s2, s2, 0x5f7ffffc
	s_wait_alu 0xfffe
	s_delay_alu instid0(SALU_CYCLE_2) | instskip(SKIP_1) | instid1(SALU_CYCLE_2)
	s_mul_f32 s1, s2, 0x2f800000
	s_wait_alu 0xfffe
	s_trunc_f32 s3, s1
	s_mov_b32 s1, s8
	s_wait_alu 0xfffe
	s_lshl_b64 s[0:1], s[0:1], 2
	s_fmamk_f32 s2, s3, 0xcf800000, s2
	s_cvt_u32_f32 s29, s3
	s_wait_alu 0xfffe
	s_add_nc_u64 s[24:25], s[10:11], s[0:1]
	s_cvt_u32_f32 s28, s2
	s_wait_kmcnt 0x0
	v_mov_b32_e32 v5, s27
	v_cvt_u32_f32_e32 v4, v4
.LBB12_9:                               ; =>This Inner Loop Header: Depth=1
	s_wait_alu 0xfffe
	s_ashr_i32 s35, s34, 31
	s_mov_b32 s2, -1
	s_wait_alu 0xfffe
	s_mul_u64 s[0:1], s[34:35], s[18:19]
                                        ; implicit-def: $sgpr38_sgpr39
	s_wait_alu 0xfffe
	s_mov_b32 s9, s1
	s_wait_alu 0xfffe
	s_cmp_lg_u64 s[8:9], 0
	s_cbranch_scc0 .LBB12_11
; %bb.10:                               ;   in Loop: Header=BB12_9 Depth=1
	s_mul_u64 s[2:3], s[30:31], s[28:29]
	s_mov_b32 s37, s8
	s_wait_alu 0xfffe
	s_mul_hi_u32 s5, s28, s3
	s_mul_i32 s4, s28, s3
	s_mul_hi_u32 s36, s28, s2
	s_mul_hi_u32 s9, s29, s2
	s_wait_alu 0xfffe
	s_add_nc_u64 s[4:5], s[36:37], s[4:5]
	s_mul_i32 s2, s29, s2
	s_mul_hi_u32 s17, s29, s3
	s_wait_alu 0xfffe
	s_add_co_u32 s2, s4, s2
	s_add_co_ci_u32 s2, s5, s9
	s_add_co_ci_u32 s5, s17, 0
	s_mul_i32 s4, s29, s3
	s_mov_b32 s3, s8
	s_mov_b32 s39, s8
	s_wait_alu 0xfffe
	s_add_nc_u64 s[2:3], s[2:3], s[4:5]
	s_wait_alu 0xfffe
	s_add_co_u32 s2, s28, s2
	s_cselect_b32 s4, -1, 0
	s_wait_alu 0xfffe
	s_cmp_lg_u32 s4, 0
	s_add_co_ci_u32 s3, s29, s3
	s_wait_alu 0xfffe
	s_mul_u64 s[4:5], s[30:31], s[2:3]
	s_wait_alu 0xfffe
	s_mul_hi_u32 s37, s2, s5
	s_mul_i32 s36, s2, s5
	s_mul_hi_u32 s38, s2, s4
	s_mul_hi_u32 s9, s3, s4
	s_mul_i32 s4, s3, s4
	s_wait_alu 0xfffe
	s_add_nc_u64 s[36:37], s[38:39], s[36:37]
	s_mul_hi_u32 s17, s3, s5
	s_wait_alu 0xfffe
	s_add_co_u32 s4, s36, s4
	s_add_co_ci_u32 s4, s37, s9
	s_add_co_ci_u32 s37, s17, 0
	s_mul_i32 s36, s3, s5
	s_mov_b32 s5, s8
	s_wait_alu 0xfffe
	s_add_nc_u64 s[4:5], s[4:5], s[36:37]
	s_mov_b32 s37, s8
	s_wait_alu 0xfffe
	s_add_co_u32 s9, s2, s4
	s_cselect_b32 s2, -1, 0
	s_wait_alu 0xfffe
	s_cmp_lg_u32 s2, 0
	s_add_co_ci_u32 s17, s3, s5
	s_ashr_i32 s2, s1, 31
	s_wait_alu 0xfffe
	s_mov_b32 s3, s2
	s_wait_alu 0xfffe
	s_add_nc_u64 s[4:5], s[0:1], s[2:3]
	s_wait_alu 0xfffe
	s_xor_b64 s[4:5], s[4:5], s[2:3]
	s_wait_alu 0xfffe
	s_mul_hi_u32 s39, s4, s17
	s_mul_i32 s38, s4, s17
	s_mul_hi_u32 s36, s4, s9
	s_mul_i32 s27, s5, s9
	s_wait_alu 0xfffe
	s_add_nc_u64 s[36:37], s[36:37], s[38:39]
	s_mul_hi_u32 s9, s5, s9
	s_mul_hi_u32 s1, s5, s17
	s_wait_alu 0xfffe
	s_add_co_u32 s27, s36, s27
	s_add_co_ci_u32 s36, s37, s9
	s_add_co_ci_u32 s39, s1, 0
	s_mul_i32 s38, s5, s17
	s_mov_b32 s37, s8
	s_wait_alu 0xfffe
	s_add_nc_u64 s[36:37], s[36:37], s[38:39]
	s_wait_alu 0xfffe
	s_mul_u64 s[38:39], s[6:7], s[36:37]
	s_add_nc_u64 s[40:41], s[36:37], 1
	s_wait_alu 0xfffe
	s_sub_co_u32 s1, s4, s38
	s_cselect_b32 s4, -1, 0
	s_sub_co_i32 s9, s5, s39
	s_wait_alu 0xfffe
	s_cmp_lg_u32 s4, 0
	s_add_nc_u64 s[42:43], s[36:37], 2
	s_sub_co_ci_u32 s9, s9, s7
	s_sub_co_u32 s17, s1, s6
	s_cselect_b32 s27, -1, 0
	s_wait_alu 0xfffe
	s_cmp_lg_u32 s27, 0
	s_sub_co_ci_u32 s9, s9, 0
	s_wait_alu 0xfffe
	s_cmp_ge_u32 s9, s7
	s_cselect_b32 s27, -1, 0
	s_cmp_ge_u32 s17, s6
	s_cselect_b32 s17, -1, 0
	s_cmp_eq_u32 s9, s7
	s_wait_alu 0xfffe
	s_cselect_b32 s9, s17, s27
	s_wait_alu 0xfffe
	s_cmp_lg_u32 s9, 0
	s_cselect_b32 s9, s42, s40
	s_cselect_b32 s17, s43, s41
	s_cmp_lg_u32 s4, 0
	s_sub_co_ci_u32 s4, s5, s39
	s_wait_alu 0xfffe
	s_cmp_ge_u32 s4, s7
	s_cselect_b32 s5, -1, 0
	s_cmp_ge_u32 s1, s6
	s_cselect_b32 s1, -1, 0
	s_cmp_eq_u32 s4, s7
	s_wait_alu 0xfffe
	s_cselect_b32 s1, s1, s5
	s_wait_alu 0xfffe
	s_cmp_lg_u32 s1, 0
	s_cselect_b32 s5, s17, s37
	s_cselect_b32 s4, s9, s36
	s_xor_b64 s[2:3], s[2:3], 0
	s_wait_alu 0xfffe
	s_xor_b64 s[4:5], s[4:5], s[2:3]
	s_wait_alu 0xfffe
	s_sub_nc_u64 s[38:39], s[4:5], s[2:3]
	s_mov_b32 s2, 0
.LBB12_11:                              ;   in Loop: Header=BB12_9 Depth=1
	s_wait_alu 0xfffe
	s_and_not1_b32 vcc_lo, exec_lo, s2
	s_wait_alu 0xfffe
	s_cbranch_vccnz .LBB12_13
; %bb.12:                               ;   in Loop: Header=BB12_9 Depth=1
	v_readfirstlane_b32 s1, v4
	s_sub_co_i32 s2, 0, s16
	s_wait_alu 0xfffe
	s_mul_i32 s2, s2, s1
	s_wait_alu 0xfffe
	s_mul_hi_u32 s2, s1, s2
	s_wait_alu 0xfffe
	s_add_co_i32 s1, s1, s2
	s_wait_alu 0xfffe
	s_mul_hi_u32 s1, s0, s1
	s_wait_alu 0xfffe
	s_mul_i32 s2, s1, s16
	s_wait_alu 0xfffe
	s_sub_co_i32 s0, s0, s2
	s_add_co_i32 s2, s1, 1
	s_wait_alu 0xfffe
	s_sub_co_i32 s3, s0, s16
	s_cmp_ge_u32 s0, s16
	s_cselect_b32 s1, s2, s1
	s_wait_alu 0xfffe
	s_cselect_b32 s0, s3, s0
	s_add_co_i32 s2, s1, 1
	s_wait_alu 0xfffe
	s_cmp_ge_u32 s0, s16
	s_cselect_b32 s38, s2, s1
.LBB12_13:                              ;   in Loop: Header=BB12_9 Depth=1
	v_readfirstlane_b32 s9, v0
	s_wait_alu 0xfffe
	s_cmp_lg_u32 s20, s38
	s_mov_b32 s0, -1
                                        ; implicit-def: $sgpr27
                                        ; implicit-def: $vgpr6
                                        ; implicit-def: $vgpr7
                                        ; implicit-def: $sgpr17
                                        ; implicit-def: $sgpr33
	s_cbranch_scc1 .LBB12_16
; %bb.14:                               ;   in Loop: Header=BB12_9 Depth=1
	s_wait_alu 0xfffe
	s_and_not1_b32 vcc_lo, exec_lo, s0
	s_wait_alu 0xfffe
	s_cbranch_vccz .LBB12_19
.LBB12_15:                              ;   in Loop: Header=BB12_9 Depth=1
	s_and_not1_b32 vcc_lo, exec_lo, s27
	s_wait_alu 0xfffe
	s_cbranch_vccnz .LBB12_20
	s_branch .LBB12_23
.LBB12_16:                              ;   in Loop: Header=BB12_9 Depth=1
	s_add_co_i32 s40, s34, s15
	s_mov_b32 s1, s8
	s_wait_alu 0xfffe
	s_add_co_i32 s0, s40, s16
	v_max_num_f32_e64 v6, s26, s26
	s_wait_alu 0xfffe
	s_lshl_b32 s0, s0, 3
	s_mov_b32 s39, s8
	s_wait_alu 0xfffe
	s_add_co_i32 s0, s0, s21
	s_mul_u64 s[42:43], s[38:39], s[22:23]
	s_wait_alu 0xfffe
	s_lshl_b64 s[0:1], s[0:1], 3
	s_mov_b32 s33, s20
	s_wait_alu 0xfffe
	s_add_nc_u64 s[0:1], s[10:11], s[0:1]
	s_load_b64 s[36:37], s[0:1], 0x0
	v_readfirstlane_b32 s0, v6
	s_wait_kmcnt 0x0
	v_max_num_f32_e64 v7, s36, s36
	s_delay_alu instid0(VALU_DEP_1) | instskip(SKIP_2) | instid1(SALU_CYCLE_2)
	v_readfirstlane_b32 s1, v7
	s_max_num_f32 s9, s0, s1
	s_wait_alu 0xfffe
	s_sub_f32 s35, s26, s9
	s_sub_f32 s36, s36, s9
	s_wait_alu 0xfffe
	s_delay_alu instid0(SALU_CYCLE_1)
	s_cmp_nlt_f32 s35, 0xc2ce8ed0
	s_cselect_b32 s0, -1, 0
	s_cmp_ngt_f32 s35, 0x42b17218
	s_cselect_b32 s1, -1, 0
	s_cmp_ge_f32 s35, 0xc1a00000
	s_cselect_b32 s2, -1, 0
	s_cmp_nlt_f32 s36, 0xc2ce8ed0
	s_cselect_b32 s3, -1, 0
	s_cmp_ngt_f32 s36, 0x42b17218
	s_cselect_b32 s4, -1, 0
	s_cmp_ge_f32 s36, 0xc1a00000
	s_cselect_b32 s5, -1, 0
	s_add_co_i32 s17, s43, s38
	s_wait_alu 0xfffe
	s_lshr_b32 s17, s17, s13
	s_wait_alu 0xfffe
	s_mul_i32 s27, s17, s14
	s_wait_alu 0xfffe
	s_cmp_eq_u32 s27, s38
	s_cselect_b32 s27, -1, 0
	s_cmp_lt_u32 s17, s12
	s_cselect_b32 s17, -1, 0
	s_wait_alu 0xfffe
	s_or_b32 s17, s17, s27
	s_mov_b32 s27, -1
	s_wait_alu 0xfffe
	s_and_b32 vcc_lo, exec_lo, s17
	s_mov_b32 s17, s34
	s_wait_alu 0xfffe
	s_cbranch_vccnz .LBB12_18
; %bb.17:                               ;   in Loop: Header=BB12_9 Depth=1
	s_add_co_i32 s17, s34, -1
	s_mov_b32 s27, 0
	s_mov_b32 s33, s38
.LBB12_18:                              ;   in Loop: Header=BB12_9 Depth=1
	v_lshl_add_u32 v6, s40, 11, v0
	s_mul_f32 s38, s36, 0x3fb8aa3b
	s_mul_f32 s39, s35, 0x3fb8aa3b
	s_wait_alu 0xfffe
	s_delay_alu instid0(SALU_CYCLE_1)
	s_xor_b32 s40, s38, 0x80000000
	v_ashrrev_i32_e32 v7, 31, v6
	s_rndne_f32 s41, s38
	s_wait_alu 0xfffe
	s_fmamk_f32 s40, s36, 0x3fb8aa3b, s40
	s_xor_b32 s42, s39, 0x80000000
	s_rndne_f32 s43, s39
	v_lshlrev_b64_e32 v[6:7], 2, v[6:7]
	s_sub_f32 s38, s38, s41
	s_wait_alu 0xfffe
	s_fmamk_f32 s36, s36, 0x32a5705f, s40
	s_fmamk_f32 s40, s35, 0x3fb8aa3b, s42
	s_sub_f32 s39, s39, s43
	v_add_co_u32 v6, vcc_lo, s24, v6
	s_wait_alu 0xfffd
	v_add_co_ci_u32_e64 v7, null, s25, v7, vcc_lo
	s_wait_alu 0xfffe
	s_add_f32 s36, s38, s36
	s_fmamk_f32 s35, s35, 0x32a5705f, s40
	s_cvt_i32_f32 s38, s41
	global_load_b32 v6, v[6:7], off
	s_wait_alu 0xfffe
	v_s_exp_f32 s36, s36
	s_add_f32 s35, s39, s35
	s_wait_alu 0xfffe
	s_delay_alu instid0(SALU_CYCLE_2) | instskip(NEXT) | instid1(TRANS32_DEP_2)
	v_s_exp_f32 s35, s35
	v_ldexp_f32 v7, s36, s38
	s_cvt_i32_f32 s36, s43
	s_wait_alu 0xf1fe
	s_delay_alu instid0(TRANS32_DEP_1) | instid1(SALU_CYCLE_2)
	v_ldexp_f32 v8, s35, s36
	s_delay_alu instid0(VALU_DEP_2) | instskip(NEXT) | instid1(VALU_DEP_2)
	v_cndmask_b32_e64 v7, 0, v7, s3
	v_cndmask_b32_e64 v8, 0, v8, s0
	s_delay_alu instid0(VALU_DEP_2) | instskip(NEXT) | instid1(VALU_DEP_2)
	v_cndmask_b32_e64 v7, 0x7f800000, v7, s4
	v_cndmask_b32_e64 v8, 0x7f800000, v8, s1
	;; [unrolled: 3-line block ×3, first 2 shown]
	s_wait_loadcnt 0x0
	s_delay_alu instid0(VALU_DEP_2) | instskip(SKIP_1) | instid1(VALU_DEP_1)
	v_mul_f32_e32 v6, v6, v7
	v_mul_f32_e32 v7, s37, v7
	v_fmac_f32_e32 v7, v5, v8
	s_delay_alu instid0(VALU_DEP_3)
	v_fmac_f32_e32 v6, v3, v8
	s_cbranch_execnz .LBB12_15
.LBB12_19:                              ;   in Loop: Header=BB12_9 Depth=1
	s_wait_loadcnt 0x0
	v_dual_mov_b32 v7, v5 :: v_dual_mov_b32 v6, v3
	s_add_co_i32 s17, s34, -1
	s_mov_b32 s33, s20
	s_mov_b32 s9, s26
	s_cbranch_execz .LBB12_23
.LBB12_20:                              ;   in Loop: Header=BB12_9 Depth=1
	v_mov_b32_e32 v5, v7
	s_wait_loadcnt 0x0
	v_mov_b32_e32 v3, v6
	s_mov_b32 s20, s33
	s_wait_alu 0xfffe
	s_mov_b32 s34, s17
	s_mov_b32 s26, s9
	s_branch .LBB12_9
.LBB12_21:
                                        ; implicit-def: $sgpr20_sgpr21
	s_branch .LBB12_2
.LBB12_22:
                                        ; implicit-def: $sgpr10_sgpr11
	s_load_b96 s[12:14], s[0:1], 0x44
	s_branch .LBB12_5
.LBB12_23:
	v_div_scale_f32 v0, null, v7, v7, v6
	s_wait_loadcnt 0x0
	s_delay_alu instid0(VALU_DEP_1) | instskip(NEXT) | instid1(TRANS32_DEP_1)
	v_rcp_f32_e32 v3, v0
	v_fma_f32 v4, -v0, v3, 1.0
	s_delay_alu instid0(VALU_DEP_1) | instskip(SKIP_1) | instid1(VALU_DEP_1)
	v_fmac_f32_e32 v3, v4, v3
	v_div_scale_f32 v4, vcc_lo, v6, v7, v6
	v_mul_f32_e32 v5, v4, v3
	s_delay_alu instid0(VALU_DEP_1) | instskip(NEXT) | instid1(VALU_DEP_1)
	v_fma_f32 v8, -v0, v5, v4
	v_fmac_f32_e32 v5, v8, v3
	s_delay_alu instid0(VALU_DEP_1) | instskip(SKIP_1) | instid1(VALU_DEP_1)
	v_fma_f32 v0, -v0, v5, v4
	s_wait_alu 0xfffd
	v_div_fmas_f32 v0, v0, v3, v5
	s_delay_alu instid0(VALU_DEP_1)
	v_div_fixup_f32 v0, v0, v7, v6
	global_store_b32 v[1:2], v0, off
.LBB12_24:
	s_endpgm
	.section	.rodata,"a",@progbits
	.p2align	6, 0x0
	.amdhsa_kernel _ZL33flash_attn_stream_k_fixup_generalILi256ELi1ELi8EEvPfPK15HIP_vector_typeIfLj2EEiiiiS1_IjLj3EES5_S5_S5_
		.amdhsa_group_segment_fixed_size 0
		.amdhsa_private_segment_fixed_size 0
		.amdhsa_kernarg_size 336
		.amdhsa_user_sgpr_count 2
		.amdhsa_user_sgpr_dispatch_ptr 0
		.amdhsa_user_sgpr_queue_ptr 0
		.amdhsa_user_sgpr_kernarg_segment_ptr 1
		.amdhsa_user_sgpr_dispatch_id 0
		.amdhsa_user_sgpr_private_segment_size 0
		.amdhsa_wavefront_size32 1
		.amdhsa_uses_dynamic_stack 0
		.amdhsa_enable_private_segment 0
		.amdhsa_system_sgpr_workgroup_id_x 1
		.amdhsa_system_sgpr_workgroup_id_y 1
		.amdhsa_system_sgpr_workgroup_id_z 1
		.amdhsa_system_sgpr_workgroup_info 0
		.amdhsa_system_vgpr_workitem_id 0
		.amdhsa_next_free_vgpr 9
		.amdhsa_next_free_sgpr 44
		.amdhsa_reserve_vcc 1
		.amdhsa_float_round_mode_32 0
		.amdhsa_float_round_mode_16_64 0
		.amdhsa_float_denorm_mode_32 3
		.amdhsa_float_denorm_mode_16_64 3
		.amdhsa_fp16_overflow 0
		.amdhsa_workgroup_processor_mode 1
		.amdhsa_memory_ordered 1
		.amdhsa_forward_progress 1
		.amdhsa_inst_pref_size 28
		.amdhsa_round_robin_scheduling 0
		.amdhsa_exception_fp_ieee_invalid_op 0
		.amdhsa_exception_fp_denorm_src 0
		.amdhsa_exception_fp_ieee_div_zero 0
		.amdhsa_exception_fp_ieee_overflow 0
		.amdhsa_exception_fp_ieee_underflow 0
		.amdhsa_exception_fp_ieee_inexact 0
		.amdhsa_exception_int_div_zero 0
	.end_amdhsa_kernel
	.section	.text._ZL33flash_attn_stream_k_fixup_generalILi256ELi1ELi8EEvPfPK15HIP_vector_typeIfLj2EEiiiiS1_IjLj3EES5_S5_S5_,"axG",@progbits,_ZL33flash_attn_stream_k_fixup_generalILi256ELi1ELi8EEvPfPK15HIP_vector_typeIfLj2EEiiiiS1_IjLj3EES5_S5_S5_,comdat
.Lfunc_end12:
	.size	_ZL33flash_attn_stream_k_fixup_generalILi256ELi1ELi8EEvPfPK15HIP_vector_typeIfLj2EEiiiiS1_IjLj3EES5_S5_S5_, .Lfunc_end12-_ZL33flash_attn_stream_k_fixup_generalILi256ELi1ELi8EEvPfPK15HIP_vector_typeIfLj2EEiiiiS1_IjLj3EES5_S5_S5_
                                        ; -- End function
	.set _ZL33flash_attn_stream_k_fixup_generalILi256ELi1ELi8EEvPfPK15HIP_vector_typeIfLj2EEiiiiS1_IjLj3EES5_S5_S5_.num_vgpr, 9
	.set _ZL33flash_attn_stream_k_fixup_generalILi256ELi1ELi8EEvPfPK15HIP_vector_typeIfLj2EEiiiiS1_IjLj3EES5_S5_S5_.num_agpr, 0
	.set _ZL33flash_attn_stream_k_fixup_generalILi256ELi1ELi8EEvPfPK15HIP_vector_typeIfLj2EEiiiiS1_IjLj3EES5_S5_S5_.numbered_sgpr, 44
	.set _ZL33flash_attn_stream_k_fixup_generalILi256ELi1ELi8EEvPfPK15HIP_vector_typeIfLj2EEiiiiS1_IjLj3EES5_S5_S5_.num_named_barrier, 0
	.set _ZL33flash_attn_stream_k_fixup_generalILi256ELi1ELi8EEvPfPK15HIP_vector_typeIfLj2EEiiiiS1_IjLj3EES5_S5_S5_.private_seg_size, 0
	.set _ZL33flash_attn_stream_k_fixup_generalILi256ELi1ELi8EEvPfPK15HIP_vector_typeIfLj2EEiiiiS1_IjLj3EES5_S5_S5_.uses_vcc, 1
	.set _ZL33flash_attn_stream_k_fixup_generalILi256ELi1ELi8EEvPfPK15HIP_vector_typeIfLj2EEiiiiS1_IjLj3EES5_S5_S5_.uses_flat_scratch, 0
	.set _ZL33flash_attn_stream_k_fixup_generalILi256ELi1ELi8EEvPfPK15HIP_vector_typeIfLj2EEiiiiS1_IjLj3EES5_S5_S5_.has_dyn_sized_stack, 0
	.set _ZL33flash_attn_stream_k_fixup_generalILi256ELi1ELi8EEvPfPK15HIP_vector_typeIfLj2EEiiiiS1_IjLj3EES5_S5_S5_.has_recursion, 0
	.set _ZL33flash_attn_stream_k_fixup_generalILi256ELi1ELi8EEvPfPK15HIP_vector_typeIfLj2EEiiiiS1_IjLj3EES5_S5_S5_.has_indirect_call, 0
	.section	.AMDGPU.csdata,"",@progbits
; Kernel info:
; codeLenInByte = 3556
; TotalNumSgprs: 46
; NumVgprs: 9
; ScratchSize: 0
; MemoryBound: 0
; FloatMode: 240
; IeeeMode: 1
; LDSByteSize: 0 bytes/workgroup (compile time only)
; SGPRBlocks: 0
; VGPRBlocks: 1
; NumSGPRsForWavesPerEU: 46
; NumVGPRsForWavesPerEU: 9
; Occupancy: 16
; WaveLimiterHint : 0
; COMPUTE_PGM_RSRC2:SCRATCH_EN: 0
; COMPUTE_PGM_RSRC2:USER_SGPR: 2
; COMPUTE_PGM_RSRC2:TRAP_HANDLER: 0
; COMPUTE_PGM_RSRC2:TGID_X_EN: 1
; COMPUTE_PGM_RSRC2:TGID_Y_EN: 1
; COMPUTE_PGM_RSRC2:TGID_Z_EN: 1
; COMPUTE_PGM_RSRC2:TIDIG_COMP_CNT: 0
	.section	.text._ZL15flash_attn_tileILi256ELi256ELi8ELi4ELb0EEvPKcS1_S1_S1_S1_PKiPfP15HIP_vector_typeIfLj2EEffffjfiS5_IjLj3EEiiiiiiiiiiiliiliiiiil,"axG",@progbits,_ZL15flash_attn_tileILi256ELi256ELi8ELi4ELb0EEvPKcS1_S1_S1_S1_PKiPfP15HIP_vector_typeIfLj2EEffffjfiS5_IjLj3EEiiiiiiiiiiiliiliiiiil,comdat
	.globl	_ZL15flash_attn_tileILi256ELi256ELi8ELi4ELb0EEvPKcS1_S1_S1_S1_PKiPfP15HIP_vector_typeIfLj2EEffffjfiS5_IjLj3EEiiiiiiiiiiiliiliiiiil ; -- Begin function _ZL15flash_attn_tileILi256ELi256ELi8ELi4ELb0EEvPKcS1_S1_S1_S1_PKiPfP15HIP_vector_typeIfLj2EEffffjfiS5_IjLj3EEiiiiiiiiiiiliiliiiiil
	.p2align	8
	.type	_ZL15flash_attn_tileILi256ELi256ELi8ELi4ELb0EEvPKcS1_S1_S1_S1_PKiPfP15HIP_vector_typeIfLj2EEffffjfiS5_IjLj3EEiiiiiiiiiiiliiliiiiil,@function
_ZL15flash_attn_tileILi256ELi256ELi8ELi4ELb0EEvPKcS1_S1_S1_S1_PKiPfP15HIP_vector_typeIfLj2EEffffjfiS5_IjLj3EEiiiiiiiiiiiliiliiiiil: ; @_ZL15flash_attn_tileILi256ELi256ELi8ELi4ELb0EEvPKcS1_S1_S1_S1_PKiPfP15HIP_vector_typeIfLj2EEffffjfiS5_IjLj3EEiiiiiiiiiiiliiliiiiil
; %bb.0:
	s_clause 0x1
	s_load_b128 s[24:27], s[0:1], 0x5c
	s_load_b64 s[34:35], s[0:1], 0x80
	s_lshr_b32 s5, ttmp7, 16
	s_clause 0x1
	s_load_b512 s[8:23], s[0:1], 0x0
	s_load_b64 s[38:39], s[0:1], 0xb8
	s_mov_b64 s[36:37], 0
	s_wait_kmcnt 0x0
	s_ashr_i32 s2, s27, 31
	s_delay_alu instid0(SALU_CYCLE_1) | instskip(NEXT) | instid1(SALU_CYCLE_1)
	s_lshr_b32 s2, s2, 30
	s_add_co_i32 s2, s27, s2
	s_delay_alu instid0(SALU_CYCLE_1) | instskip(NEXT) | instid1(SALU_CYCLE_1)
	s_ashr_i32 s2, s2, 2
	s_cvt_f32_u32 s3, s2
	s_sub_co_i32 s4, 0, s2
	s_delay_alu instid0(SALU_CYCLE_2) | instskip(NEXT) | instid1(TRANS32_DEP_1)
	v_rcp_iflag_f32_e32 v1, s3
	v_readfirstlane_b32 s3, v1
	s_mul_f32 s3, s3, 0x4f7ffffe
	s_wait_alu 0xfffe
	s_delay_alu instid0(SALU_CYCLE_2) | instskip(SKIP_1) | instid1(SALU_CYCLE_2)
	s_cvt_u32_f32 s3, s3
	s_wait_alu 0xfffe
	s_mul_i32 s4, s4, s3
	s_delay_alu instid0(SALU_CYCLE_1) | instskip(NEXT) | instid1(SALU_CYCLE_1)
	s_mul_hi_u32 s4, s3, s4
	s_add_co_i32 s3, s3, s4
	s_wait_alu 0xfffe
	s_mul_hi_u32 s3, s5, s3
	s_wait_alu 0xfffe
	s_mul_i32 s4, s3, s2
	s_add_co_i32 s6, s3, 1
	s_sub_co_i32 s4, s5, s4
	s_delay_alu instid0(SALU_CYCLE_1)
	s_sub_co_i32 s7, s4, s2
	s_cmp_ge_u32 s4, s2
	s_cselect_b32 s3, s6, s3
	s_cselect_b32 s4, s7, s4
	s_wait_alu 0xfffe
	s_add_co_i32 s6, s3, 1
	s_cmp_ge_u32 s4, s2
	s_cselect_b32 s28, s6, s3
	s_abs_i32 s2, s35
	s_abs_i32 s7, s27
	s_wait_alu 0xfffe
	s_cvt_f32_u32 s3, s2
	s_sub_co_i32 s4, 0, s2
	s_lshl_b32 s5, s5, 2
	s_mul_i32 s6, s28, s27
	s_wait_alu 0xfffe
	v_rcp_iflag_f32_e32 v1, s3
	s_sub_co_i32 s30, s5, s6
	s_delay_alu instid0(TRANS32_DEP_1) | instskip(SKIP_2) | instid1(SALU_CYCLE_2)
	v_readfirstlane_b32 s3, v1
	s_mul_f32 s3, s3, 0x4f7ffffe
	s_wait_alu 0xfffe
	s_cvt_u32_f32 s3, s3
	s_wait_alu 0xfffe
	s_delay_alu instid0(SALU_CYCLE_2) | instskip(NEXT) | instid1(SALU_CYCLE_1)
	s_mul_i32 s4, s4, s3
	s_mul_hi_u32 s4, s3, s4
	s_delay_alu instid0(SALU_CYCLE_1)
	s_add_co_i32 s3, s3, s4
	s_xor_b32 s4, s27, s35
	s_wait_alu 0xfffe
	s_mul_hi_u32 s3, s7, s3
	s_ashr_i32 s4, s4, 31
	s_wait_alu 0xfffe
	s_mul_i32 s5, s3, s2
	s_add_co_i32 s6, s3, 1
	s_sub_co_i32 s5, s7, s5
	s_delay_alu instid0(SALU_CYCLE_1)
	s_sub_co_i32 s7, s5, s2
	s_cmp_ge_u32 s5, s2
	s_cselect_b32 s3, s6, s3
	s_cselect_b32 s5, s7, s5
	s_wait_alu 0xfffe
	s_add_co_i32 s6, s3, 1
	s_cmp_ge_u32 s5, s2
	s_cselect_b32 s2, s6, s3
	s_mov_b32 s3, 0
	s_wait_alu 0xfffe
	s_xor_b32 s2, s2, s4
	s_wait_alu 0xfffe
	s_sub_co_i32 s33, s2, s4
	s_delay_alu instid0(SALU_CYCLE_1) | instskip(SKIP_3) | instid1(SALU_CYCLE_2)
	s_abs_i32 s31, s33
	s_cmp_eq_u64 s[14:15], 0
	s_cvt_f32_u32 s2, s31
	s_wait_alu 0xfffe
	v_rcp_iflag_f32_e32 v1, s2
	s_delay_alu instid0(TRANS32_DEP_1)
	v_readfirstlane_b32 s2, v1
	s_cbranch_scc1 .LBB13_2
; %bb.1:
	s_abs_i32 s6, s38
	s_delay_alu instid0(SALU_CYCLE_1) | instskip(NEXT) | instid1(SALU_CYCLE_3)
	s_cvt_f32_u32 s4, s6
	v_rcp_iflag_f32_e32 v1, s4
	s_delay_alu instid0(TRANS32_DEP_1) | instskip(SKIP_2) | instid1(SALU_CYCLE_2)
	v_readfirstlane_b32 s4, v1
	s_mul_f32 s4, s4, 0x4f7ffffe
	s_wait_alu 0xfffe
	s_cvt_u32_f32 s7, s4
	s_sub_co_i32 s4, 0, s6
	s_wait_alu 0xfffe
	s_delay_alu instid0(SALU_CYCLE_1) | instskip(SKIP_4) | instid1(SALU_CYCLE_1)
	s_mul_i32 s4, s4, s7
	s_wait_alu 0xfffe
	s_mul_hi_u32 s29, s7, s4
	s_load_b64 s[4:5], s[0:1], 0xc8
	s_add_co_i32 s7, s7, s29
	s_mul_hi_u32 s7, s28, s7
	s_delay_alu instid0(SALU_CYCLE_1) | instskip(NEXT) | instid1(SALU_CYCLE_1)
	s_mul_i32 s7, s7, s6
	s_sub_co_i32 s7, s28, s7
	s_delay_alu instid0(SALU_CYCLE_1) | instskip(SKIP_2) | instid1(SALU_CYCLE_1)
	s_sub_co_i32 s29, s7, s6
	s_cmp_ge_u32 s7, s6
	s_cselect_b32 s7, s29, s7
	s_sub_co_i32 s29, s7, s6
	s_cmp_ge_u32 s7, s6
	s_cselect_b32 s6, s29, s7
	s_delay_alu instid0(SALU_CYCLE_1)
	s_ashr_i32 s7, s6, 31
	s_wait_kmcnt 0x0
	s_mul_u64 s[4:5], s[4:5], s[6:7]
	s_wait_alu 0xfffe
	s_add_nc_u64 s[36:37], s[14:15], s[4:5]
.LBB13_2:
	v_bfe_u32 v1, v0, 10, 10
	s_load_b96 s[4:6], s[0:1], 0x70
	v_and_b32_e32 v59, 0x3ff, v0
	s_delay_alu instid0(VALU_DEP_2) | instskip(SKIP_1) | instid1(VALU_DEP_3)
	v_lshl_add_u32 v57, ttmp9, 3, v1
	v_lshl_add_u32 v84, v1, 11, 0x4400
	v_lshlrev_b32_e32 v0, 4, v59
	s_delay_alu instid0(VALU_DEP_3) | instskip(NEXT) | instid1(VALU_DEP_1)
	v_mul_hi_u32 v2, s24, v57
	v_add_nc_u32_e32 v2, v57, v2
	s_wait_kmcnt 0x0
	s_ashr_i32 s15, s4, 31
	s_mov_b32 s14, s4
	s_delay_alu instid0(VALU_DEP_1)
	v_lshrrev_b32_e32 v2, s25, v2
	s_lshr_b64 s[24:25], s[14:15], 2
	s_lshr_b32 s4, s15, 2
	s_mul_i32 s6, s28, s6
	s_mul_i32 s14, s30, s5
	v_mul_lo_u32 v2, v2, s26
	s_ashr_i32 s7, s6, 31
	s_ashr_i32 s15, s14, 31
	s_add_nc_u64 s[6:7], s[8:9], s[6:7]
	s_delay_alu instid0(SALU_CYCLE_1) | instskip(NEXT) | instid1(VALU_DEP_1)
	s_add_nc_u64 s[6:7], s[6:7], s[14:15]
	v_sub_nc_u32_e32 v2, v57, v2
	s_wait_alu 0xfffe
	s_delay_alu instid0(VALU_DEP_1) | instskip(NEXT) | instid1(VALU_DEP_1)
	v_mad_co_u64_u32 v[3:4], null, s24, v2, 0
	v_mad_co_u64_u32 v[4:5], null, s4, v2, v[4:5]
	s_and_b32 s4, s5, -4
	v_lshlrev_b64_e32 v[3:4], 2, v[3:4]
	s_delay_alu instid0(VALU_DEP_1) | instskip(NEXT) | instid1(VALU_DEP_1)
	v_add_co_u32 v3, vcc_lo, s6, v3
	v_add_co_ci_u32_e64 v4, null, s7, v4, vcc_lo
	s_ashr_i32 s7, s5, 31
	v_add_co_u32 v27, vcc_lo, v3, v0
	s_wait_alu 0xfffd
	v_add_co_ci_u32_e64 v28, null, 0, v4, vcc_lo
	s_mov_b32 s6, s5
	s_wait_alu 0xfffe
	v_add_co_u32 v15, vcc_lo, v27, s4
	s_lshr_b64 s[4:5], s[6:7], 2
	s_wait_alu 0xfffd
	v_add_co_ci_u32_e64 v16, null, s7, v28, vcc_lo
	s_wait_alu 0xfffe
	v_mad_co_u64_u32 v[31:32], null, s4, 12, v[27:28]
	s_lshl_b64 s[8:9], s[4:5], 3
	s_clause 0x1
	global_load_b128 v[3:6], v[27:28], off
	global_load_b128 v[11:14], v[15:16], off
	v_add_co_u32 v23, vcc_lo, v27, s8
	global_load_b128 v[7:10], v[27:28], off offset:512
	v_mov_b32_e32 v0, v32
	s_wait_alu 0xfffd
	v_add_co_ci_u32_e64 v24, null, s9, v28, vcc_lo
	s_clause 0x2
	global_load_b128 v[15:18], v[15:16], off offset:512
	global_load_b128 v[19:22], v[23:24], off
	global_load_b128 v[23:26], v[23:24], off offset:512
	v_mad_co_u64_u32 v[27:28], null, s7, 12, v[0:1]
	s_load_b32 s4, s[0:1], 0x40
	s_cmp_eq_u64 s[18:19], 0
	v_dual_mov_b32 v32, v27 :: v_dual_lshlrev_b32 v85, 3, v59
	s_clause 0x1
	global_load_b128 v[27:30], v[31:32], off
	global_load_b128 v[31:34], v[31:32], off offset:512
	v_add_nc_u32_e32 v0, v84, v85
	s_wait_loadcnt 0x7
	s_wait_kmcnt 0x0
	v_fma_mixlo_f16 v3, s4, v3, 0
	v_fma_mixlo_f16 v4, s4, v4, 0
	;; [unrolled: 1-line block ×4, first 2 shown]
	s_wait_loadcnt 0x5
	v_fma_mixlo_f16 v7, s4, v7, 0
	v_fma_mixlo_f16 v8, s4, v8, 0
	;; [unrolled: 1-line block ×4, first 2 shown]
	v_lshlrev_b32_e32 v4, 16, v4
	v_and_b32_e32 v3, 0xffff, v3
	v_lshlrev_b32_e32 v6, 16, v6
	v_and_b32_e32 v5, 0xffff, v5
	;; [unrolled: 2-line block ×4, first 2 shown]
	v_fma_mixlo_f16 v11, s4, v11, 0
	v_fma_mixlo_f16 v12, s4, v12, 0
	;; [unrolled: 1-line block ×4, first 2 shown]
	s_wait_loadcnt 0x4
	v_fma_mixlo_f16 v15, s4, v15, 0
	v_fma_mixlo_f16 v16, s4, v16, 0
	;; [unrolled: 1-line block ×4, first 2 shown]
	s_wait_loadcnt 0x3
	v_fma_mixlo_f16 v19, s4, v19, 0
	v_fma_mixlo_f16 v20, s4, v20, 0
	s_wait_loadcnt 0x2
	v_fma_mixlo_f16 v23, s4, v23, 0
	v_fma_mixlo_f16 v24, s4, v24, 0
	;; [unrolled: 1-line block ×6, first 2 shown]
	v_or_b32_e32 v3, v4, v3
	v_or3_b32 v4, v6, v5, 0
	v_or_b32_e32 v5, v8, v7
	v_or3_b32 v6, v10, v9, 0
	v_lshlrev_b32_e32 v7, 16, v12
	v_and_b32_e32 v8, 0xffff, v11
	v_lshlrev_b32_e32 v9, 16, v14
	v_and_b32_e32 v10, 0xffff, v13
	;; [unrolled: 2-line block ×8, first 2 shown]
	v_or_b32_e32 v7, v7, v8
	v_or3_b32 v8, v9, v10, 0
	v_or_b32_e32 v9, v11, v12
	v_or3_b32 v10, v13, v14, 0
	v_or_b32_e32 v11, v15, v16
	v_or_b32_e32 v13, v19, v20
	s_wait_loadcnt 0x1
	v_fma_mixlo_f16 v15, s4, v27, 0
	v_fma_mixlo_f16 v16, s4, v28, 0
	s_wait_loadcnt 0x0
	v_fma_mixlo_f16 v19, s4, v31, 0
	v_fma_mixlo_f16 v20, s4, v32, 0
	v_or3_b32 v12, v17, v18, 0
	v_or3_b32 v14, v21, v22, 0
	v_fma_mixlo_f16 v17, s4, v29, 0
	v_fma_mixlo_f16 v18, s4, v30, 0
	;; [unrolled: 1-line block ×4, first 2 shown]
	v_lshlrev_b32_e32 v16, 16, v16
	v_and_b32_e32 v15, 0xffff, v15
	v_lshlrev_b32_e32 v20, 16, v20
	v_and_b32_e32 v19, 0xffff, v19
	;; [unrolled: 2-line block ×4, first 2 shown]
	v_or_b32_e32 v15, v16, v15
	v_or_b32_e32 v19, v20, v19
	v_or3_b32 v3, 0, 0, v3
	v_or3_b32 v5, 0, 0, v5
	;; [unrolled: 1-line block ×10, first 2 shown]
	ds_store_2addr_b64 v0, v[3:4], v[5:6] offset1:32
	ds_store_2addr_b64 v0, v[7:8], v[9:10] offset0:64 offset1:96
	ds_store_2addr_b64 v0, v[11:12], v[13:14] offset0:128 offset1:160
	;; [unrolled: 1-line block ×3, first 2 shown]
	s_wait_dscnt 0x0
	s_barrier_signal -1
	s_barrier_wait -1
	global_inv scope:SCOPE_SE
	s_cbranch_scc1 .LBB13_4
; %bb.3:
	s_load_b32 s4, s[0:1], 0xd0
	s_mov_b32 s5, 0
	s_wait_kmcnt 0x0
	s_mul_i32 s4, s4, s28
	s_wait_alu 0xfffe
	s_add_co_i32 s4, s4, ttmp9
	s_wait_alu 0xfffe
	s_lshl_b64 s[4:5], s[4:5], 2
	s_wait_alu 0xfffe
	s_add_nc_u64 s[4:5], s[18:19], s[4:5]
	s_load_b32 s34, s[4:5], 0x0
.LBB13_4:
	s_and_b32 s14, ttmp7, 0xffff
	v_lshlrev_b32_e32 v56, 2, v59
	v_mbcnt_lo_u32_b32 v104, -1, 0
	s_lshl_b32 s18, s14, 6
	s_wait_kmcnt 0x0
	s_cmp_lt_i32 s18, s34
	s_cbranch_scc1 .LBB13_7
; %bb.5:
	v_mbcnt_lo_u32_b32 v5, -1, 0
	v_mov_b32_e32 v4, 32
	s_delay_alu instid0(VALU_DEP_2)
	v_xor_b32_e32 v86, 16, v5
	v_xor_b32_e32 v91, 8, v5
	;; [unrolled: 1-line block ×5, first 2 shown]
	s_mov_b32 s29, 0
	s_cbranch_execz .LBB13_8
; %bb.6:
	v_dual_mov_b32 v38, 0 :: v_dual_mov_b32 v3, 0xfeffffff
	v_dual_mov_b32 v112, 0 :: v_dual_mov_b32 v1, 0xfeffffff
	;; [unrolled: 1-line block ×12, first 2 shown]
	s_branch .LBB13_11
.LBB13_7:
                                        ; implicit-def: $vgpr5
                                        ; implicit-def: $vgpr4
                                        ; implicit-def: $vgpr86
                                        ; implicit-def: $vgpr91
                                        ; implicit-def: $vgpr90
                                        ; implicit-def: $vgpr89
                                        ; implicit-def: $vgpr88
	s_mov_b32 s29, 0
.LBB13_8:
	scratch_store_b64 off, v[57:58], off offset:60 ; 8-byte Folded Spill
	s_mul_f32 s2, s2, 0x4f7ffffe
	s_clause 0x1
	s_load_b128 s[4:7], s[0:1], 0x98
	s_load_b64 s[8:9], s[0:1], 0x8c
	s_sub_co_i32 s19, 0, s31
	s_mov_b32 s25, s3
	s_cvt_u32_f32 s15, s2
	s_abs_i32 s2, s30
	s_ashr_i32 s35, s30, 31
	s_ashr_i32 s33, s33, 31
	s_mul_i32 s19, s19, s15
	s_load_b64 s[40:41], s[0:1], 0xa8
	s_mul_hi_u32 s19, s15, s19
	v_lshrrev_b32_e32 v0, 4, v59
	s_add_co_i32 s24, s15, s19
	s_ashr_i32 s15, s39, 1
	s_wait_alu 0xfffe
	s_mul_u64 s[24:25], s[2:3], s[24:25]
	s_xor_b32 s19, s35, s33
	s_wait_alu 0xfffe
	s_mul_i32 s3, s25, s31
	s_add_co_i32 s33, s25, 1
	s_wait_alu 0xfffe
	s_sub_co_i32 s2, s2, s3
	v_lshl_add_u32 v0, v1, 1, v0
	s_wait_kmcnt 0x0
	s_ashr_i32 s24, s6, 2
	s_ashr_i32 s38, s8, 2
	s_wait_alu 0xfffe
	s_sub_co_i32 s3, s2, s31
	s_cmp_ge_u32 s2, s31
	v_dual_mov_b32 v26, 0 :: v_dual_and_b32 v17, 60, v56
	s_cselect_b32 s6, s33, s25
	s_wait_alu 0xfffe
	s_cselect_b32 s2, s3, s2
	s_add_co_i32 s8, s6, 1
	s_wait_alu 0xfffe
	s_cmp_ge_u32 s2, s31
	v_mul_lo_u32 v3, s38, v0
	s_cselect_b32 s6, s8, s6
	s_mul_u64 s[2:3], s[4:5], s[28:29]
	s_wait_alu 0xfffe
	s_xor_b32 s6, s6, s19
	s_add_nc_u64 s[2:3], s[10:11], s[2:3]
	s_wait_alu 0xfffe
	s_sub_co_i32 s6, s6, s19
	v_dual_mov_b32 v33, 0 :: v_dual_lshlrev_b32 v4, 2, v17
	s_wait_alu 0xfffe
	s_mul_i32 s8, s6, s9
	s_mul_u64 s[4:5], s[40:41], s[28:29]
	s_wait_alu 0xfffe
	s_ashr_i32 s9, s8, 31
	v_mad_u32_u24 v0, 0x110, v0, v4
	s_wait_alu 0xfffe
	s_add_nc_u64 s[40:41], s[2:3], s[8:9]
	s_lshl_b32 s2, s38, 4
	v_ashrrev_i32_e32 v4, 31, v3
	s_wait_alu 0xfffe
	v_dual_mov_b32 v10, v59 :: v_dual_add_nc_u32 v5, s2, v3
	v_mad_co_u64_u32 v[14:15], null, v2, s15, v[59:60]
	s_delay_alu instid0(VALU_DEP_3) | instskip(NEXT) | instid1(VALU_DEP_3)
	v_lshlrev_b64_e32 v[3:4], 2, v[3:4]
	v_add_nc_u32_e32 v7, s2, v5
	scratch_store_b32 off, v0, off offset:8 ; 4-byte Folded Spill
	v_dual_mov_b32 v29, 0 :: v_dual_lshlrev_b32 v0, 9, v1
	v_ashrrev_i32_e32 v6, 31, v5
	v_dual_mov_b32 v30, 0 :: v_dual_add_nc_u32 v11, s2, v7
	s_delay_alu instid0(VALU_DEP_3)
	v_lshl_add_u32 v16, v56, 2, v0
	s_clause 0x2
	scratch_store_b64 off, v[3:4], off offset:20
	scratch_store_b64 off, v[14:15], off
	scratch_store_b64 off, v[10:11], off offset:68
	v_dual_mov_b32 v34, 0 :: v_dual_lshlrev_b32 v3, 2, v17
	v_dual_mov_b32 v27, 0 :: v_dual_add_nc_u32 v98, 0x8400, v0
	v_dual_mov_b32 v31, 0 :: v_dual_add_nc_u32 v0, 0x3000, v16
	scratch_store_b32 off, v3, off offset:56 ; 4-byte Folded Spill
	v_lshlrev_b64_e32 v[3:4], 2, v[5:6]
	s_clause 0x1
	scratch_store_b32 off, v16, off offset:12
	scratch_store_b32 off, v0, off offset:16
	v_mov_b32_e32 v0, 0xfeffffff
	v_ashrrev_i32_e32 v8, 31, v7
	v_ashrrev_i32_e32 v12, 31, v11
	scratch_store_b64 off, v[3:4], off offset:28 ; 8-byte Folded Spill
	v_mul_lo_u32 v9, s24, v1
	s_lshl_b32 s2, s24, 3
	v_lshlrev_b64_e32 v[3:4], 2, v[7:8]
	v_mov_b32_e32 v40, 0
	v_mov_b32_e32 v32, 0
	;; [unrolled: 1-line block ×4, first 2 shown]
	s_mul_i32 s6, s6, s7
	scratch_store_b64 off, v[3:4], off offset:36 ; 8-byte Folded Spill
	v_lshlrev_b64_e32 v[3:4], 2, v[11:12]
	s_wait_alu 0xfffe
	v_add_nc_u32_e32 v1, s2, v9
	v_ashrrev_i32_e32 v10, 31, v9
	v_mul_u32_u24_e32 v96, 0x110, v59
	v_xor_b32_e32 v86, 16, v104
	v_xor_b32_e32 v91, 8, v104
	scratch_store_b64 off, v[3:4], off offset:44 ; 8-byte Folded Spill
	v_lshlrev_b32_e32 v3, 2, v56
	v_add_nc_u32_e32 v13, s2, v1
	v_ashrrev_i32_e32 v2, 31, v1
	v_lshlrev_b64_e32 v[75:76], 2, v[9:10]
	v_xor_b32_e32 v90, 4, v104
	scratch_store_b32 off, v3, off offset:52 ; 4-byte Folded Spill
	s_clause 0x1
	scratch_load_b32 v87, off, off offset:12
	scratch_load_b32 v105, off, off offset:16
	v_add_nc_u32_e32 v15, s2, v13
	v_ashrrev_i32_e32 v14, 31, v13
	v_lshlrev_b64_e32 v[77:78], 2, v[1:2]
	v_xor_b32_e32 v89, 2, v104
	v_xor_b32_e32 v88, 1, v104
	v_ashrrev_i32_e32 v16, 31, v15
	v_lshlrev_b64_e32 v[79:80], 2, v[13:14]
	v_dual_mov_b32 v37, 0 :: v_dual_mov_b32 v38, 0
	v_dual_mov_b32 v35, 0 :: v_dual_mov_b32 v2, 0xfeffffff
	s_delay_alu instid0(VALU_DEP_4)
	v_lshlrev_b64_e32 v[81:82], 2, v[15:16]
	v_dual_mov_b32 v39, 0 :: v_dual_mov_b32 v114, 0
	v_dual_mov_b32 v41, 0 :: v_dual_mov_b32 v112, 0
	v_mov_b32_e32 v1, 0xfeffffff
	v_mov_b32_e32 v3, 0xfeffffff
	;; [unrolled: 1-line block ×4, first 2 shown]
	s_add_nc_u64 s[4:5], s[12:13], s[4:5]
	s_ashr_i32 s7, s6, 31
	s_ashr_i32 s39, s38, 31
	s_wait_alu 0xfffe
	s_add_nc_u64 s[42:43], s[4:5], s[6:7]
	s_ashr_i32 s25, s24, 31
	s_add_nc_u64 s[44:45], s[0:1], 0xd0
.LBB13_9:                               ; =>This Inner Loop Header: Depth=1
	v_dual_mov_b32 v46, v2 :: v_dual_mov_b32 v47, v1
	v_dual_mov_b32 v48, v0 :: v_dual_mov_b32 v49, 0
	s_clause 0x2
	scratch_load_b64 v[0:1], off, off
	scratch_load_b64 v[6:7], off, off offset:36
	scratch_load_b32 v14, off, off offset:56
	v_cmp_gt_i32_e32 vcc_lo, 32, v86
	v_mov_b32_e32 v56, 0
	v_dual_mov_b32 v44, v113 :: v_dual_mov_b32 v45, v3
	s_ashr_i32 s19, s18, 31
	s_wait_loadcnt 0x2
	s_wait_alu 0xfffd
	v_cndmask_b32_e32 v1, v104, v86, vcc_lo
	v_cmp_gt_i32_e32 vcc_lo, 32, v91
	s_wait_alu 0xfffe
	s_mul_u64 s[4:5], s[18:19], s[38:39]
	s_mul_u64 s[6:7], s[18:19], s[24:25]
	s_wait_alu 0xfffe
	s_lshl_b64 s[4:5], s[4:5], 2
	s_lshl_b64 s[6:7], s[6:7], 2
	s_wait_alu 0xfffd
	v_cndmask_b32_e32 v2, v104, v91, vcc_lo
	v_cmp_gt_i32_e32 vcc_lo, 32, v90
	s_wait_alu 0xfffe
	s_add_nc_u64 s[4:5], s[40:41], s[4:5]
	s_or_b32 s2, s18, 32
	s_add_nc_u64 s[6:7], s[42:43], s[6:7]
	s_wait_alu 0xfffe
	s_ashr_i32 s3, s2, 31
	v_dual_mov_b32 v42, v115 :: v_dual_mov_b32 v43, v114
	s_wait_alu 0xfffe
	s_mul_u64 s[2:3], s[2:3], s[24:25]
	v_dual_mov_b32 v50, 0 :: v_dual_mov_b32 v51, 0
	s_wait_alu 0xfffe
	s_lshl_b64 s[2:3], s[2:3], 2
	v_dual_mov_b32 v52, 0 :: v_dual_mov_b32 v53, 0
	s_wait_alu 0xfffe
	s_add_nc_u64 s[2:3], s[42:43], s[2:3]
	v_dual_mov_b32 v54, 0 :: v_dual_mov_b32 v55, 0
	v_add_nc_u32_e32 v106, 0x800, v85
	v_add_nc_u32_e32 v107, 0x1000, v85
	;; [unrolled: 1-line block ×6, first 2 shown]
	s_wait_alu 0xfffd
	v_dual_cndmask_b32 v3, v104, v90 :: v_dual_add_nc_u32 v102, 0x3800, v85
	v_cmp_gt_i32_e32 vcc_lo, 32, v89
	v_dual_mov_b32 v57, v112 :: v_dual_lshlrev_b32 v62, 2, v1
	scratch_load_b64 v[8:9], off, off offset:44 ; 8-byte Folded Reload
	v_lshlrev_b32_e32 v60, 2, v3
	s_wait_alu 0xfffd
	v_cndmask_b32_e32 v4, v104, v89, vcc_lo
	v_cmp_gt_i32_e32 vcc_lo, 32, v88
	s_delay_alu instid0(VALU_DEP_2)
	v_lshlrev_b32_e32 v59, 2, v4
	s_wait_alu 0xfffd
	v_cndmask_b32_e32 v5, v104, v88, vcc_lo
	v_lshlrev_b32_e32 v61, 2, v2
	scratch_load_b64 v[2:3], off, off offset:20 ; 8-byte Folded Reload
	v_lshlrev_b32_e32 v58, 2, v5
	scratch_load_b64 v[4:5], off, off offset:28 ; 8-byte Folded Reload
	v_add_nc_u32_e32 v0, s18, v0
	s_delay_alu instid0(VALU_DEP_1) | instskip(NEXT) | instid1(VALU_DEP_1)
	v_ashrrev_i32_e32 v1, 31, v0
	v_lshlrev_b64_e32 v[0:1], 1, v[0:1]
	s_wait_loadcnt 0x1
	v_add_co_u32 v2, vcc_lo, s4, v2
	s_wait_alu 0xfffd
	v_add_co_ci_u32_e64 v3, null, s5, v3, vcc_lo
	s_wait_loadcnt 0x0
	v_add_co_u32 v4, vcc_lo, s4, v4
	s_wait_alu 0xfffd
	v_add_co_ci_u32_e64 v5, null, s5, v5, vcc_lo
	v_add_co_u32 v6, vcc_lo, s4, v6
	s_wait_alu 0xfffd
	v_add_co_ci_u32_e64 v7, null, s5, v7, vcc_lo
	;; [unrolled: 3-line block ×7, first 2 shown]
	s_wait_alu 0xfffe
	v_add_co_u32 v113, vcc_lo, s2, v75
	s_wait_alu 0xfffd
	v_add_co_ci_u32_e64 v114, null, s3, v76, vcc_lo
	v_add_co_u32 v115, vcc_lo, s2, v77
	s_wait_alu 0xfffd
	v_add_co_ci_u32_e64 v116, null, s3, v78, vcc_lo
	;; [unrolled: 3-line block ×5, first 2 shown]
	v_add_co_u32 v20, vcc_lo, v4, v14
	scratch_load_b32 v4, off, off offset:52 ; 4-byte Folded Reload
	s_wait_alu 0xfffd
	v_add_co_ci_u32_e64 v21, null, 0, v5, vcc_lo
	v_add_co_u32 v22, vcc_lo, v6, v14
	s_wait_alu 0xfffd
	v_add_co_ci_u32_e64 v23, null, 0, v7, vcc_lo
	v_add_co_u32 v24, vcc_lo, v8, v14
	;; [unrolled: 3-line block ×3, first 2 shown]
	s_wait_alu 0xfffd
	v_add_co_ci_u32_e64 v15, null, s37, v1, vcc_lo
	s_wait_loadcnt 0x0
	v_add_co_u32 v0, vcc_lo, v10, v4
	s_wait_alu 0xfffd
	v_add_co_ci_u32_e64 v1, null, 0, v11, vcc_lo
	v_add_co_u32 v2, vcc_lo, v12, v4
	s_wait_alu 0xfffd
	v_add_co_ci_u32_e64 v3, null, 0, v13, vcc_lo
	;; [unrolled: 3-line block ×8, first 2 shown]
	s_clause 0x3
	global_load_b128 v[112:115], v[18:19], off
	global_load_b128 v[116:119], v[20:21], off
	;; [unrolled: 1-line block ×4, first 2 shown]
	scratch_load_b32 v66, off, off offset:8 ; 4-byte Folded Reload
	s_wait_loadcnt 0x0
	v_add_nc_u32_e32 v63, 0x1100, v66
	v_add_nc_u32_e32 v64, 0x2200, v66
	;; [unrolled: 1-line block ×3, first 2 shown]
	ds_store_b128 v66, v[112:115]
	ds_store_b128 v63, v[116:119]
	;; [unrolled: 1-line block ×4, first 2 shown]
	s_wait_storecnt_dscnt 0x0
	s_barrier_signal -1
	s_barrier_wait -1
	global_inv scope:SCOPE_SE
	ds_load_b128 v[112:115], v96
	ds_load_b128 v[116:119], v84
	ds_load_b128 v[120:123], v84 offset:512
	ds_load_b128 v[124:127], v84 offset:1024
	;; [unrolled: 1-line block ×4, first 2 shown]
	s_wait_dscnt 0x4
	;;#ASMSTART
	v_dot2_f32_f16 v49, v112, v116, v49
	;;#ASMEND
	;;#ASMSTART
	v_dot2_f32_f16 v49, v113, v117, v49
	;;#ASMEND
	;;#ASMSTART
	v_dot2_f32_f16 v49, v114, v118, v49
	;;#ASMEND
	;;#ASMSTART
	v_dot2_f32_f16 v49, v115, v119, v49
	;;#ASMEND
	s_wait_dscnt 0x3
	;;#ASMSTART
	v_dot2_f32_f16 v50, v112, v120, v50
	;;#ASMEND
	;;#ASMSTART
	v_dot2_f32_f16 v50, v113, v121, v50
	;;#ASMEND
	;;#ASMSTART
	v_dot2_f32_f16 v50, v114, v122, v50
	;;#ASMEND
	;;#ASMSTART
	v_dot2_f32_f16 v50, v115, v123, v50
	;;#ASMEND
	;; [unrolled: 13-line block ×5, first 2 shown]
	;;#ASMSTART
	v_dot2_f32_f16 v54, v132, v120, v54
	;;#ASMEND
	;;#ASMSTART
	v_dot2_f32_f16 v54, v133, v121, v54
	;;#ASMEND
	;; [unrolled: 3-line block ×12, first 2 shown]
	ds_load_b128 v[112:115], v96 offset:16
	ds_load_b128 v[116:119], v84 offset:16
	;; [unrolled: 1-line block ×6, first 2 shown]
	s_wait_dscnt 0x4
	;;#ASMSTART
	v_dot2_f32_f16 v49, v112, v116, v49
	;;#ASMEND
	;;#ASMSTART
	v_dot2_f32_f16 v49, v113, v117, v49
	;;#ASMEND
	;;#ASMSTART
	v_dot2_f32_f16 v49, v114, v118, v49
	;;#ASMEND
	;;#ASMSTART
	v_dot2_f32_f16 v49, v115, v119, v49
	;;#ASMEND
	s_wait_dscnt 0x3
	;;#ASMSTART
	v_dot2_f32_f16 v50, v112, v120, v50
	;;#ASMEND
	;;#ASMSTART
	v_dot2_f32_f16 v50, v113, v121, v50
	;;#ASMEND
	;;#ASMSTART
	v_dot2_f32_f16 v50, v114, v122, v50
	;;#ASMEND
	;;#ASMSTART
	v_dot2_f32_f16 v50, v115, v123, v50
	;;#ASMEND
	;; [unrolled: 13-line block ×5, first 2 shown]
	;;#ASMSTART
	v_dot2_f32_f16 v54, v132, v120, v54
	;;#ASMEND
	;;#ASMSTART
	v_dot2_f32_f16 v54, v133, v121, v54
	;;#ASMEND
	;; [unrolled: 3-line block ×12, first 2 shown]
	ds_load_b128 v[112:115], v96 offset:32
	ds_load_b128 v[116:119], v84 offset:32
	;; [unrolled: 1-line block ×6, first 2 shown]
	s_wait_dscnt 0x4
	;;#ASMSTART
	v_dot2_f32_f16 v49, v112, v116, v49
	;;#ASMEND
	;;#ASMSTART
	v_dot2_f32_f16 v49, v113, v117, v49
	;;#ASMEND
	;;#ASMSTART
	v_dot2_f32_f16 v49, v114, v118, v49
	;;#ASMEND
	;;#ASMSTART
	v_dot2_f32_f16 v49, v115, v119, v49
	;;#ASMEND
	s_wait_dscnt 0x3
	;;#ASMSTART
	v_dot2_f32_f16 v50, v112, v120, v50
	;;#ASMEND
	;;#ASMSTART
	v_dot2_f32_f16 v50, v113, v121, v50
	;;#ASMEND
	;;#ASMSTART
	v_dot2_f32_f16 v50, v114, v122, v50
	;;#ASMEND
	;;#ASMSTART
	v_dot2_f32_f16 v50, v115, v123, v50
	;;#ASMEND
	;; [unrolled: 13-line block ×5, first 2 shown]
	;;#ASMSTART
	v_dot2_f32_f16 v54, v132, v120, v54
	;;#ASMEND
	;;#ASMSTART
	v_dot2_f32_f16 v54, v133, v121, v54
	;;#ASMEND
	;; [unrolled: 3-line block ×12, first 2 shown]
	ds_load_b128 v[112:115], v96 offset:48
	ds_load_b128 v[116:119], v84 offset:48
	;; [unrolled: 1-line block ×6, first 2 shown]
	s_wait_dscnt 0x4
	;;#ASMSTART
	v_dot2_f32_f16 v49, v112, v116, v49
	;;#ASMEND
	;;#ASMSTART
	v_dot2_f32_f16 v49, v113, v117, v49
	;;#ASMEND
	;;#ASMSTART
	v_dot2_f32_f16 v49, v114, v118, v49
	;;#ASMEND
	;;#ASMSTART
	v_dot2_f32_f16 v49, v115, v119, v49
	;;#ASMEND
	s_wait_dscnt 0x3
	;;#ASMSTART
	v_dot2_f32_f16 v50, v112, v120, v50
	;;#ASMEND
	;;#ASMSTART
	v_dot2_f32_f16 v50, v113, v121, v50
	;;#ASMEND
	;;#ASMSTART
	v_dot2_f32_f16 v50, v114, v122, v50
	;;#ASMEND
	;;#ASMSTART
	v_dot2_f32_f16 v50, v115, v123, v50
	;;#ASMEND
	;; [unrolled: 13-line block ×5, first 2 shown]
	;;#ASMSTART
	v_dot2_f32_f16 v54, v132, v120, v54
	;;#ASMEND
	;;#ASMSTART
	v_dot2_f32_f16 v54, v133, v121, v54
	;;#ASMEND
	;; [unrolled: 3-line block ×12, first 2 shown]
	ds_load_b128 v[112:115], v96 offset:64
	ds_load_b128 v[116:119], v84 offset:64
	;; [unrolled: 1-line block ×6, first 2 shown]
	s_wait_dscnt 0x4
	;;#ASMSTART
	v_dot2_f32_f16 v49, v112, v116, v49
	;;#ASMEND
	;;#ASMSTART
	v_dot2_f32_f16 v49, v113, v117, v49
	;;#ASMEND
	;;#ASMSTART
	v_dot2_f32_f16 v49, v114, v118, v49
	;;#ASMEND
	;;#ASMSTART
	v_dot2_f32_f16 v49, v115, v119, v49
	;;#ASMEND
	s_wait_dscnt 0x3
	;;#ASMSTART
	v_dot2_f32_f16 v50, v112, v120, v50
	;;#ASMEND
	;;#ASMSTART
	v_dot2_f32_f16 v50, v113, v121, v50
	;;#ASMEND
	;;#ASMSTART
	v_dot2_f32_f16 v50, v114, v122, v50
	;;#ASMEND
	;;#ASMSTART
	v_dot2_f32_f16 v50, v115, v123, v50
	;;#ASMEND
	;; [unrolled: 13-line block ×5, first 2 shown]
	;;#ASMSTART
	v_dot2_f32_f16 v54, v132, v120, v54
	;;#ASMEND
	;;#ASMSTART
	v_dot2_f32_f16 v54, v133, v121, v54
	;;#ASMEND
	;; [unrolled: 3-line block ×12, first 2 shown]
	ds_load_b128 v[112:115], v96 offset:80
	ds_load_b128 v[116:119], v84 offset:80
	;; [unrolled: 1-line block ×6, first 2 shown]
	s_wait_dscnt 0x4
	;;#ASMSTART
	v_dot2_f32_f16 v49, v112, v116, v49
	;;#ASMEND
	;;#ASMSTART
	v_dot2_f32_f16 v49, v113, v117, v49
	;;#ASMEND
	;;#ASMSTART
	v_dot2_f32_f16 v49, v114, v118, v49
	;;#ASMEND
	;;#ASMSTART
	v_dot2_f32_f16 v49, v115, v119, v49
	;;#ASMEND
	s_wait_dscnt 0x3
	;;#ASMSTART
	v_dot2_f32_f16 v50, v112, v120, v50
	;;#ASMEND
	;;#ASMSTART
	v_dot2_f32_f16 v50, v113, v121, v50
	;;#ASMEND
	;;#ASMSTART
	v_dot2_f32_f16 v50, v114, v122, v50
	;;#ASMEND
	;;#ASMSTART
	v_dot2_f32_f16 v50, v115, v123, v50
	;;#ASMEND
	;; [unrolled: 13-line block ×5, first 2 shown]
	;;#ASMSTART
	v_dot2_f32_f16 v54, v132, v120, v54
	;;#ASMEND
	;;#ASMSTART
	v_dot2_f32_f16 v54, v133, v121, v54
	;;#ASMEND
	;; [unrolled: 3-line block ×12, first 2 shown]
	ds_load_b128 v[112:115], v96 offset:96
	ds_load_b128 v[116:119], v84 offset:96
	;; [unrolled: 1-line block ×6, first 2 shown]
	s_wait_dscnt 0x4
	;;#ASMSTART
	v_dot2_f32_f16 v49, v112, v116, v49
	;;#ASMEND
	;;#ASMSTART
	v_dot2_f32_f16 v49, v113, v117, v49
	;;#ASMEND
	;;#ASMSTART
	v_dot2_f32_f16 v49, v114, v118, v49
	;;#ASMEND
	;;#ASMSTART
	v_dot2_f32_f16 v49, v115, v119, v49
	;;#ASMEND
	s_wait_dscnt 0x3
	;;#ASMSTART
	v_dot2_f32_f16 v50, v112, v120, v50
	;;#ASMEND
	;;#ASMSTART
	v_dot2_f32_f16 v50, v113, v121, v50
	;;#ASMEND
	;;#ASMSTART
	v_dot2_f32_f16 v50, v114, v122, v50
	;;#ASMEND
	;;#ASMSTART
	v_dot2_f32_f16 v50, v115, v123, v50
	;;#ASMEND
	;; [unrolled: 13-line block ×5, first 2 shown]
	;;#ASMSTART
	v_dot2_f32_f16 v54, v132, v120, v54
	;;#ASMEND
	;;#ASMSTART
	v_dot2_f32_f16 v54, v133, v121, v54
	;;#ASMEND
	;; [unrolled: 3-line block ×12, first 2 shown]
	ds_load_b128 v[112:115], v96 offset:112
	ds_load_b128 v[116:119], v84 offset:112
	;; [unrolled: 1-line block ×6, first 2 shown]
	s_wait_dscnt 0x4
	;;#ASMSTART
	v_dot2_f32_f16 v49, v112, v116, v49
	;;#ASMEND
	;;#ASMSTART
	v_dot2_f32_f16 v49, v113, v117, v49
	;;#ASMEND
	;;#ASMSTART
	v_dot2_f32_f16 v49, v114, v118, v49
	;;#ASMEND
	;;#ASMSTART
	v_dot2_f32_f16 v49, v115, v119, v49
	;;#ASMEND
	s_wait_dscnt 0x3
	;;#ASMSTART
	v_dot2_f32_f16 v50, v112, v120, v50
	;;#ASMEND
	;;#ASMSTART
	v_dot2_f32_f16 v50, v113, v121, v50
	;;#ASMEND
	;;#ASMSTART
	v_dot2_f32_f16 v50, v114, v122, v50
	;;#ASMEND
	;;#ASMSTART
	v_dot2_f32_f16 v50, v115, v123, v50
	;;#ASMEND
	;; [unrolled: 13-line block ×5, first 2 shown]
	;;#ASMSTART
	v_dot2_f32_f16 v54, v132, v120, v54
	;;#ASMEND
	;;#ASMSTART
	v_dot2_f32_f16 v54, v133, v121, v54
	;;#ASMEND
	;; [unrolled: 3-line block ×12, first 2 shown]
	ds_load_b128 v[112:115], v96 offset:128
	ds_load_b128 v[116:119], v84 offset:128
	;; [unrolled: 1-line block ×6, first 2 shown]
	s_wait_dscnt 0x4
	;;#ASMSTART
	v_dot2_f32_f16 v49, v112, v116, v49
	;;#ASMEND
	;;#ASMSTART
	v_dot2_f32_f16 v49, v113, v117, v49
	;;#ASMEND
	;;#ASMSTART
	v_dot2_f32_f16 v49, v114, v118, v49
	;;#ASMEND
	;;#ASMSTART
	v_dot2_f32_f16 v49, v115, v119, v49
	;;#ASMEND
	s_wait_dscnt 0x3
	;;#ASMSTART
	v_dot2_f32_f16 v50, v112, v120, v50
	;;#ASMEND
	;;#ASMSTART
	v_dot2_f32_f16 v50, v113, v121, v50
	;;#ASMEND
	;;#ASMSTART
	v_dot2_f32_f16 v50, v114, v122, v50
	;;#ASMEND
	;;#ASMSTART
	v_dot2_f32_f16 v50, v115, v123, v50
	;;#ASMEND
	;; [unrolled: 13-line block ×5, first 2 shown]
	;;#ASMSTART
	v_dot2_f32_f16 v54, v132, v120, v54
	;;#ASMEND
	;;#ASMSTART
	v_dot2_f32_f16 v54, v133, v121, v54
	;;#ASMEND
	;; [unrolled: 3-line block ×12, first 2 shown]
	ds_load_b128 v[112:115], v96 offset:144
	ds_load_b128 v[116:119], v84 offset:144
	;; [unrolled: 1-line block ×6, first 2 shown]
	s_wait_dscnt 0x4
	;;#ASMSTART
	v_dot2_f32_f16 v49, v112, v116, v49
	;;#ASMEND
	;;#ASMSTART
	v_dot2_f32_f16 v49, v113, v117, v49
	;;#ASMEND
	;;#ASMSTART
	v_dot2_f32_f16 v49, v114, v118, v49
	;;#ASMEND
	;;#ASMSTART
	v_dot2_f32_f16 v49, v115, v119, v49
	;;#ASMEND
	s_wait_dscnt 0x3
	;;#ASMSTART
	v_dot2_f32_f16 v50, v112, v120, v50
	;;#ASMEND
	;;#ASMSTART
	v_dot2_f32_f16 v50, v113, v121, v50
	;;#ASMEND
	;;#ASMSTART
	v_dot2_f32_f16 v50, v114, v122, v50
	;;#ASMEND
	;;#ASMSTART
	v_dot2_f32_f16 v50, v115, v123, v50
	;;#ASMEND
	;; [unrolled: 13-line block ×5, first 2 shown]
	;;#ASMSTART
	v_dot2_f32_f16 v54, v132, v120, v54
	;;#ASMEND
	;;#ASMSTART
	v_dot2_f32_f16 v54, v133, v121, v54
	;;#ASMEND
	;; [unrolled: 3-line block ×12, first 2 shown]
	ds_load_b128 v[112:115], v96 offset:160
	ds_load_b128 v[116:119], v84 offset:160
	;; [unrolled: 1-line block ×6, first 2 shown]
	s_wait_dscnt 0x4
	;;#ASMSTART
	v_dot2_f32_f16 v49, v112, v116, v49
	;;#ASMEND
	;;#ASMSTART
	v_dot2_f32_f16 v49, v113, v117, v49
	;;#ASMEND
	;;#ASMSTART
	v_dot2_f32_f16 v49, v114, v118, v49
	;;#ASMEND
	;;#ASMSTART
	v_dot2_f32_f16 v49, v115, v119, v49
	;;#ASMEND
	s_wait_dscnt 0x3
	;;#ASMSTART
	v_dot2_f32_f16 v50, v112, v120, v50
	;;#ASMEND
	;;#ASMSTART
	v_dot2_f32_f16 v50, v113, v121, v50
	;;#ASMEND
	;;#ASMSTART
	v_dot2_f32_f16 v50, v114, v122, v50
	;;#ASMEND
	;;#ASMSTART
	v_dot2_f32_f16 v50, v115, v123, v50
	;;#ASMEND
	;; [unrolled: 13-line block ×5, first 2 shown]
	;;#ASMSTART
	v_dot2_f32_f16 v54, v132, v120, v54
	;;#ASMEND
	;;#ASMSTART
	v_dot2_f32_f16 v54, v133, v121, v54
	;;#ASMEND
	;; [unrolled: 3-line block ×12, first 2 shown]
	ds_load_b128 v[112:115], v96 offset:176
	ds_load_b128 v[116:119], v84 offset:176
	;; [unrolled: 1-line block ×6, first 2 shown]
	s_wait_dscnt 0x4
	;;#ASMSTART
	v_dot2_f32_f16 v49, v112, v116, v49
	;;#ASMEND
	;;#ASMSTART
	v_dot2_f32_f16 v49, v113, v117, v49
	;;#ASMEND
	;;#ASMSTART
	v_dot2_f32_f16 v49, v114, v118, v49
	;;#ASMEND
	;;#ASMSTART
	v_dot2_f32_f16 v49, v115, v119, v49
	;;#ASMEND
	s_wait_dscnt 0x3
	;;#ASMSTART
	v_dot2_f32_f16 v50, v112, v120, v50
	;;#ASMEND
	;;#ASMSTART
	v_dot2_f32_f16 v50, v113, v121, v50
	;;#ASMEND
	;;#ASMSTART
	v_dot2_f32_f16 v50, v114, v122, v50
	;;#ASMEND
	;;#ASMSTART
	v_dot2_f32_f16 v50, v115, v123, v50
	;;#ASMEND
	;; [unrolled: 13-line block ×5, first 2 shown]
	;;#ASMSTART
	v_dot2_f32_f16 v54, v132, v120, v54
	;;#ASMEND
	;;#ASMSTART
	v_dot2_f32_f16 v54, v133, v121, v54
	;;#ASMEND
	;; [unrolled: 3-line block ×12, first 2 shown]
	ds_load_b128 v[112:115], v96 offset:192
	ds_load_b128 v[116:119], v84 offset:192
	;; [unrolled: 1-line block ×6, first 2 shown]
	s_wait_dscnt 0x4
	;;#ASMSTART
	v_dot2_f32_f16 v49, v112, v116, v49
	;;#ASMEND
	;;#ASMSTART
	v_dot2_f32_f16 v49, v113, v117, v49
	;;#ASMEND
	;;#ASMSTART
	v_dot2_f32_f16 v49, v114, v118, v49
	;;#ASMEND
	;;#ASMSTART
	v_dot2_f32_f16 v49, v115, v119, v49
	;;#ASMEND
	s_wait_dscnt 0x3
	;;#ASMSTART
	v_dot2_f32_f16 v50, v112, v120, v50
	;;#ASMEND
	;;#ASMSTART
	v_dot2_f32_f16 v50, v113, v121, v50
	;;#ASMEND
	;;#ASMSTART
	v_dot2_f32_f16 v50, v114, v122, v50
	;;#ASMEND
	;;#ASMSTART
	v_dot2_f32_f16 v50, v115, v123, v50
	;;#ASMEND
	;; [unrolled: 13-line block ×5, first 2 shown]
	;;#ASMSTART
	v_dot2_f32_f16 v54, v132, v120, v54
	;;#ASMEND
	;;#ASMSTART
	v_dot2_f32_f16 v54, v133, v121, v54
	;;#ASMEND
	;; [unrolled: 3-line block ×12, first 2 shown]
	ds_load_b128 v[112:115], v96 offset:208
	ds_load_b128 v[116:119], v84 offset:208
	;; [unrolled: 1-line block ×6, first 2 shown]
	s_wait_dscnt 0x4
	;;#ASMSTART
	v_dot2_f32_f16 v49, v112, v116, v49
	;;#ASMEND
	;;#ASMSTART
	v_dot2_f32_f16 v49, v113, v117, v49
	;;#ASMEND
	;;#ASMSTART
	v_dot2_f32_f16 v49, v114, v118, v49
	;;#ASMEND
	;;#ASMSTART
	v_dot2_f32_f16 v49, v115, v119, v49
	;;#ASMEND
	s_wait_dscnt 0x3
	;;#ASMSTART
	v_dot2_f32_f16 v50, v112, v120, v50
	;;#ASMEND
	;;#ASMSTART
	v_dot2_f32_f16 v50, v113, v121, v50
	;;#ASMEND
	;;#ASMSTART
	v_dot2_f32_f16 v50, v114, v122, v50
	;;#ASMEND
	;;#ASMSTART
	v_dot2_f32_f16 v50, v115, v123, v50
	;;#ASMEND
	;; [unrolled: 13-line block ×5, first 2 shown]
	;;#ASMSTART
	v_dot2_f32_f16 v54, v132, v120, v54
	;;#ASMEND
	;;#ASMSTART
	v_dot2_f32_f16 v54, v133, v121, v54
	;;#ASMEND
	;; [unrolled: 3-line block ×12, first 2 shown]
	ds_load_b128 v[112:115], v96 offset:224
	ds_load_b128 v[116:119], v84 offset:224
	;; [unrolled: 1-line block ×6, first 2 shown]
	s_wait_dscnt 0x4
	;;#ASMSTART
	v_dot2_f32_f16 v49, v112, v116, v49
	;;#ASMEND
	;;#ASMSTART
	v_dot2_f32_f16 v49, v113, v117, v49
	;;#ASMEND
	;;#ASMSTART
	v_dot2_f32_f16 v49, v114, v118, v49
	;;#ASMEND
	;;#ASMSTART
	v_dot2_f32_f16 v49, v115, v119, v49
	;;#ASMEND
	s_wait_dscnt 0x3
	;;#ASMSTART
	v_dot2_f32_f16 v50, v112, v120, v50
	;;#ASMEND
	;;#ASMSTART
	v_dot2_f32_f16 v50, v113, v121, v50
	;;#ASMEND
	;;#ASMSTART
	v_dot2_f32_f16 v50, v114, v122, v50
	;;#ASMEND
	;;#ASMSTART
	v_dot2_f32_f16 v50, v115, v123, v50
	;;#ASMEND
	;; [unrolled: 13-line block ×5, first 2 shown]
	;;#ASMSTART
	v_dot2_f32_f16 v54, v132, v120, v54
	;;#ASMEND
	;;#ASMSTART
	v_dot2_f32_f16 v54, v133, v121, v54
	;;#ASMEND
	;; [unrolled: 3-line block ×12, first 2 shown]
	ds_load_b128 v[112:115], v96 offset:240
	ds_load_b128 v[116:119], v84 offset:240
	;; [unrolled: 1-line block ×6, first 2 shown]
	s_wait_dscnt 0x4
	;;#ASMSTART
	v_dot2_f32_f16 v49, v112, v116, v49
	;;#ASMEND
	;;#ASMSTART
	v_dot2_f32_f16 v49, v113, v117, v49
	;;#ASMEND
	;;#ASMSTART
	v_dot2_f32_f16 v49, v114, v118, v49
	;;#ASMEND
	;;#ASMSTART
	v_dot2_f32_f16 v49, v115, v119, v49
	;;#ASMEND
	s_wait_dscnt 0x3
	;;#ASMSTART
	v_dot2_f32_f16 v50, v112, v120, v50
	;;#ASMEND
	;;#ASMSTART
	v_dot2_f32_f16 v50, v113, v121, v50
	;;#ASMEND
	;;#ASMSTART
	v_dot2_f32_f16 v50, v114, v122, v50
	;;#ASMEND
	;;#ASMSTART
	v_dot2_f32_f16 v50, v115, v123, v50
	;;#ASMEND
	;; [unrolled: 13-line block ×5, first 2 shown]
	;;#ASMSTART
	v_dot2_f32_f16 v54, v132, v120, v54
	;;#ASMEND
	;;#ASMSTART
	v_dot2_f32_f16 v54, v133, v121, v54
	;;#ASMEND
	;; [unrolled: 3-line block ×12, first 2 shown]
	s_wait_loadcnt 0x0
	s_barrier_signal -1
	s_barrier_wait -1
	global_inv scope:SCOPE_SE
	s_clause 0x3
	global_load_b128 v[112:115], v[18:19], off offset:256
	global_load_b128 v[18:21], v[20:21], off offset:256
	;; [unrolled: 1-line block ×4, first 2 shown]
	s_wait_loadcnt 0x3
	ds_store_b128 v66, v[112:115]
	s_wait_loadcnt 0x2
	ds_store_b128 v63, v[18:21]
	;; [unrolled: 2-line block ×4, first 2 shown]
	s_wait_dscnt 0x0
	s_barrier_signal -1
	s_barrier_wait -1
	global_inv scope:SCOPE_SE
	ds_load_b128 v[18:21], v96
	ds_load_b128 v[22:25], v84 offset:256
	ds_load_b128 v[112:115], v84 offset:768
	;; [unrolled: 1-line block ×5, first 2 shown]
	s_wait_dscnt 0x4
	;;#ASMSTART
	v_dot2_f32_f16 v49, v18, v22, v49
	;;#ASMEND
	;;#ASMSTART
	v_dot2_f32_f16 v49, v19, v23, v49
	;;#ASMEND
	;;#ASMSTART
	v_dot2_f32_f16 v49, v20, v24, v49
	;;#ASMEND
	;;#ASMSTART
	v_dot2_f32_f16 v49, v21, v25, v49
	;;#ASMEND
	s_wait_dscnt 0x3
	;;#ASMSTART
	v_dot2_f32_f16 v50, v18, v112, v50
	;;#ASMEND
	;;#ASMSTART
	v_dot2_f32_f16 v50, v19, v113, v50
	;;#ASMEND
	;;#ASMSTART
	v_dot2_f32_f16 v50, v20, v114, v50
	;;#ASMEND
	;;#ASMSTART
	v_dot2_f32_f16 v50, v21, v115, v50
	;;#ASMEND
	;; [unrolled: 13-line block ×5, first 2 shown]
	;;#ASMSTART
	v_dot2_f32_f16 v54, v124, v112, v54
	;;#ASMEND
	;;#ASMSTART
	v_dot2_f32_f16 v54, v125, v113, v54
	;;#ASMEND
	;; [unrolled: 3-line block ×12, first 2 shown]
	ds_load_b128 v[18:21], v96 offset:16
	ds_load_b128 v[22:25], v84 offset:272
	;; [unrolled: 1-line block ×6, first 2 shown]
	s_wait_dscnt 0x4
	;;#ASMSTART
	v_dot2_f32_f16 v49, v18, v22, v49
	;;#ASMEND
	;;#ASMSTART
	v_dot2_f32_f16 v49, v19, v23, v49
	;;#ASMEND
	;;#ASMSTART
	v_dot2_f32_f16 v49, v20, v24, v49
	;;#ASMEND
	;;#ASMSTART
	v_dot2_f32_f16 v49, v21, v25, v49
	;;#ASMEND
	s_wait_dscnt 0x3
	;;#ASMSTART
	v_dot2_f32_f16 v50, v18, v112, v50
	;;#ASMEND
	;;#ASMSTART
	v_dot2_f32_f16 v50, v19, v113, v50
	;;#ASMEND
	;;#ASMSTART
	v_dot2_f32_f16 v50, v20, v114, v50
	;;#ASMEND
	;;#ASMSTART
	v_dot2_f32_f16 v50, v21, v115, v50
	;;#ASMEND
	;; [unrolled: 13-line block ×5, first 2 shown]
	;;#ASMSTART
	v_dot2_f32_f16 v54, v124, v112, v54
	;;#ASMEND
	;;#ASMSTART
	v_dot2_f32_f16 v54, v125, v113, v54
	;;#ASMEND
	;; [unrolled: 3-line block ×12, first 2 shown]
	ds_load_b128 v[18:21], v96 offset:32
	ds_load_b128 v[22:25], v84 offset:288
	;; [unrolled: 1-line block ×6, first 2 shown]
	s_wait_dscnt 0x4
	;;#ASMSTART
	v_dot2_f32_f16 v49, v18, v22, v49
	;;#ASMEND
	;;#ASMSTART
	v_dot2_f32_f16 v49, v19, v23, v49
	;;#ASMEND
	;;#ASMSTART
	v_dot2_f32_f16 v49, v20, v24, v49
	;;#ASMEND
	;;#ASMSTART
	v_dot2_f32_f16 v49, v21, v25, v49
	;;#ASMEND
	s_wait_dscnt 0x3
	;;#ASMSTART
	v_dot2_f32_f16 v50, v18, v112, v50
	;;#ASMEND
	;;#ASMSTART
	v_dot2_f32_f16 v50, v19, v113, v50
	;;#ASMEND
	;;#ASMSTART
	v_dot2_f32_f16 v50, v20, v114, v50
	;;#ASMEND
	;;#ASMSTART
	v_dot2_f32_f16 v50, v21, v115, v50
	;;#ASMEND
	;; [unrolled: 13-line block ×5, first 2 shown]
	;;#ASMSTART
	v_dot2_f32_f16 v54, v124, v112, v54
	;;#ASMEND
	;;#ASMSTART
	v_dot2_f32_f16 v54, v125, v113, v54
	;;#ASMEND
	;;#ASMSTART
	v_dot2_f32_f16 v54, v126, v114, v54
	;;#ASMEND
	;;#ASMSTART
	v_dot2_f32_f16 v54, v127, v115, v54
	;;#ASMEND
	;;#ASMSTART
	v_dot2_f32_f16 v55, v124, v116, v55
	;;#ASMEND
	;;#ASMSTART
	v_dot2_f32_f16 v55, v125, v117, v55
	;;#ASMEND
	;;#ASMSTART
	v_dot2_f32_f16 v55, v126, v118, v55
	;;#ASMEND
	;;#ASMSTART
	v_dot2_f32_f16 v55, v127, v119, v55
	;;#ASMEND
	;;#ASMSTART
	v_dot2_f32_f16 v56, v124, v120, v56
	;;#ASMEND
	;;#ASMSTART
	v_dot2_f32_f16 v56, v125, v121, v56
	;;#ASMEND
	;;#ASMSTART
	v_dot2_f32_f16 v56, v126, v122, v56
	;;#ASMEND
	;;#ASMSTART
	v_dot2_f32_f16 v56, v127, v123, v56
	;;#ASMEND
	ds_load_b128 v[18:21], v96 offset:48
	ds_load_b128 v[22:25], v84 offset:304
	;; [unrolled: 1-line block ×6, first 2 shown]
	s_wait_dscnt 0x4
	;;#ASMSTART
	v_dot2_f32_f16 v49, v18, v22, v49
	;;#ASMEND
	;;#ASMSTART
	v_dot2_f32_f16 v49, v19, v23, v49
	;;#ASMEND
	;;#ASMSTART
	v_dot2_f32_f16 v49, v20, v24, v49
	;;#ASMEND
	;;#ASMSTART
	v_dot2_f32_f16 v49, v21, v25, v49
	;;#ASMEND
	s_wait_dscnt 0x3
	;;#ASMSTART
	v_dot2_f32_f16 v50, v18, v112, v50
	;;#ASMEND
	;;#ASMSTART
	v_dot2_f32_f16 v50, v19, v113, v50
	;;#ASMEND
	;;#ASMSTART
	v_dot2_f32_f16 v50, v20, v114, v50
	;;#ASMEND
	;;#ASMSTART
	v_dot2_f32_f16 v50, v21, v115, v50
	;;#ASMEND
	;; [unrolled: 13-line block ×5, first 2 shown]
	;;#ASMSTART
	v_dot2_f32_f16 v54, v124, v112, v54
	;;#ASMEND
	;;#ASMSTART
	v_dot2_f32_f16 v54, v125, v113, v54
	;;#ASMEND
	;; [unrolled: 3-line block ×12, first 2 shown]
	ds_load_b128 v[18:21], v96 offset:64
	ds_load_b128 v[22:25], v84 offset:320
	;; [unrolled: 1-line block ×6, first 2 shown]
	s_wait_dscnt 0x4
	;;#ASMSTART
	v_dot2_f32_f16 v49, v18, v22, v49
	;;#ASMEND
	;;#ASMSTART
	v_dot2_f32_f16 v49, v19, v23, v49
	;;#ASMEND
	;;#ASMSTART
	v_dot2_f32_f16 v49, v20, v24, v49
	;;#ASMEND
	;;#ASMSTART
	v_dot2_f32_f16 v49, v21, v25, v49
	;;#ASMEND
	s_wait_dscnt 0x3
	;;#ASMSTART
	v_dot2_f32_f16 v50, v18, v112, v50
	;;#ASMEND
	;;#ASMSTART
	v_dot2_f32_f16 v50, v19, v113, v50
	;;#ASMEND
	;;#ASMSTART
	v_dot2_f32_f16 v50, v20, v114, v50
	;;#ASMEND
	;;#ASMSTART
	v_dot2_f32_f16 v50, v21, v115, v50
	;;#ASMEND
	;; [unrolled: 13-line block ×5, first 2 shown]
	;;#ASMSTART
	v_dot2_f32_f16 v54, v124, v112, v54
	;;#ASMEND
	;;#ASMSTART
	v_dot2_f32_f16 v54, v125, v113, v54
	;;#ASMEND
	;; [unrolled: 3-line block ×12, first 2 shown]
	ds_load_b128 v[18:21], v96 offset:80
	ds_load_b128 v[22:25], v84 offset:336
	;; [unrolled: 1-line block ×6, first 2 shown]
	s_wait_dscnt 0x4
	;;#ASMSTART
	v_dot2_f32_f16 v49, v18, v22, v49
	;;#ASMEND
	;;#ASMSTART
	v_dot2_f32_f16 v49, v19, v23, v49
	;;#ASMEND
	;;#ASMSTART
	v_dot2_f32_f16 v49, v20, v24, v49
	;;#ASMEND
	;;#ASMSTART
	v_dot2_f32_f16 v49, v21, v25, v49
	;;#ASMEND
	s_wait_dscnt 0x3
	;;#ASMSTART
	v_dot2_f32_f16 v50, v18, v112, v50
	;;#ASMEND
	;;#ASMSTART
	v_dot2_f32_f16 v50, v19, v113, v50
	;;#ASMEND
	;;#ASMSTART
	v_dot2_f32_f16 v50, v20, v114, v50
	;;#ASMEND
	;;#ASMSTART
	v_dot2_f32_f16 v50, v21, v115, v50
	;;#ASMEND
	;; [unrolled: 13-line block ×5, first 2 shown]
	;;#ASMSTART
	v_dot2_f32_f16 v54, v124, v112, v54
	;;#ASMEND
	;;#ASMSTART
	v_dot2_f32_f16 v54, v125, v113, v54
	;;#ASMEND
	;;#ASMSTART
	v_dot2_f32_f16 v54, v126, v114, v54
	;;#ASMEND
	;;#ASMSTART
	v_dot2_f32_f16 v54, v127, v115, v54
	;;#ASMEND
	;;#ASMSTART
	v_dot2_f32_f16 v55, v124, v116, v55
	;;#ASMEND
	;;#ASMSTART
	v_dot2_f32_f16 v55, v125, v117, v55
	;;#ASMEND
	;;#ASMSTART
	v_dot2_f32_f16 v55, v126, v118, v55
	;;#ASMEND
	;;#ASMSTART
	v_dot2_f32_f16 v55, v127, v119, v55
	;;#ASMEND
	;;#ASMSTART
	v_dot2_f32_f16 v56, v124, v120, v56
	;;#ASMEND
	;;#ASMSTART
	v_dot2_f32_f16 v56, v125, v121, v56
	;;#ASMEND
	;;#ASMSTART
	v_dot2_f32_f16 v56, v126, v122, v56
	;;#ASMEND
	;;#ASMSTART
	v_dot2_f32_f16 v56, v127, v123, v56
	;;#ASMEND
	ds_load_b128 v[18:21], v96 offset:96
	ds_load_b128 v[22:25], v84 offset:352
	;; [unrolled: 1-line block ×6, first 2 shown]
	s_wait_dscnt 0x4
	;;#ASMSTART
	v_dot2_f32_f16 v49, v18, v22, v49
	;;#ASMEND
	;;#ASMSTART
	v_dot2_f32_f16 v49, v19, v23, v49
	;;#ASMEND
	;;#ASMSTART
	v_dot2_f32_f16 v49, v20, v24, v49
	;;#ASMEND
	;;#ASMSTART
	v_dot2_f32_f16 v49, v21, v25, v49
	;;#ASMEND
	s_wait_dscnt 0x3
	;;#ASMSTART
	v_dot2_f32_f16 v50, v18, v112, v50
	;;#ASMEND
	;;#ASMSTART
	v_dot2_f32_f16 v50, v19, v113, v50
	;;#ASMEND
	;;#ASMSTART
	v_dot2_f32_f16 v50, v20, v114, v50
	;;#ASMEND
	;;#ASMSTART
	v_dot2_f32_f16 v50, v21, v115, v50
	;;#ASMEND
	;; [unrolled: 13-line block ×5, first 2 shown]
	;;#ASMSTART
	v_dot2_f32_f16 v54, v124, v112, v54
	;;#ASMEND
	;;#ASMSTART
	v_dot2_f32_f16 v54, v125, v113, v54
	;;#ASMEND
	;; [unrolled: 3-line block ×12, first 2 shown]
	ds_load_b128 v[18:21], v96 offset:112
	ds_load_b128 v[22:25], v84 offset:368
	;; [unrolled: 1-line block ×6, first 2 shown]
	s_wait_dscnt 0x4
	;;#ASMSTART
	v_dot2_f32_f16 v49, v18, v22, v49
	;;#ASMEND
	;;#ASMSTART
	v_dot2_f32_f16 v49, v19, v23, v49
	;;#ASMEND
	;;#ASMSTART
	v_dot2_f32_f16 v49, v20, v24, v49
	;;#ASMEND
	;;#ASMSTART
	v_dot2_f32_f16 v49, v21, v25, v49
	;;#ASMEND
	s_wait_dscnt 0x3
	;;#ASMSTART
	v_dot2_f32_f16 v50, v18, v112, v50
	;;#ASMEND
	;;#ASMSTART
	v_dot2_f32_f16 v50, v19, v113, v50
	;;#ASMEND
	;;#ASMSTART
	v_dot2_f32_f16 v50, v20, v114, v50
	;;#ASMEND
	;;#ASMSTART
	v_dot2_f32_f16 v50, v21, v115, v50
	;;#ASMEND
	;; [unrolled: 13-line block ×5, first 2 shown]
	;;#ASMSTART
	v_dot2_f32_f16 v54, v124, v112, v54
	;;#ASMEND
	;;#ASMSTART
	v_dot2_f32_f16 v54, v125, v113, v54
	;;#ASMEND
	;; [unrolled: 3-line block ×12, first 2 shown]
	ds_load_b128 v[18:21], v96 offset:128
	ds_load_b128 v[22:25], v84 offset:384
	;; [unrolled: 1-line block ×6, first 2 shown]
	s_wait_dscnt 0x4
	;;#ASMSTART
	v_dot2_f32_f16 v49, v18, v22, v49
	;;#ASMEND
	;;#ASMSTART
	v_dot2_f32_f16 v49, v19, v23, v49
	;;#ASMEND
	;;#ASMSTART
	v_dot2_f32_f16 v49, v20, v24, v49
	;;#ASMEND
	;;#ASMSTART
	v_dot2_f32_f16 v49, v21, v25, v49
	;;#ASMEND
	s_wait_dscnt 0x3
	;;#ASMSTART
	v_dot2_f32_f16 v50, v18, v112, v50
	;;#ASMEND
	;;#ASMSTART
	v_dot2_f32_f16 v50, v19, v113, v50
	;;#ASMEND
	;;#ASMSTART
	v_dot2_f32_f16 v50, v20, v114, v50
	;;#ASMEND
	;;#ASMSTART
	v_dot2_f32_f16 v50, v21, v115, v50
	;;#ASMEND
	;; [unrolled: 13-line block ×5, first 2 shown]
	;;#ASMSTART
	v_dot2_f32_f16 v54, v124, v112, v54
	;;#ASMEND
	;;#ASMSTART
	v_dot2_f32_f16 v54, v125, v113, v54
	;;#ASMEND
	;; [unrolled: 3-line block ×12, first 2 shown]
	ds_load_b128 v[18:21], v96 offset:144
	ds_load_b128 v[22:25], v84 offset:400
	;; [unrolled: 1-line block ×6, first 2 shown]
	s_wait_dscnt 0x4
	;;#ASMSTART
	v_dot2_f32_f16 v49, v18, v22, v49
	;;#ASMEND
	;;#ASMSTART
	v_dot2_f32_f16 v49, v19, v23, v49
	;;#ASMEND
	;;#ASMSTART
	v_dot2_f32_f16 v49, v20, v24, v49
	;;#ASMEND
	;;#ASMSTART
	v_dot2_f32_f16 v49, v21, v25, v49
	;;#ASMEND
	s_wait_dscnt 0x3
	;;#ASMSTART
	v_dot2_f32_f16 v50, v18, v112, v50
	;;#ASMEND
	;;#ASMSTART
	v_dot2_f32_f16 v50, v19, v113, v50
	;;#ASMEND
	;;#ASMSTART
	v_dot2_f32_f16 v50, v20, v114, v50
	;;#ASMEND
	;;#ASMSTART
	v_dot2_f32_f16 v50, v21, v115, v50
	;;#ASMEND
	s_wait_dscnt 0x2
	;;#ASMSTART
	v_dot2_f32_f16 v51, v18, v116, v51
	;;#ASMEND
	;;#ASMSTART
	v_dot2_f32_f16 v51, v19, v117, v51
	;;#ASMEND
	;;#ASMSTART
	v_dot2_f32_f16 v51, v20, v118, v51
	;;#ASMEND
	;;#ASMSTART
	v_dot2_f32_f16 v51, v21, v119, v51
	;;#ASMEND
	s_wait_dscnt 0x1
	;;#ASMSTART
	v_dot2_f32_f16 v52, v18, v120, v52
	;;#ASMEND
	;;#ASMSTART
	v_dot2_f32_f16 v52, v19, v121, v52
	;;#ASMEND
	;;#ASMSTART
	v_dot2_f32_f16 v52, v20, v122, v52
	;;#ASMEND
	;;#ASMSTART
	v_dot2_f32_f16 v52, v21, v123, v52
	;;#ASMEND
	s_wait_dscnt 0x0
	;;#ASMSTART
	v_dot2_f32_f16 v53, v124, v22, v53
	;;#ASMEND
	;;#ASMSTART
	v_dot2_f32_f16 v53, v125, v23, v53
	;;#ASMEND
	;;#ASMSTART
	v_dot2_f32_f16 v53, v126, v24, v53
	;;#ASMEND
	;;#ASMSTART
	v_dot2_f32_f16 v53, v127, v25, v53
	;;#ASMEND
	;;#ASMSTART
	v_dot2_f32_f16 v54, v124, v112, v54
	;;#ASMEND
	;;#ASMSTART
	v_dot2_f32_f16 v54, v125, v113, v54
	;;#ASMEND
	;; [unrolled: 3-line block ×12, first 2 shown]
	ds_load_b128 v[18:21], v96 offset:160
	ds_load_b128 v[22:25], v84 offset:416
	;; [unrolled: 1-line block ×6, first 2 shown]
	s_wait_dscnt 0x4
	;;#ASMSTART
	v_dot2_f32_f16 v49, v18, v22, v49
	;;#ASMEND
	;;#ASMSTART
	v_dot2_f32_f16 v49, v19, v23, v49
	;;#ASMEND
	;;#ASMSTART
	v_dot2_f32_f16 v49, v20, v24, v49
	;;#ASMEND
	;;#ASMSTART
	v_dot2_f32_f16 v49, v21, v25, v49
	;;#ASMEND
	s_wait_dscnt 0x3
	;;#ASMSTART
	v_dot2_f32_f16 v50, v18, v112, v50
	;;#ASMEND
	;;#ASMSTART
	v_dot2_f32_f16 v50, v19, v113, v50
	;;#ASMEND
	;;#ASMSTART
	v_dot2_f32_f16 v50, v20, v114, v50
	;;#ASMEND
	;;#ASMSTART
	v_dot2_f32_f16 v50, v21, v115, v50
	;;#ASMEND
	;; [unrolled: 13-line block ×5, first 2 shown]
	;;#ASMSTART
	v_dot2_f32_f16 v54, v124, v112, v54
	;;#ASMEND
	;;#ASMSTART
	v_dot2_f32_f16 v54, v125, v113, v54
	;;#ASMEND
	;; [unrolled: 3-line block ×12, first 2 shown]
	ds_load_b128 v[18:21], v96 offset:176
	ds_load_b128 v[22:25], v84 offset:432
	ds_load_b128 v[112:115], v84 offset:944
	ds_load_b128 v[116:119], v84 offset:1456
	ds_load_b128 v[120:123], v84 offset:1968
	ds_load_b128 v[124:127], v96 offset:8880
	s_wait_dscnt 0x4
	;;#ASMSTART
	v_dot2_f32_f16 v49, v18, v22, v49
	;;#ASMEND
	;;#ASMSTART
	v_dot2_f32_f16 v49, v19, v23, v49
	;;#ASMEND
	;;#ASMSTART
	v_dot2_f32_f16 v49, v20, v24, v49
	;;#ASMEND
	;;#ASMSTART
	v_dot2_f32_f16 v49, v21, v25, v49
	;;#ASMEND
	s_wait_dscnt 0x3
	;;#ASMSTART
	v_dot2_f32_f16 v50, v18, v112, v50
	;;#ASMEND
	;;#ASMSTART
	v_dot2_f32_f16 v50, v19, v113, v50
	;;#ASMEND
	;;#ASMSTART
	v_dot2_f32_f16 v50, v20, v114, v50
	;;#ASMEND
	;;#ASMSTART
	v_dot2_f32_f16 v50, v21, v115, v50
	;;#ASMEND
	s_wait_dscnt 0x2
	;;#ASMSTART
	v_dot2_f32_f16 v51, v18, v116, v51
	;;#ASMEND
	;;#ASMSTART
	v_dot2_f32_f16 v51, v19, v117, v51
	;;#ASMEND
	;;#ASMSTART
	v_dot2_f32_f16 v51, v20, v118, v51
	;;#ASMEND
	;;#ASMSTART
	v_dot2_f32_f16 v51, v21, v119, v51
	;;#ASMEND
	s_wait_dscnt 0x1
	;;#ASMSTART
	v_dot2_f32_f16 v52, v18, v120, v52
	;;#ASMEND
	;;#ASMSTART
	v_dot2_f32_f16 v52, v19, v121, v52
	;;#ASMEND
	;;#ASMSTART
	v_dot2_f32_f16 v52, v20, v122, v52
	;;#ASMEND
	;;#ASMSTART
	v_dot2_f32_f16 v52, v21, v123, v52
	;;#ASMEND
	s_wait_dscnt 0x0
	;;#ASMSTART
	v_dot2_f32_f16 v53, v124, v22, v53
	;;#ASMEND
	;;#ASMSTART
	v_dot2_f32_f16 v53, v125, v23, v53
	;;#ASMEND
	;;#ASMSTART
	v_dot2_f32_f16 v53, v126, v24, v53
	;;#ASMEND
	;;#ASMSTART
	v_dot2_f32_f16 v53, v127, v25, v53
	;;#ASMEND
	;;#ASMSTART
	v_dot2_f32_f16 v54, v124, v112, v54
	;;#ASMEND
	;;#ASMSTART
	v_dot2_f32_f16 v54, v125, v113, v54
	;;#ASMEND
	;; [unrolled: 3-line block ×12, first 2 shown]
	ds_load_b128 v[18:21], v96 offset:192
	ds_load_b128 v[22:25], v84 offset:448
	;; [unrolled: 1-line block ×6, first 2 shown]
	s_wait_dscnt 0x4
	;;#ASMSTART
	v_dot2_f32_f16 v49, v18, v22, v49
	;;#ASMEND
	;;#ASMSTART
	v_dot2_f32_f16 v49, v19, v23, v49
	;;#ASMEND
	;;#ASMSTART
	v_dot2_f32_f16 v49, v20, v24, v49
	;;#ASMEND
	;;#ASMSTART
	v_dot2_f32_f16 v49, v21, v25, v49
	;;#ASMEND
	s_wait_dscnt 0x3
	;;#ASMSTART
	v_dot2_f32_f16 v50, v18, v112, v50
	;;#ASMEND
	;;#ASMSTART
	v_dot2_f32_f16 v50, v19, v113, v50
	;;#ASMEND
	;;#ASMSTART
	v_dot2_f32_f16 v50, v20, v114, v50
	;;#ASMEND
	;;#ASMSTART
	v_dot2_f32_f16 v50, v21, v115, v50
	;;#ASMEND
	;; [unrolled: 13-line block ×5, first 2 shown]
	;;#ASMSTART
	v_dot2_f32_f16 v54, v124, v112, v54
	;;#ASMEND
	;;#ASMSTART
	v_dot2_f32_f16 v54, v125, v113, v54
	;;#ASMEND
	;; [unrolled: 3-line block ×12, first 2 shown]
	ds_load_b128 v[18:21], v96 offset:208
	ds_load_b128 v[22:25], v84 offset:464
	;; [unrolled: 1-line block ×6, first 2 shown]
	s_wait_dscnt 0x4
	;;#ASMSTART
	v_dot2_f32_f16 v49, v18, v22, v49
	;;#ASMEND
	;;#ASMSTART
	v_dot2_f32_f16 v49, v19, v23, v49
	;;#ASMEND
	;;#ASMSTART
	v_dot2_f32_f16 v49, v20, v24, v49
	;;#ASMEND
	;;#ASMSTART
	v_dot2_f32_f16 v49, v21, v25, v49
	;;#ASMEND
	s_wait_dscnt 0x3
	;;#ASMSTART
	v_dot2_f32_f16 v50, v18, v112, v50
	;;#ASMEND
	;;#ASMSTART
	v_dot2_f32_f16 v50, v19, v113, v50
	;;#ASMEND
	;;#ASMSTART
	v_dot2_f32_f16 v50, v20, v114, v50
	;;#ASMEND
	;;#ASMSTART
	v_dot2_f32_f16 v50, v21, v115, v50
	;;#ASMEND
	;; [unrolled: 13-line block ×5, first 2 shown]
	;;#ASMSTART
	v_dot2_f32_f16 v54, v124, v112, v54
	;;#ASMEND
	;;#ASMSTART
	v_dot2_f32_f16 v54, v125, v113, v54
	;;#ASMEND
	;; [unrolled: 3-line block ×12, first 2 shown]
	ds_load_b128 v[18:21], v96 offset:224
	ds_load_b128 v[22:25], v84 offset:480
	ds_load_b128 v[112:115], v84 offset:992
	ds_load_b128 v[116:119], v84 offset:1504
	ds_load_b128 v[120:123], v84 offset:2016
	ds_load_b128 v[124:127], v96 offset:8928
	s_wait_dscnt 0x4
	;;#ASMSTART
	v_dot2_f32_f16 v49, v18, v22, v49
	;;#ASMEND
	;;#ASMSTART
	v_dot2_f32_f16 v49, v19, v23, v49
	;;#ASMEND
	;;#ASMSTART
	v_dot2_f32_f16 v49, v20, v24, v49
	;;#ASMEND
	;;#ASMSTART
	v_dot2_f32_f16 v49, v21, v25, v49
	;;#ASMEND
	s_wait_dscnt 0x3
	;;#ASMSTART
	v_dot2_f32_f16 v50, v18, v112, v50
	;;#ASMEND
	;;#ASMSTART
	v_dot2_f32_f16 v50, v19, v113, v50
	;;#ASMEND
	;;#ASMSTART
	v_dot2_f32_f16 v50, v20, v114, v50
	;;#ASMEND
	;;#ASMSTART
	v_dot2_f32_f16 v50, v21, v115, v50
	;;#ASMEND
	s_wait_dscnt 0x2
	;;#ASMSTART
	v_dot2_f32_f16 v51, v18, v116, v51
	;;#ASMEND
	;;#ASMSTART
	v_dot2_f32_f16 v51, v19, v117, v51
	;;#ASMEND
	;;#ASMSTART
	v_dot2_f32_f16 v51, v20, v118, v51
	;;#ASMEND
	;;#ASMSTART
	v_dot2_f32_f16 v51, v21, v119, v51
	;;#ASMEND
	s_wait_dscnt 0x1
	;;#ASMSTART
	v_dot2_f32_f16 v52, v18, v120, v52
	;;#ASMEND
	;;#ASMSTART
	v_dot2_f32_f16 v52, v19, v121, v52
	;;#ASMEND
	;;#ASMSTART
	v_dot2_f32_f16 v52, v20, v122, v52
	;;#ASMEND
	;;#ASMSTART
	v_dot2_f32_f16 v52, v21, v123, v52
	;;#ASMEND
	s_wait_dscnt 0x0
	;;#ASMSTART
	v_dot2_f32_f16 v53, v124, v22, v53
	;;#ASMEND
	;;#ASMSTART
	v_dot2_f32_f16 v53, v125, v23, v53
	;;#ASMEND
	;;#ASMSTART
	v_dot2_f32_f16 v53, v126, v24, v53
	;;#ASMEND
	;;#ASMSTART
	v_dot2_f32_f16 v53, v127, v25, v53
	;;#ASMEND
	;;#ASMSTART
	v_dot2_f32_f16 v54, v124, v112, v54
	;;#ASMEND
	;;#ASMSTART
	v_dot2_f32_f16 v54, v125, v113, v54
	;;#ASMEND
	;; [unrolled: 3-line block ×12, first 2 shown]
	ds_load_b128 v[18:21], v96 offset:240
	ds_load_b128 v[22:25], v84 offset:496
	;; [unrolled: 1-line block ×6, first 2 shown]
	s_wait_dscnt 0x4
	;;#ASMSTART
	v_dot2_f32_f16 v49, v18, v22, v49
	;;#ASMEND
	;;#ASMSTART
	v_dot2_f32_f16 v49, v19, v23, v49
	;;#ASMEND
	;;#ASMSTART
	v_dot2_f32_f16 v49, v20, v24, v49
	;;#ASMEND
	;;#ASMSTART
	v_dot2_f32_f16 v49, v21, v25, v49
	;;#ASMEND
	s_wait_dscnt 0x3
	;;#ASMSTART
	v_dot2_f32_f16 v50, v18, v112, v50
	;;#ASMEND
	;;#ASMSTART
	v_dot2_f32_f16 v50, v19, v113, v50
	;;#ASMEND
	;;#ASMSTART
	v_dot2_f32_f16 v50, v20, v114, v50
	;;#ASMEND
	;;#ASMSTART
	v_dot2_f32_f16 v50, v21, v115, v50
	;;#ASMEND
	;; [unrolled: 13-line block ×5, first 2 shown]
	;;#ASMSTART
	v_dot2_f32_f16 v54, v124, v112, v54
	;;#ASMEND
	;;#ASMSTART
	v_dot2_f32_f16 v54, v125, v113, v54
	;;#ASMEND
	;; [unrolled: 3-line block ×12, first 2 shown]
	s_clause 0x1
	global_load_u16 v63, v[14:15], off
	global_load_u16 v112, v[14:15], off offset:64
	s_wait_loadcnt 0x0
	s_barrier_signal -1
	s_barrier_wait -1
	global_inv scope:SCOPE_SE
	s_clause 0x3
	global_load_b128 v[18:21], v[0:1], off
	global_load_b128 v[0:3], v[2:3], off
	;; [unrolled: 1-line block ×4, first 2 shown]
	v_cvt_f32_f16_e32 v16, v63
	v_cvt_f32_f16_e32 v17, v112
	v_add_nc_u32_e32 v92, 0x1000, v87
	v_add_nc_u32_e32 v97, 0x2000, v87
	s_wait_loadcnt 0x3
	ds_store_b128 v87, v[18:21]
	v_add_f32_e32 v18, v51, v16
	v_add_f32_e32 v19, v55, v17
	s_wait_loadcnt 0x2
	ds_store_b128 v92, v[0:3]
	s_wait_loadcnt 0x1
	ds_store_b128 v97, v[12:15]
	;; [unrolled: 2-line block ×3, first 2 shown]
	v_add_f32_e32 v12, v49, v16
	v_dual_add_f32 v13, v53, v17 :: v_dual_add_f32 v14, v50, v16
	v_dual_add_f32 v15, v54, v17 :: v_dual_add_f32 v16, v52, v16
	s_delay_alu instid0(VALU_DEP_3) | instskip(NEXT) | instid1(VALU_DEP_3)
	v_dual_add_f32 v17, v56, v17 :: v_dual_add_f32 v0, 0x40051340, v12
	v_dual_add_f32 v1, 0x40051340, v13 :: v_dual_add_f32 v2, 0x40051340, v14
	s_delay_alu instid0(VALU_DEP_3) | instskip(NEXT) | instid1(VALU_DEP_4)
	v_dual_add_f32 v3, 0x40051340, v15 :: v_dual_add_f32 v20, 0x40051340, v18
	v_dual_add_f32 v21, 0x40051340, v19 :: v_dual_add_f32 v22, 0x40051340, v16
	s_delay_alu instid0(VALU_DEP_4) | instskip(NEXT) | instid1(VALU_DEP_4)
	v_add_f32_e32 v23, 0x40051340, v17
	v_max3_num_f32 v0, v48, v0, v1
	s_delay_alu instid0(VALU_DEP_4) | instskip(NEXT) | instid1(VALU_DEP_4)
	v_max3_num_f32 v1, v47, v2, v3
	v_max3_num_f32 v2, v46, v20, v21
	s_delay_alu instid0(VALU_DEP_4)
	v_max3_num_f32 v3, v45, v22, v23
	ds_bpermute_b32 v20, v62, v0
	ds_bpermute_b32 v21, v62, v1
	ds_bpermute_b32 v22, v62, v2
	ds_bpermute_b32 v23, v62, v3
	s_wait_dscnt 0x2
	v_dual_max_num_f32 v20, v20, v20 :: v_dual_max_num_f32 v21, v21, v21
	s_wait_dscnt 0x0
	v_dual_max_num_f32 v22, v22, v22 :: v_dual_max_num_f32 v23, v23, v23
	s_delay_alu instid0(VALU_DEP_2) | instskip(NEXT) | instid1(VALU_DEP_2)
	v_dual_max_num_f32 v0, v0, v20 :: v_dual_max_num_f32 v1, v1, v21
	v_dual_max_num_f32 v2, v2, v22 :: v_dual_max_num_f32 v3, v3, v23
	ds_bpermute_b32 v20, v61, v0
	ds_bpermute_b32 v21, v61, v1
	ds_bpermute_b32 v22, v61, v2
	ds_bpermute_b32 v23, v61, v3
	s_wait_dscnt 0x2
	v_dual_max_num_f32 v20, v20, v20 :: v_dual_max_num_f32 v21, v21, v21
	s_wait_dscnt 0x0
	v_dual_max_num_f32 v22, v22, v22 :: v_dual_max_num_f32 v23, v23, v23
	s_delay_alu instid0(VALU_DEP_2) | instskip(NEXT) | instid1(VALU_DEP_2)
	v_dual_max_num_f32 v0, v0, v20 :: v_dual_max_num_f32 v1, v1, v21
	v_dual_max_num_f32 v2, v2, v22 :: v_dual_max_num_f32 v3, v3, v23
	;; [unrolled: 11-line block ×5, first 2 shown]
	s_delay_alu instid0(VALU_DEP_2) | instskip(SKIP_2) | instid1(VALU_DEP_4)
	v_dual_sub_f32 v20, v48, v0 :: v_dual_sub_f32 v21, v47, v1
	v_dual_sub_f32 v12, v12, v0 :: v_dual_sub_f32 v15, v15, v1
	;; [unrolled: 1-line block ×5, first 2 shown]
	s_delay_alu instid0(VALU_DEP_3) | instskip(NEXT) | instid1(VALU_DEP_4)
	v_dual_mul_f32 v24, 0x3fb8aa3b, v12 :: v_dual_mul_f32 v25, 0x3fb8aa3b, v13
	v_dual_mul_f32 v45, 0x3fb8aa3b, v20 :: v_dual_mul_f32 v46, 0x3fb8aa3b, v14
	v_dual_sub_f32 v19, v19, v2 :: v_dual_sub_f32 v16, v16, v3
	v_dual_mul_f32 v47, 0x3fb8aa3b, v15 :: v_dual_mul_f32 v48, 0x3fb8aa3b, v21
	s_delay_alu instid0(VALU_DEP_2)
	v_dual_mul_f32 v49, 0x3fb8aa3b, v18 :: v_dual_mul_f32 v50, 0x3fb8aa3b, v19
	v_fma_f32 v55, 0x3fb8aa3b, v12, -v24
	v_rndne_f32_e32 v56, v24
	v_fma_f32 v58, 0x3fb8aa3b, v13, -v25
	v_rndne_f32_e32 v59, v25
	;; [unrolled: 2-line block ×3, first 2 shown]
	v_fma_f32 v114, 0x3fb8aa3b, v21, -v48
	v_fma_f32 v116, 0x3fb8aa3b, v18, -v49
	v_dual_fmac_f32 v55, 0x32a5705f, v12 :: v_dual_fmac_f32 v58, 0x32a5705f, v13
	v_dual_sub_f32 v24, v24, v56 :: v_dual_sub_f32 v25, v25, v59
	v_dual_fmac_f32 v60, 0x32a5705f, v20 :: v_dual_sub_f32 v45, v45, v61
	v_fmac_f32_e32 v114, 0x32a5705f, v21
	v_fmac_f32_e32 v116, 0x32a5705f, v18
	s_delay_alu instid0(VALU_DEP_4) | instskip(SKIP_3) | instid1(VALU_DEP_4)
	v_add_f32_e32 v25, v25, v58
	v_dual_mul_f32 v51, 0x3fb8aa3b, v22 :: v_dual_mul_f32 v52, 0x3fb8aa3b, v16
	v_add_f32_e32 v45, v45, v60
	v_cvt_i32_f32_e32 v59, v59
	v_exp_f32_e32 v25, v25
	v_cvt_i32_f32_e32 v61, v61
	v_dual_mul_f32 v53, 0x3fb8aa3b, v17 :: v_dual_mul_f32 v54, 0x3fb8aa3b, v23
	v_exp_f32_e32 v45, v45
	v_fma_f32 v62, 0x3fb8aa3b, v14, -v46
	v_rndne_f32_e32 v63, v46
	v_fma_f32 v112, 0x3fb8aa3b, v15, -v47
	v_rndne_f32_e32 v113, v47
	v_rndne_f32_e32 v115, v48
	;; [unrolled: 1-line block ×3, first 2 shown]
	v_fma_f32 v118, 0x3fb8aa3b, v19, -v50
	v_rndne_f32_e32 v119, v50
	v_rndne_f32_e32 v121, v51
	v_fma_f32 v122, 0x3fb8aa3b, v16, -v52
	v_ldexp_f32 v25, v25, v59
	v_cmp_ngt_f32_e32 vcc_lo, 0xc2ce8ed0, v13
	v_ldexp_f32 v45, v45, v61
	v_cmp_ngt_f32_e64 s2, 0xc2ce8ed0, v20
	v_fma_f32 v120, 0x3fb8aa3b, v22, -v51
	v_rndne_f32_e32 v125, v53
	v_dual_fmac_f32 v62, 0x32a5705f, v14 :: v_dual_sub_f32 v47, v47, v113
	v_dual_sub_f32 v46, v46, v63 :: v_dual_sub_f32 v49, v49, v117
	v_dual_fmac_f32 v112, 0x32a5705f, v15 :: v_dual_sub_f32 v51, v51, v121
	v_sub_f32_e32 v48, v48, v115
	v_fmac_f32_e32 v118, 0x32a5705f, v19
	s_delay_alu instid0(VALU_DEP_4)
	v_dual_sub_f32 v50, v50, v119 :: v_dual_add_f32 v49, v49, v116
	s_wait_alu 0xfffd
	v_dual_fmac_f32 v122, 0x32a5705f, v16 :: v_dual_cndmask_b32 v25, 0, v25
	v_add_f32_e32 v24, v24, v55
	v_cmp_nlt_f32_e32 vcc_lo, 0x42b17218, v13
	s_wait_alu 0xf1ff
	v_cndmask_b32_e64 v13, 0, v45, s2
	v_cmp_nlt_f32_e64 s2, 0x42b17218, v20
	v_fma_f32 v124, 0x3fb8aa3b, v17, -v53
	v_sub_f32_e32 v53, v53, v125
	v_dual_add_f32 v47, v47, v112 :: v_dual_add_f32 v48, v48, v114
	v_add_f32_e32 v50, v50, v118
	v_exp_f32_e32 v24, v24
	s_wait_alu 0xf1ff
	v_cndmask_b32_e64 v13, 0x7f800000, v13, s2
	v_add_f32_e32 v46, v46, v62
	v_cvt_i32_f32_e32 v56, v56
	v_exp_f32_e32 v47, v47
	v_exp_f32_e32 v48, v48
	;; [unrolled: 1-line block ×5, first 2 shown]
	v_cvt_i32_f32_e32 v63, v63
	v_cvt_i32_f32_e32 v113, v113
	;; [unrolled: 1-line block ×5, first 2 shown]
	v_ldexp_f32 v24, v24, v56
	v_cmp_ngt_f32_e64 s12, 0xc2ce8ed0, v12
	v_cmp_ngt_f32_e64 s3, 0xc2ce8ed0, v14
	v_ldexp_f32 v46, v46, v63
	v_ldexp_f32 v47, v47, v113
	v_cmp_ngt_f32_e64 s4, 0xc2ce8ed0, v15
	v_ldexp_f32 v48, v48, v115
	v_cmp_ngt_f32_e64 s5, 0xc2ce8ed0, v21
	;; [unrolled: 2-line block ×4, first 2 shown]
	s_wait_alu 0xf1ff
	v_cndmask_b32_e64 v24, 0, v24, s12
	v_cmp_nlt_f32_e64 s12, 0x42b17218, v12
	v_rndne_f32_e32 v123, v52
	v_fma_f32 v126, 0x3fb8aa3b, v23, -v54
	v_rndne_f32_e32 v127, v54
	v_cndmask_b32_e64 v20, 0, v46, s3
	v_cmp_nlt_f32_e64 s3, 0x42b17218, v14
	v_cndmask_b32_e64 v14, 0, v47, s4
	v_cmp_nlt_f32_e64 s4, 0x42b17218, v15
	;; [unrolled: 2-line block ×5, first 2 shown]
	s_wait_alu 0xf1ff
	v_cndmask_b32_e64 v12, 0x7f800000, v24, s12
	v_fmac_f32_e32 v124, 0x32a5705f, v17
	v_fmac_f32_e32 v120, 0x32a5705f, v22
	v_sub_f32_e32 v54, v54, v127
	v_cndmask_b32_e64 v21, 0x7f800000, v21, s6
	v_cndmask_b32_e64 v18, 0x7f800000, v18, s7
	v_dual_fmac_f32 v126, 0x32a5705f, v23 :: v_dual_add_f32 v53, v53, v124
	v_dual_sub_f32 v52, v52, v123 :: v_dual_add_f32 v51, v51, v120
	s_delay_alu instid0(VALU_DEP_3) | instskip(NEXT) | instid1(VALU_DEP_3)
	v_add_f32_e32 v115, v21, v18
	v_add_f32_e32 v54, v54, v126
	s_delay_alu instid0(VALU_DEP_4) | instskip(NEXT) | instid1(VALU_DEP_3)
	v_exp_f32_e32 v53, v53
	v_add_f32_e32 v52, v52, v122
	v_exp_f32_e32 v51, v51
	v_cvt_i32_f32_e32 v121, v121
	v_exp_f32_e32 v54, v54
	v_cvt_i32_f32_e32 v123, v123
	;; [unrolled: 2-line block ×3, first 2 shown]
	v_cvt_i32_f32_e32 v127, v127
	v_cmp_ngt_f32_e64 s8, 0xc2ce8ed0, v22
	v_cmp_ngt_f32_e64 s9, 0xc2ce8ed0, v16
	;; [unrolled: 1-line block ×3, first 2 shown]
	v_ldexp_f32 v51, v51, v121
	v_ldexp_f32 v53, v53, v125
	;; [unrolled: 1-line block ×3, first 2 shown]
	v_cmp_ngt_f32_e64 s11, 0xc2ce8ed0, v23
	v_ldexp_f32 v52, v52, v123
	s_wait_alu 0xf1ff
	v_cndmask_b32_e64 v19, 0, v51, s8
	v_cmp_nlt_f32_e64 s8, 0x42b17218, v22
	v_cndmask_b32_e64 v20, 0x7f800000, v20, s3
	v_cndmask_b32_e64 v14, 0x7f800000, v14, s4
	;; [unrolled: 1-line block ×3, first 2 shown]
	v_cmp_nlt_f32_e64 s9, 0x42b17218, v16
	v_cndmask_b32_e64 v16, 0, v53, s10
	v_cmp_nlt_f32_e64 s10, 0x42b17218, v17
	v_cndmask_b32_e64 v17, 0, v54, s11
	v_cmp_nlt_f32_e64 s11, 0x42b17218, v23
	s_wait_alu 0xfffd
	v_cndmask_b32_e32 v23, 0x7f800000, v25, vcc_lo
	v_cndmask_b32_e64 v15, 0x7f800000, v15, s5
	s_wait_alu 0xf1ff
	v_cndmask_b32_e64 v19, 0x7f800000, v19, s8
	v_cndmask_b32_e64 v22, 0x7f800000, v22, s9
	;; [unrolled: 1-line block ×4, first 2 shown]
	v_cvt_f16_f32_e32 v24, v12
	v_add_f32_e32 v113, v12, v23
	v_cvt_f16_f32_e32 v23, v23
	v_cvt_f16_f32_e32 v12, v13
	v_cvt_f16_f32_e32 v25, v20
	v_add_f32_e32 v114, v20, v14
	v_cvt_f16_f32_e32 v14, v14
	v_cvt_f16_f32_e32 v20, v15
	;; [unrolled: 1-line block ×6, first 2 shown]
	v_add_f32_e32 v112, v22, v16
	v_cvt_f16_f32_e32 v16, v16
	v_cvt_f16_f32_e32 v22, v17
	v_dual_fmac_f32 v113, v44, v13 :: v_dual_and_b32 v44, 0xffff, v12
	v_fmac_f32_e32 v114, v43, v15
	v_dual_fmac_f32 v115, v42, v19 :: v_dual_and_b32 v20, 0xffff, v20
	v_and_b32_e32 v19, 0xffff, v21
	v_and_b32_e32 v21, 0xffff, v22
	v_pack_b32_f16 v13, v45, v46
	v_pack_b32_f16 v12, v24, v25
	;; [unrolled: 1-line block ×4, first 2 shown]
	v_add_nc_u32_e32 v16, v98, v85
	v_mul_u32_u24_e32 v24, 0x10001, v44
	v_mul_u32_u24_e32 v25, 0x10001, v20
	;; [unrolled: 1-line block ×3, first 2 shown]
	v_fmac_f32_e32 v112, v57, v17
	v_mul_u32_u24_e32 v63, 0x10001, v21
	ds_store_2addr_b64 v16, v[12:13], v[14:15] offset1:32
	s_wait_dscnt 0x0
	s_barrier_signal -1
	s_barrier_wait -1
	global_inv scope:SCOPE_SE
	ds_load_2addr_b64 v[12:15], v85 offset1:32
	ds_load_b128 v[16:19], v98
	ds_load_b128 v[20:23], v98 offset:16
	ds_load_b128 v[42:45], v98 offset:32
	;; [unrolled: 1-line block ×3, first 2 shown]
	ds_load_2addr_b64 v[50:53], v85 offset0:64 offset1:96
	ds_load_2addr_b64 v[54:57], v85 offset0:128 offset1:160
	;; [unrolled: 1-line block ×3, first 2 shown]
	v_pk_mul_f16 v32, v32, v63
	v_pk_mul_f16 v33, v33, v63
	;; [unrolled: 1-line block ×9, first 2 shown]
	ds_load_2addr_b64 v[116:119], v106 offset1:32
	ds_load_2addr_b64 v[120:123], v106 offset0:64 offset1:96
	ds_load_2addr_b64 v[124:127], v106 offset0:128 offset1:160
	ds_load_b128 v[128:131], v98 offset:64
	ds_load_b128 v[132:135], v98 offset:80
	;; [unrolled: 1-line block ×12, first 2 shown]
	s_wait_dscnt 0x15
	v_lshrrev_b32_e32 v63, 16, v16
	v_and_b32_e32 v177, 0xffff, v16
	v_lshrrev_b32_e32 v176, 16, v17
	s_wait_dscnt 0x14
	v_lshrrev_b32_e32 v183, 16, v20
	v_lshrrev_b32_e32 v184, 16, v21
	v_and_b32_e32 v185, 0xffff, v20
	v_and_b32_e32 v186, 0xffff, v21
	v_lshrrev_b32_e32 v188, 16, v23
	v_and_b32_e32 v190, 0xffff, v23
	v_pk_mul_f16 v20, v41, v24
	v_pk_mul_f16 v21, v39, v24
	;; [unrolled: 1-line block ×3, first 2 shown]
	v_mul_u32_u24_e32 v37, 0x10001, v177
	v_mul_u32_u24_e32 v39, 0x10001, v63
	v_and_b32_e32 v178, 0xffff, v17
	v_lshrrev_b32_e32 v180, 16, v19
	v_and_b32_e32 v181, 0xffff, v18
	s_wait_dscnt 0x13
	v_lshrrev_b32_e32 v191, 16, v42
	v_and_b32_e32 v193, 0xffff, v42
	v_mul_u32_u24_e32 v16, 0x10001, v176
	v_pk_fma_f16 v41, v13, v37, v20
	v_pk_fma_f16 v42, v14, v37, v21
	v_pk_mul_f16 v20, v12, v37
	v_pk_mul_f16 v21, v12, v39
	v_lshrrev_b32_e32 v179, 16, v18
	v_lshrrev_b32_e32 v187, 16, v22
	v_and_b32_e32 v189, 0xffff, v22
	v_pk_fma_f16 v30, v14, v16, v30
	v_pk_mul_f16 v22, v40, v24
	v_mul_u32_u24_e32 v40, 0x10001, v178
	v_pk_fma_f16 v24, v38, v24, v20
	v_pk_fma_f16 v35, v35, v25, v21
	v_mul_u32_u24_e32 v25, 0x10001, v180
	v_mul_u32_u24_e32 v38, 0x10001, v181
	v_and_b32_e32 v182, 0xffff, v19
	v_lshrrev_b32_e32 v192, 16, v43
	v_and_b32_e32 v194, 0xffff, v43
	v_pk_fma_f16 v43, v15, v37, v22
	v_pk_fma_f16 v37, v13, v39, v23
	;; [unrolled: 1-line block ×7, first 2 shown]
	v_pk_mul_f16 v27, v12, v40
	s_wait_dscnt 0x11
	v_pk_fma_f16 v40, v51, v38, v41
	v_pk_fma_f16 v41, v52, v38, v42
	;; [unrolled: 1-line block ×3, first 2 shown]
	v_mul_u32_u24_e32 v30, 0x10001, v179
	v_lshrrev_b32_e32 v196, 16, v45
	v_and_b32_e32 v198, 0xffff, v45
	v_lshrrev_b32_e32 v204, 16, v49
	v_and_b32_e32 v206, 0xffff, v49
	v_pk_fma_f16 v32, v12, v16, v32
	v_pk_fma_f16 v33, v13, v16, v33
	;; [unrolled: 1-line block ×6, first 2 shown]
	v_mul_u32_u24_e32 v45, 0x10001, v182
	v_pk_fma_f16 v49, v50, v30, v35
	v_mul_u32_u24_e32 v35, 0x10001, v185
	v_lshrrev_b32_e32 v195, 16, v44
	v_and_b32_e32 v197, 0xffff, v44
	v_lshrrev_b32_e32 v199, 16, v46
	v_lshrrev_b32_e32 v200, 16, v47
	v_and_b32_e32 v201, 0xffff, v46
	v_and_b32_e32 v202, 0xffff, v47
	v_lshrrev_b32_e32 v203, 16, v48
	v_and_b32_e32 v205, 0xffff, v48
	v_pk_fma_f16 v32, v50, v25, v32
	v_pk_fma_f16 v33, v51, v25, v33
	;; [unrolled: 1-line block ×10, first 2 shown]
	v_mul_u32_u24_e32 v34, 0x10001, v184
	s_wait_dscnt 0x10
	v_pk_fma_f16 v52, v54, v35, v38
	v_mul_u32_u24_e32 v38, 0x10001, v183
	v_mul_u32_u24_e32 v53, 0x10001, v186
	v_pk_fma_f16 v40, v55, v35, v40
	v_pk_fma_f16 v50, v54, v34, v32
	;; [unrolled: 1-line block ×13, first 2 shown]
	v_mul_u32_u24_e32 v53, 0x10001, v188
	v_mul_u32_u24_e32 v54, 0x10001, v189
	s_wait_dscnt 0xb
	v_lshrrev_b32_e32 v208, 16, v129
	v_and_b32_e32 v209, 0xffff, v129
	v_lshrrev_b32_e32 v210, 16, v130
	v_and_b32_e32 v212, 0xffff, v130
	v_pk_fma_f16 v47, v56, v38, v47
	v_pk_fma_f16 v56, v57, v38, v36
	;; [unrolled: 1-line block ×10, first 2 shown]
	v_mul_u32_u24_e32 v44, 0x10001, v187
	v_mul_u32_u24_e32 v54, 0x10001, v190
	v_lshrrev_b32_e32 v211, 16, v131
	v_and_b32_e32 v213, 0xffff, v131
	s_wait_dscnt 0xa
	v_lshrrev_b32_e32 v215, 16, v133
	v_pk_fma_f16 v131, v60, v44, v47
	v_pk_fma_f16 v55, v60, v54, v55
	;; [unrolled: 1-line block ×5, first 2 shown]
	v_mul_u32_u24_e32 v48, 0x10001, v192
	v_mul_u32_u24_e32 v49, 0x10001, v193
	v_and_b32_e32 v217, 0xffff, v133
	v_lshrrev_b32_e32 v218, 16, v134
	v_and_b32_e32 v220, 0xffff, v134
	v_pk_fma_f16 v62, v59, v44, v62
	v_pk_fma_f16 v59, v59, v54, v46
	;; [unrolled: 1-line block ×4, first 2 shown]
	v_mul_u32_u24_e32 v52, 0x10001, v191
	v_mul_u32_u24_e32 v53, 0x10001, v194
	v_lshrrev_b32_e32 v214, 16, v132
	v_and_b32_e32 v216, 0xffff, v132
	ds_load_2addr_b64 v[16:19], v106 offset0:192 offset1:224
	v_pk_fma_f16 v54, v58, v54, v45
	v_pk_fma_f16 v57, v117, v49, v57
	;; [unrolled: 1-line block ×6, first 2 shown]
	v_mul_u32_u24_e32 v59, 0x10001, v197
	v_lshrrev_b32_e32 v219, 16, v135
	v_and_b32_e32 v221, 0xffff, v135
	s_wait_dscnt 0xa
	v_lshrrev_b32_e32 v223, 16, v137
	v_and_b32_e32 v225, 0xffff, v137
	v_lshrrev_b32_e32 v226, 16, v138
	v_and_b32_e32 v228, 0xffff, v138
	ds_load_2addr_b64 v[12:15], v107 offset1:32
	v_pk_fma_f16 v58, v116, v48, v50
	v_pk_fma_f16 v129, v118, v48, v129
	;; [unrolled: 1-line block ×9, first 2 shown]
	v_mul_u32_u24_e32 v56, 0x10001, v196
	v_pk_fma_f16 v137, v122, v59, v63
	v_mul_u32_u24_e32 v63, 0x10001, v195
	v_mul_u32_u24_e32 v138, 0x10001, v198
	v_lshrrev_b32_e32 v222, 16, v136
	v_and_b32_e32 v224, 0xffff, v136
	v_lshrrev_b32_e32 v227, 16, v139
	v_and_b32_e32 v229, 0xffff, v139
	s_wait_dscnt 0xa
	v_lshrrev_b32_e32 v230, 16, v140
	v_lshrrev_b32_e32 v231, 16, v141
	v_and_b32_e32 v232, 0xffff, v140
	v_and_b32_e32 v233, 0xffff, v141
	v_lshrrev_b32_e32 v234, 16, v142
	v_and_b32_e32 v236, 0xffff, v142
	ds_load_2addr_b64 v[20:23], v107 offset0:64 offset1:96
	v_pk_fma_f16 v119, v120, v56, v58
	v_pk_fma_f16 v136, v121, v59, v57
	;; [unrolled: 1-line block ×15, first 2 shown]
	v_mul_u32_u24_e32 v116, 0x10001, v200
	v_mul_u32_u24_e32 v117, 0x10001, v201
	;; [unrolled: 1-line block ×4, first 2 shown]
	v_lshrrev_b32_e32 v207, 16, v128
	v_and_b32_e32 v128, 0xffff, v128
	v_lshrrev_b32_e32 v235, 16, v143
	v_and_b32_e32 v237, 0xffff, v143
	s_wait_dscnt 0xa
	v_lshrrev_b32_e32 v238, 16, v144
	v_lshrrev_b32_e32 v239, 16, v145
	v_and_b32_e32 v240, 0xffff, v144
	v_and_b32_e32 v241, 0xffff, v145
	v_lshrrev_b32_e32 v242, 16, v146
	v_and_b32_e32 v244, 0xffff, v146
	ds_load_2addr_b64 v[24:27], v107 offset0:128 offset1:160
	v_pk_fma_f16 v136, v125, v117, v136
	v_pk_fma_f16 v132, v125, v116, v132
	;; [unrolled: 1-line block ×13, first 2 shown]
	v_mul_u32_u24_e32 v125, 0x10001, v205
	v_mul_u32_u24_e32 v142, 0x10001, v203
	;; [unrolled: 1-line block ×3, first 2 shown]
	v_lshrrev_b32_e32 v243, 16, v147
	v_and_b32_e32 v245, 0xffff, v147
	s_wait_dscnt 0xa
	v_lshrrev_b32_e32 v246, 16, v148
	v_lshrrev_b32_e32 v247, 16, v149
	v_and_b32_e32 v248, 0xffff, v148
	v_and_b32_e32 v249, 0xffff, v149
	ds_load_2addr_b64 v[28:31], v107 offset0:192 offset1:224
	v_pk_fma_f16 v138, v124, v116, v119
	v_pk_fma_f16 v129, v126, v116, v129
	;; [unrolled: 1-line block ×3, first 2 shown]
	v_mul_u32_u24_e32 v124, 0x10001, v204
	s_wait_dscnt 0x4
	v_pk_fma_f16 v136, v17, v125, v136
	v_pk_fma_f16 v137, v18, v125, v137
	;; [unrolled: 1-line block ×12, first 2 shown]
	v_mul_u32_u24_e32 v128, 0x10001, v128
	v_mul_u32_u24_e32 v148, 0x10001, v207
	;; [unrolled: 1-line block ×3, first 2 shown]
	v_lshrrev_b32_e32 v250, 16, v150
	v_and_b32_e32 v252, 0xffff, v150
	v_lshrrev_b32_e32 v66, 16, v164
	v_lshrrev_b32_e32 v67, 16, v165
	v_and_b32_e32 v68, 0xffff, v164
	v_and_b32_e32 v164, 0xffff, v165
	v_lshrrev_b32_e32 v165, 16, v166
	v_lshrrev_b32_e32 v69, 16, v167
	v_and_b32_e32 v70, 0xffff, v166
	;; [unrolled: 4-line block ×4, first 2 shown]
	v_and_b32_e32 v170, 0xffff, v171
	v_pk_fma_f16 v138, v16, v124, v138
	v_pk_fma_f16 v132, v17, v124, v132
	v_pk_fma_f16 v129, v18, v124, v129
	v_pk_fma_f16 v133, v19, v124, v133
	v_mul_u32_u24_e32 v131, 0x10001, v208
	s_wait_dscnt 0x3
	v_pk_fma_f16 v136, v13, v128, v136
	v_pk_fma_f16 v137, v14, v128, v137
	v_pk_fma_f16 v146, v15, v128, v130
	v_pk_fma_f16 v134, v12, v128, v134
	v_pk_fma_f16 v139, v13, v148, v139
	v_pk_fma_f16 v143, v13, v149, v143
	v_pk_fma_f16 v147, v14, v148, v147
	v_pk_fma_f16 v144, v14, v149, v144
	v_pk_fma_f16 v150, v15, v148, v135
	v_pk_fma_f16 v145, v15, v149, v145
	v_pk_fma_f16 v140, v12, v148, v140
	v_pk_fma_f16 v141, v12, v149, v141
	v_mul_u32_u24_e32 v148, 0x10001, v212
	v_mul_u32_u24_e32 v171, 0x10001, v210
	;; [unrolled: 1-line block ×3, first 2 shown]
	ds_load_2addr_b64 v[32:35], v108 offset1:32
	v_pk_fma_f16 v138, v12, v131, v138
	v_pk_fma_f16 v132, v13, v131, v132
	;; [unrolled: 1-line block ×4, first 2 shown]
	v_mul_u32_u24_e32 v135, 0x10001, v211
	s_wait_dscnt 0x3
	v_pk_fma_f16 v136, v21, v148, v136
	v_pk_fma_f16 v137, v22, v148, v137
	;; [unrolled: 1-line block ×12, first 2 shown]
	v_mul_u32_u24_e32 v171, 0x10001, v216
	v_mul_u32_u24_e32 v180, 0x10001, v217
	v_lshrrev_b32_e32 v251, 16, v151
	v_and_b32_e32 v253, 0xffff, v151
	v_pk_fma_f16 v138, v20, v135, v138
	v_pk_fma_f16 v149, v21, v135, v132
	;; [unrolled: 1-line block ×4, first 2 shown]
	v_mul_u32_u24_e32 v139, 0x10001, v215
	s_wait_dscnt 0x2
	v_pk_fma_f16 v178, v25, v171, v136
	v_pk_fma_f16 v179, v26, v171, v137
	;; [unrolled: 1-line block ×4, first 2 shown]
	v_mul_u32_u24_e32 v171, 0x10001, v214
	v_pk_fma_f16 v181, v25, v180, v143
	v_pk_fma_f16 v144, v26, v180, v144
	;; [unrolled: 1-line block ×4, first 2 shown]
	v_mul_u32_u24_e32 v141, 0x10001, v220
	v_pk_fma_f16 v176, v24, v139, v138
	v_pk_fma_f16 v149, v25, v139, v149
	;; [unrolled: 1-line block ×8, first 2 shown]
	v_mul_u32_u24_e32 v140, 0x10001, v219
	s_wait_dscnt 0x1
	v_pk_fma_f16 v183, v31, v141, v146
	v_mul_u32_u24_e32 v146, 0x10001, v218
	v_mul_u32_u24_e32 v184, 0x10001, v221
	ds_load_2addr_b64 v[36:39], v108 offset0:64 offset1:96
	ds_load_2addr_b64 v[40:43], v108 offset0:128 offset1:160
	ds_load_2addr_b64 v[44:47], v108 offset0:192 offset1:224
	ds_load_2addr_b64 v[48:51], v109 offset1:32
	ds_load_2addr_b64 v[52:55], v109 offset0:64 offset1:96
	ds_load_2addr_b64 v[56:59], v109 offset0:128 offset1:160
	ds_load_2addr_b64 v[60:63], v109 offset0:192 offset1:224
	ds_load_2addr_b64 v[116:119], v110 offset1:32
	;; [unrolled: 4-line block ×4, first 2 shown]
	ds_load_2addr_b64 v[24:27], v102 offset0:64 offset1:96
	v_pk_fma_f16 v176, v28, v140, v176
	v_pk_fma_f16 v178, v29, v141, v178
	;; [unrolled: 1-line block ×7, first 2 shown]
	ds_load_2addr_b64 v[140:143], v102 offset0:128 offset1:160
	v_pk_fma_f16 v177, v29, v146, v177
	v_pk_fma_f16 v181, v29, v184, v181
	;; [unrolled: 1-line block ×8, first 2 shown]
	ds_load_2addr_b64 v[28:31], v102 offset0:192 offset1:224
	s_wait_loadcnt_dscnt 0x0
	s_barrier_signal -1
	s_barrier_wait -1
	global_inv scope:SCOPE_SE
	global_load_b128 v[144:147], v[10:11], off
	v_mul_u32_u24_e32 v10, 0x10001, v223
	v_mul_u32_u24_e32 v193, 0x10001, v232
	;; [unrolled: 1-line block ×5, first 2 shown]
	v_pk_fma_f16 v11, v32, v10, v176
	v_pk_fma_f16 v149, v33, v10, v149
	v_pk_fma_f16 v176, v34, v10, v182
	v_pk_fma_f16 v10, v35, v10, v151
	v_mul_u32_u24_e32 v151, 0x10001, v224
	v_mul_u32_u24_e32 v197, 0x10001, v236
	;; [unrolled: 1-line block ×5, first 2 shown]
	v_pk_fma_f16 v178, v33, v151, v178
	v_pk_fma_f16 v179, v34, v151, v179
	v_pk_fma_f16 v183, v35, v151, v183
	v_pk_fma_f16 v148, v32, v151, v148
	v_mul_u32_u24_e32 v151, 0x10001, v222
	v_mul_u32_u24_e32 v201, 0x10001, v240
	;; [unrolled: 1-line block ×5, first 2 shown]
	v_pk_fma_f16 v188, v35, v151, v150
	v_mul_u32_u24_e32 v150, 0x10001, v225
	v_pk_fma_f16 v177, v33, v151, v177
	v_pk_fma_f16 v185, v34, v151, v185
	;; [unrolled: 1-line block ×3, first 2 shown]
	v_mul_u32_u24_e32 v151, 0x10001, v228
	v_pk_fma_f16 v181, v33, v150, v181
	v_pk_fma_f16 v186, v34, v150, v186
	;; [unrolled: 1-line block ×4, first 2 shown]
	v_mul_u32_u24_e32 v150, 0x10001, v227
	s_clause 0x1
	global_load_b128 v[32:35], v[6:7], off
	global_load_b128 v[6:9], v[8:9], off
	v_pk_fma_f16 v178, v37, v151, v178
	v_pk_fma_f16 v179, v38, v151, v179
	;; [unrolled: 1-line block ×8, first 2 shown]
	global_load_b128 v[148:151], v[4:5], off
	v_mul_u32_u24_e32 v4, 0x10001, v226
	v_mul_u32_u24_e32 v5, 0x10001, v229
	v_pk_fma_f16 v11, v40, v196, v11
	v_pk_fma_f16 v10, v43, v196, v10
	v_mul_u32_u24_e32 v205, 0x10001, v244
	v_pk_fma_f16 v177, v37, v4, v177
	v_pk_fma_f16 v37, v37, v5, v181
	;; [unrolled: 1-line block ×38, first 2 shown]
	v_mul_u32_u24_e32 v206, 0x10001, v242
	v_mul_u32_u24_e32 v207, 0x10001, v245
	v_mul_u32_u24_e32 v208, 0x10001, v243
	v_pk_fma_f16 v11, v48, v204, v11
	v_pk_fma_f16 v36, v49, v201, v36
	;; [unrolled: 1-line block ×16, first 2 shown]
	v_mul_u32_u24_e32 v209, 0x10001, v248
	v_mul_u32_u24_e32 v210, 0x10001, v246
	v_mul_u32_u24_e32 v211, 0x10001, v249
	v_mul_u32_u24_e32 v212, 0x10001, v247
	v_pk_fma_f16 v11, v52, v208, v11
	v_pk_fma_f16 v36, v53, v205, v36
	v_pk_fma_f16 v40, v53, v206, v40
	v_pk_fma_f16 v37, v53, v207, v37
	v_pk_fma_f16 v41, v53, v208, v41
	v_pk_fma_f16 v44, v54, v205, v44
	v_pk_fma_f16 v45, v54, v206, v45
	v_pk_fma_f16 v38, v54, v207, v38
	v_pk_fma_f16 v42, v54, v208, v42
	v_pk_fma_f16 v46, v55, v205, v46
	v_pk_fma_f16 v47, v55, v206, v47
	v_pk_fma_f16 v39, v55, v207, v39
	v_pk_fma_f16 v10, v55, v208, v10
	v_pk_fma_f16 v43, v52, v205, v43
	v_pk_fma_f16 v4, v52, v206, v4
	v_pk_fma_f16 v5, v52, v207, v5
	v_lshrrev_b32_e32 v254, 16, v152
	v_lshrrev_b32_e32 v255, 16, v153
	v_and_b32_e32 v152, 0xffff, v152
	v_and_b32_e32 v153, 0xffff, v153
	v_mul_u32_u24_e32 v213, 0x10001, v252
	v_mul_u32_u24_e32 v214, 0x10001, v250
	v_mul_u32_u24_e32 v215, 0x10001, v253
	v_mul_u32_u24_e32 v216, 0x10001, v251
	v_pk_fma_f16 v11, v56, v212, v11
	v_pk_fma_f16 v36, v57, v209, v36
	v_pk_fma_f16 v40, v57, v210, v40
	v_pk_fma_f16 v37, v57, v211, v37
	v_pk_fma_f16 v41, v57, v212, v41
	v_pk_fma_f16 v44, v58, v209, v44
	v_pk_fma_f16 v45, v58, v210, v45
	v_pk_fma_f16 v38, v58, v211, v38
	v_pk_fma_f16 v42, v58, v212, v42
	v_pk_fma_f16 v46, v59, v209, v46
	v_pk_fma_f16 v47, v59, v210, v47
	v_pk_fma_f16 v39, v59, v211, v39
	v_pk_fma_f16 v10, v59, v212, v10
	v_pk_fma_f16 v43, v56, v209, v43
	v_pk_fma_f16 v4, v56, v210, v4
	v_pk_fma_f16 v5, v56, v211, v5
	v_lshrrev_b32_e32 v83, 16, v154
	v_lshrrev_b32_e32 v64, 16, v155
	v_and_b32_e32 v154, 0xffff, v154
	v_and_b32_e32 v155, 0xffff, v155
	;; [unrolled: 24-line block ×6, first 2 shown]
	v_mul_u32_u24_e32 v160, 0x10001, v160
	v_mul_u32_u24_e32 v95, 0x10001, v95
	v_mul_u32_u24_e32 v161, 0x10001, v161
	v_mul_u32_u24_e32 v99, 0x10001, v99
	v_pk_fma_f16 v11, v16, v94, v11
	v_pk_fma_f16 v36, v17, v158, v36
	v_pk_fma_f16 v40, v17, v93, v40
	v_pk_fma_f16 v37, v17, v159, v37
	v_pk_fma_f16 v17, v17, v94, v41
	v_pk_fma_f16 v41, v18, v158, v44
	v_pk_fma_f16 v44, v18, v93, v45
	v_pk_fma_f16 v38, v18, v159, v38
	v_pk_fma_f16 v18, v18, v94, v42
	v_pk_fma_f16 v42, v19, v158, v46
	v_pk_fma_f16 v45, v19, v93, v47
	v_pk_fma_f16 v39, v19, v159, v39
	v_pk_fma_f16 v10, v19, v94, v10
	v_pk_fma_f16 v19, v16, v158, v43
	v_pk_fma_f16 v4, v16, v93, v4
	v_pk_fma_f16 v5, v16, v159, v5
	v_mul_u32_u24_e32 v162, 0x10001, v162
	v_mul_u32_u24_e32 v100, 0x10001, v100
	v_mul_u32_u24_e32 v163, 0x10001, v163
	v_mul_u32_u24_e32 v101, 0x10001, v101
	v_pk_fma_f16 v11, v128, v99, v11
	v_pk_fma_f16 v16, v129, v160, v36
	v_pk_fma_f16 v36, v129, v95, v40
	v_pk_fma_f16 v37, v129, v161, v37
	v_pk_fma_f16 v17, v129, v99, v17
	v_pk_fma_f16 v40, v130, v160, v41
	v_pk_fma_f16 v41, v130, v95, v44
	v_pk_fma_f16 v38, v130, v161, v38
	v_pk_fma_f16 v18, v130, v99, v18
	v_pk_fma_f16 v42, v131, v160, v42
	v_pk_fma_f16 v43, v131, v95, v45
	v_pk_fma_f16 v39, v131, v161, v39
	v_pk_fma_f16 v10, v131, v99, v10
	v_pk_fma_f16 v19, v128, v160, v19
	v_pk_fma_f16 v4, v128, v95, v4
	v_pk_fma_f16 v5, v128, v161, v5
	;; [unrolled: 20-line block ×5, first 2 shown]
	v_lshrrev_b32_e32 v182, 16, v172
	v_lshrrev_b32_e32 v184, 16, v173
	v_and_b32_e32 v172, 0xffff, v172
	v_and_b32_e32 v173, 0xffff, v173
	v_mul_u32_u24_e32 v74, 0x10001, v74
	v_mul_u32_u24_e32 v169, 0x10001, v169
	;; [unrolled: 1-line block ×4, first 2 shown]
	v_pk_fma_f16 v11, v136, v71, v11
	v_pk_fma_f16 v12, v137, v72, v12
	;; [unrolled: 1-line block ×16, first 2 shown]
	v_lshrrev_b32_e32 v189, 16, v174
	v_lshrrev_b32_e32 v190, 16, v175
	v_and_b32_e32 v174, 0xffff, v174
	v_and_b32_e32 v175, 0xffff, v175
	v_mul_u32_u24_e32 v172, 0x10001, v172
	v_mul_u32_u24_e32 v182, 0x10001, v182
	;; [unrolled: 1-line block ×4, first 2 shown]
	v_pk_fma_f16 v11, v24, v73, v11
	v_pk_fma_f16 v12, v25, v74, v12
	;; [unrolled: 1-line block ×16, first 2 shown]
	v_mul_u32_u24_e32 v174, 0x10001, v174
	v_mul_u32_u24_e32 v189, 0x10001, v189
	;; [unrolled: 1-line block ×4, first 2 shown]
	v_pk_fma_f16 v11, v140, v184, v11
	v_pk_fma_f16 v12, v141, v172, v12
	;; [unrolled: 1-line block ×32, first 2 shown]
	s_wait_loadcnt 0x3
	ds_store_b128 v87, v[144:147]
	s_wait_loadcnt 0x2
	ds_store_b128 v92, v[32:35]
	;; [unrolled: 2-line block ×4, first 2 shown]
	s_wait_dscnt 0x0
	s_barrier_signal -1
	s_barrier_wait -1
	global_inv scope:SCOPE_SE
	ds_load_2addr_b64 v[4:7], v85 offset1:32
	ds_load_b128 v[48:51], v98 offset:256
	ds_load_b128 v[44:47], v98 offset:272
	;; [unrolled: 1-line block ×4, first 2 shown]
	ds_load_2addr_b64 v[8:11], v85 offset0:64 offset1:96
	ds_load_2addr_b64 v[12:15], v85 offset0:128 offset1:160
	;; [unrolled: 1-line block ×3, first 2 shown]
	ds_load_2addr_b64 v[20:23], v106 offset1:32
	ds_load_2addr_b64 v[24:27], v106 offset0:64 offset1:96
	ds_load_2addr_b64 v[28:31], v106 offset0:128 offset1:160
	;; [unrolled: 1-line block ×3, first 2 shown]
	ds_load_b128 v[52:55], v98 offset:320
	ds_load_b128 v[56:59], v98 offset:336
	;; [unrolled: 1-line block ×12, first 2 shown]
	s_wait_dscnt 0x16
	v_lshrrev_b32_e32 v64, 16, v48
	v_and_b32_e32 v48, 0xffff, v48
	v_lshrrev_b32_e32 v65, 16, v49
	v_and_b32_e32 v49, 0xffff, v49
	;; [unrolled: 2-line block ×3, first 2 shown]
	s_wait_dscnt 0x14
	v_lshrrev_b32_e32 v93, 16, v40
	v_lshrrev_b32_e32 v94, 16, v41
	v_and_b32_e32 v95, 0xffff, v40
	v_and_b32_e32 v99, 0xffff, v41
	v_mul_u32_u24_e32 v40, 0x10001, v48
	v_mul_u32_u24_e32 v41, 0x10001, v64
	v_lshrrev_b32_e32 v67, 16, v51
	v_and_b32_e32 v51, 0xffff, v51
	v_lshrrev_b32_e32 v68, 16, v44
	v_and_b32_e32 v70, 0xffff, v44
	;; [unrolled: 2-line block ×3, first 2 shown]
	s_wait_dscnt 0xb
	v_lshrrev_b32_e32 v178, 16, v53
	v_and_b32_e32 v180, 0xffff, v53
	v_lshrrev_b32_e32 v181, 16, v54
	v_lshrrev_b32_e32 v182, 16, v55
	v_and_b32_e32 v183, 0xffff, v54
	v_and_b32_e32 v184, 0xffff, v55
	s_wait_dscnt 0x9
	v_lshrrev_b32_e32 v197, 16, v62
	v_and_b32_e32 v199, 0xffff, v62
	v_pk_fma_f16 v44, v4, v40, v130
	v_pk_fma_f16 v46, v5, v40, v123
	;; [unrolled: 1-line block ×5, first 2 shown]
	v_mul_u32_u24_e32 v49, 0x10001, v49
	v_mul_u32_u24_e32 v55, 0x10001, v65
	;; [unrolled: 1-line block ×4, first 2 shown]
	v_lshrrev_b32_e32 v69, 16, v45
	v_and_b32_e32 v71, 0xffff, v45
	v_lshrrev_b32_e32 v73, 16, v47
	v_and_b32_e32 v83, 0xffff, v47
	;; [unrolled: 2-line block ×3, first 2 shown]
	v_lshrrev_b32_e32 v185, 16, v56
	v_lshrrev_b32_e32 v186, 16, v57
	v_and_b32_e32 v187, 0xffff, v56
	v_and_b32_e32 v188, 0xffff, v57
	v_lshrrev_b32_e32 v189, 16, v58
	v_lshrrev_b32_e32 v190, 16, v59
	v_and_b32_e32 v191, 0xffff, v58
	v_and_b32_e32 v192, 0xffff, v59
	;; [unrolled: 4-line block ×3, first 2 shown]
	v_lshrrev_b32_e32 v198, 16, v63
	v_and_b32_e32 v200, 0xffff, v63
	v_pk_fma_f16 v45, v4, v41, v131
	v_pk_fma_f16 v47, v5, v41, v124
	v_pk_fma_f16 v52, v6, v41, v126
	v_pk_fma_f16 v56, v4, v49, v129
	v_pk_fma_f16 v57, v4, v55, v116
	v_pk_fma_f16 v58, v5, v49, v117
	v_pk_fma_f16 v59, v5, v55, v118
	v_pk_fma_f16 v60, v6, v49, v119
	v_pk_fma_f16 v61, v6, v55, v120
	v_pk_fma_f16 v49, v7, v49, v121
	v_pk_fma_f16 v55, v7, v55, v122
	v_pk_fma_f16 v63, v8, v50, v44
	v_pk_fma_f16 v65, v9, v50, v46
	v_pk_fma_f16 v48, v10, v50, v48
	v_pk_fma_f16 v50, v11, v50, v53
	v_pk_fma_f16 v53, v11, v62, v54
	v_mul_u32_u24_e32 v51, 0x10001, v51
	v_mul_u32_u24_e32 v54, 0x10001, v67
	v_pk_fma_f16 v64, v8, v62, v45
	v_pk_fma_f16 v66, v9, v62, v47
	;; [unrolled: 1-line block ×11, first 2 shown]
	v_mul_u32_u24_e32 v49, 0x10001, v70
	v_mul_u32_u24_e32 v51, 0x10001, v68
	v_mul_u32_u24_e32 v68, 0x10001, v71
	v_mul_u32_u24_e32 v69, 0x10001, v69
	v_mul_u32_u24_e32 v73, 0x10001, v73
	v_pk_fma_f16 v55, v12, v49, v63
	v_pk_fma_f16 v63, v12, v51, v64
	;; [unrolled: 1-line block ×16, first 2 shown]
	v_mul_u32_u24_e32 v54, 0x10001, v74
	v_mul_u32_u24_e32 v69, 0x10001, v72
	;; [unrolled: 1-line block ×3, first 2 shown]
	v_lshrrev_b32_e32 v100, 16, v42
	v_lshrrev_b32_e32 v101, 16, v43
	v_and_b32_e32 v103, 0xffff, v42
	v_and_b32_e32 v168, 0xffff, v43
	v_pk_fma_f16 v70, v16, v54, v55
	v_pk_fma_f16 v63, v16, v69, v63
	;; [unrolled: 1-line block ×16, first 2 shown]
	v_mul_u32_u24_e32 v56, 0x10001, v95
	v_mul_u32_u24_e32 v57, 0x10001, v93
	;; [unrolled: 1-line block ×4, first 2 shown]
	v_lshrrev_b32_e32 v169, 16, v36
	v_and_b32_e32 v171, 0xffff, v36
	v_pk_fma_f16 v70, v20, v56, v70
	v_pk_fma_f16 v63, v20, v57, v63
	;; [unrolled: 1-line block ×16, first 2 shown]
	v_mul_u32_u24_e32 v60, 0x10001, v103
	v_mul_u32_u24_e32 v61, 0x10001, v100
	;; [unrolled: 1-line block ×4, first 2 shown]
	v_lshrrev_b32_e32 v170, 16, v37
	v_and_b32_e32 v172, 0xffff, v37
	v_pk_fma_f16 v70, v24, v60, v70
	v_pk_fma_f16 v73, v24, v61, v63
	;; [unrolled: 1-line block ×16, first 2 shown]
	v_mul_u32_u24_e32 v100, 0x10001, v171
	v_mul_u32_u24_e32 v101, 0x10001, v169
	v_lshrrev_b32_e32 v173, 16, v38
	v_lshrrev_b32_e32 v174, 16, v39
	v_and_b32_e32 v175, 0xffff, v38
	v_and_b32_e32 v176, 0xffff, v39
	ds_load_2addr_b64 v[36:39], v107 offset1:32
	v_pk_fma_f16 v70, v28, v100, v70
	v_pk_fma_f16 v73, v28, v101, v73
	;; [unrolled: 1-line block ×8, first 2 shown]
	v_mul_u32_u24_e32 v100, 0x10001, v172
	v_mul_u32_u24_e32 v101, 0x10001, v170
	ds_load_2addr_b64 v[40:43], v107 offset0:64 offset1:96
	ds_load_2addr_b64 v[4:7], v107 offset0:128 offset1:160
	;; [unrolled: 1-line block ×3, first 2 shown]
	v_pk_fma_f16 v74, v28, v100, v74
	v_pk_fma_f16 v83, v28, v101, v83
	v_pk_fma_f16 v93, v29, v100, v93
	v_pk_fma_f16 v94, v29, v101, v94
	v_pk_fma_f16 v95, v30, v100, v95
	v_pk_fma_f16 v99, v30, v101, v99
	v_pk_fma_f16 v72, v31, v100, v72
	v_pk_fma_f16 v68, v31, v101, v68
	v_mul_u32_u24_e32 v100, 0x10001, v175
	v_mul_u32_u24_e32 v101, 0x10001, v173
	ds_load_2addr_b64 v[8:11], v108 offset1:32
	ds_load_2addr_b64 v[48:51], v108 offset0:64 offset1:96
	ds_load_2addr_b64 v[12:15], v108 offset0:128 offset1:160
	v_pk_fma_f16 v70, v32, v100, v70
	v_pk_fma_f16 v73, v32, v101, v73
	;; [unrolled: 1-line block ×8, first 2 shown]
	v_mul_u32_u24_e32 v100, 0x10001, v176
	v_mul_u32_u24_e32 v101, 0x10001, v174
	ds_load_2addr_b64 v[52:55], v108 offset0:192 offset1:224
	v_mul_u32_u24_e32 v103, 0x10001, v195
	v_mul_u32_u24_e32 v168, 0x10001, v193
	v_pk_fma_f16 v74, v32, v100, v74
	v_pk_fma_f16 v83, v32, v101, v83
	;; [unrolled: 1-line block ×8, first 2 shown]
	v_mul_u32_u24_e32 v100, 0x10001, v179
	v_mul_u32_u24_e32 v101, 0x10001, v177
	;; [unrolled: 1-line block ×4, first 2 shown]
	s_wait_dscnt 0x10
	v_lshrrev_b32_e32 v201, 16, v132
	s_wait_dscnt 0x7
	v_pk_fma_f16 v70, v36, v100, v70
	v_pk_fma_f16 v73, v36, v101, v73
	;; [unrolled: 1-line block ×8, first 2 shown]
	v_mul_u32_u24_e32 v100, 0x10001, v180
	v_mul_u32_u24_e32 v101, 0x10001, v178
	v_lshrrev_b32_e32 v202, 16, v133
	v_and_b32_e32 v203, 0xffff, v132
	v_and_b32_e32 v204, 0xffff, v133
	v_pk_fma_f16 v74, v36, v100, v74
	v_pk_fma_f16 v83, v36, v101, v83
	;; [unrolled: 1-line block ×8, first 2 shown]
	v_mul_u32_u24_e32 v100, 0x10001, v183
	v_mul_u32_u24_e32 v101, 0x10001, v181
	ds_load_2addr_b64 v[16:19], v109 offset1:32
	v_mul_u32_u24_e32 v171, 0x10001, v199
	v_mul_u32_u24_e32 v172, 0x10001, v197
	s_wait_dscnt 0x7
	v_pk_fma_f16 v70, v40, v100, v70
	v_pk_fma_f16 v73, v40, v101, v73
	;; [unrolled: 1-line block ×8, first 2 shown]
	v_mul_u32_u24_e32 v100, 0x10001, v184
	v_mul_u32_u24_e32 v101, 0x10001, v182
	;; [unrolled: 1-line block ×4, first 2 shown]
	v_lshrrev_b32_e32 v205, 16, v134
	v_pk_fma_f16 v74, v40, v100, v74
	v_pk_fma_f16 v83, v40, v101, v83
	;; [unrolled: 1-line block ×8, first 2 shown]
	v_mul_u32_u24_e32 v100, 0x10001, v187
	v_mul_u32_u24_e32 v101, 0x10001, v185
	v_lshrrev_b32_e32 v206, 16, v135
	v_and_b32_e32 v207, 0xffff, v134
	v_and_b32_e32 v208, 0xffff, v135
	s_wait_dscnt 0x6
	v_pk_fma_f16 v70, v4, v100, v70
	v_pk_fma_f16 v73, v4, v101, v73
	;; [unrolled: 1-line block ×8, first 2 shown]
	v_mul_u32_u24_e32 v100, 0x10001, v188
	v_mul_u32_u24_e32 v101, 0x10001, v186
	ds_load_2addr_b64 v[56:59], v109 offset0:64 offset1:96
	v_mul_u32_u24_e32 v175, 0x10001, v203
	v_mul_u32_u24_e32 v176, 0x10001, v201
	v_pk_fma_f16 v74, v4, v100, v74
	v_pk_fma_f16 v83, v4, v101, v83
	;; [unrolled: 1-line block ×8, first 2 shown]
	v_mul_u32_u24_e32 v100, 0x10001, v191
	v_mul_u32_u24_e32 v101, 0x10001, v189
	;; [unrolled: 1-line block ×4, first 2 shown]
	v_lshrrev_b32_e32 v209, 16, v136
	s_wait_dscnt 0x6
	v_pk_fma_f16 v70, v44, v100, v70
	v_pk_fma_f16 v73, v44, v101, v73
	;; [unrolled: 1-line block ×8, first 2 shown]
	v_mul_u32_u24_e32 v100, 0x10001, v192
	v_mul_u32_u24_e32 v101, 0x10001, v190
	v_lshrrev_b32_e32 v210, 16, v137
	v_and_b32_e32 v211, 0xffff, v136
	v_and_b32_e32 v212, 0xffff, v137
	v_pk_fma_f16 v74, v44, v100, v74
	v_pk_fma_f16 v44, v44, v101, v83
	;; [unrolled: 1-line block ×8, first 2 shown]
	s_wait_dscnt 0x5
	v_pk_fma_f16 v68, v8, v103, v70
	v_pk_fma_f16 v70, v8, v168, v73
	;; [unrolled: 1-line block ×16, first 2 shown]
	s_wait_dscnt 0x4
	v_pk_fma_f16 v47, v48, v171, v68
	v_pk_fma_f16 v68, v48, v172, v70
	;; [unrolled: 1-line block ×16, first 2 shown]
	ds_load_2addr_b64 v[20:23], v109 offset0:128 offset1:160
	v_mul_u32_u24_e32 v179, 0x10001, v207
	v_mul_u32_u24_e32 v180, 0x10001, v205
	;; [unrolled: 1-line block ×4, first 2 shown]
	s_wait_dscnt 0x4
	v_pk_fma_f16 v47, v12, v175, v47
	v_pk_fma_f16 v51, v12, v176, v68
	;; [unrolled: 1-line block ×16, first 2 shown]
	v_lshrrev_b32_e32 v213, 16, v138
	v_lshrrev_b32_e32 v214, 16, v139
	v_and_b32_e32 v215, 0xffff, v138
	v_and_b32_e32 v216, 0xffff, v139
	ds_load_2addr_b64 v[60:63], v109 offset0:192 offset1:224
	v_mul_u32_u24_e32 v183, 0x10001, v211
	v_mul_u32_u24_e32 v184, 0x10001, v209
	;; [unrolled: 1-line block ×4, first 2 shown]
	s_wait_dscnt 0x4
	v_pk_fma_f16 v15, v52, v179, v47
	v_pk_fma_f16 v47, v52, v180, v51
	;; [unrolled: 1-line block ×16, first 2 shown]
	v_lshrrev_b32_e32 v217, 16, v140
	v_lshrrev_b32_e32 v218, 16, v141
	v_and_b32_e32 v140, 0xffff, v140
	v_and_b32_e32 v141, 0xffff, v141
	ds_load_2addr_b64 v[24:27], v110 offset1:32
	v_mul_u32_u24_e32 v187, 0x10001, v215
	v_mul_u32_u24_e32 v188, 0x10001, v213
	v_mul_u32_u24_e32 v189, 0x10001, v216
	v_mul_u32_u24_e32 v190, 0x10001, v214
	s_wait_dscnt 0x4
	v_pk_fma_f16 v15, v16, v183, v15
	v_pk_fma_f16 v47, v16, v184, v47
	v_pk_fma_f16 v51, v16, v185, v51
	v_pk_fma_f16 v8, v16, v186, v8
	v_pk_fma_f16 v12, v17, v183, v12
	v_pk_fma_f16 v16, v17, v184, v44
	v_pk_fma_f16 v44, v17, v185, v48
	v_pk_fma_f16 v9, v17, v186, v9
	v_pk_fma_f16 v13, v18, v183, v13
	v_pk_fma_f16 v17, v18, v184, v45
	v_pk_fma_f16 v45, v18, v185, v49
	v_pk_fma_f16 v10, v18, v186, v10
	v_pk_fma_f16 v14, v19, v183, v14
	v_pk_fma_f16 v18, v19, v184, v46
	v_pk_fma_f16 v46, v19, v185, v50
	v_pk_fma_f16 v11, v19, v186, v11
	v_lshrrev_b32_e32 v219, 16, v142
	v_lshrrev_b32_e32 v220, 16, v143
	v_and_b32_e32 v142, 0xffff, v142
	v_and_b32_e32 v143, 0xffff, v143
	ds_load_2addr_b64 v[116:119], v110 offset0:64 offset1:96
	v_mul_u32_u24_e32 v140, 0x10001, v140
	v_mul_u32_u24_e32 v191, 0x10001, v217
	v_mul_u32_u24_e32 v141, 0x10001, v141
	v_mul_u32_u24_e32 v192, 0x10001, v218
	s_wait_dscnt 0x4
	v_pk_fma_f16 v15, v56, v187, v15
	v_pk_fma_f16 v19, v56, v188, v47
	v_pk_fma_f16 v47, v56, v189, v51
	v_pk_fma_f16 v8, v56, v190, v8
	v_pk_fma_f16 v12, v57, v187, v12
	v_pk_fma_f16 v16, v57, v188, v16
	v_pk_fma_f16 v44, v57, v189, v44
	v_pk_fma_f16 v9, v57, v190, v9
	v_pk_fma_f16 v13, v58, v187, v13
	v_pk_fma_f16 v17, v58, v188, v17
	v_pk_fma_f16 v45, v58, v189, v45
	v_pk_fma_f16 v10, v58, v190, v10
	v_pk_fma_f16 v14, v59, v187, v14
	v_pk_fma_f16 v18, v59, v188, v18
	v_pk_fma_f16 v46, v59, v189, v46
	v_pk_fma_f16 v11, v59, v190, v11
	v_lshrrev_b32_e32 v221, 16, v144
	v_lshrrev_b32_e32 v222, 16, v145
	v_and_b32_e32 v144, 0xffff, v144
	v_and_b32_e32 v145, 0xffff, v145
	ds_load_2addr_b64 v[28:31], v110 offset0:128 offset1:160
	;; [unrolled: 26-line block ×3, first 2 shown]
	v_mul_u32_u24_e32 v144, 0x10001, v144
	v_mul_u32_u24_e32 v195, 0x10001, v221
	;; [unrolled: 1-line block ×4, first 2 shown]
	s_wait_dscnt 0x4
	v_pk_fma_f16 v15, v60, v142, v15
	v_pk_fma_f16 v19, v60, v193, v19
	;; [unrolled: 1-line block ×16, first 2 shown]
	v_lshrrev_b32_e32 v225, 16, v148
	v_lshrrev_b32_e32 v226, 16, v149
	v_and_b32_e32 v148, 0xffff, v148
	v_and_b32_e32 v149, 0xffff, v149
	ds_load_2addr_b64 v[32:35], v111 offset1:32
	v_mul_u32_u24_e32 v146, 0x10001, v146
	v_mul_u32_u24_e32 v197, 0x10001, v223
	v_mul_u32_u24_e32 v147, 0x10001, v147
	v_mul_u32_u24_e32 v198, 0x10001, v224
	s_wait_dscnt 0x4
	v_pk_fma_f16 v15, v24, v144, v15
	v_pk_fma_f16 v19, v24, v195, v19
	v_pk_fma_f16 v23, v24, v145, v23
	v_pk_fma_f16 v8, v24, v196, v8
	v_pk_fma_f16 v12, v25, v144, v12
	v_pk_fma_f16 v16, v25, v195, v16
	v_pk_fma_f16 v20, v25, v145, v20
	v_pk_fma_f16 v9, v25, v196, v9
	v_pk_fma_f16 v13, v26, v144, v13
	v_pk_fma_f16 v17, v26, v195, v17
	v_pk_fma_f16 v21, v26, v145, v21
	v_pk_fma_f16 v10, v26, v196, v10
	v_pk_fma_f16 v14, v27, v144, v14
	v_pk_fma_f16 v18, v27, v195, v18
	v_pk_fma_f16 v22, v27, v145, v22
	v_pk_fma_f16 v11, v27, v196, v11
	v_lshrrev_b32_e32 v227, 16, v150
	v_lshrrev_b32_e32 v228, 16, v151
	v_and_b32_e32 v150, 0xffff, v150
	v_and_b32_e32 v151, 0xffff, v151
	ds_load_2addr_b64 v[124:127], v111 offset0:64 offset1:96
	v_mul_u32_u24_e32 v148, 0x10001, v148
	v_mul_u32_u24_e32 v199, 0x10001, v225
	v_mul_u32_u24_e32 v149, 0x10001, v149
	v_mul_u32_u24_e32 v200, 0x10001, v226
	s_wait_dscnt 0x4
	v_pk_fma_f16 v15, v116, v146, v15
	v_pk_fma_f16 v19, v116, v197, v19
	v_pk_fma_f16 v23, v116, v147, v23
	v_pk_fma_f16 v8, v116, v198, v8
	v_pk_fma_f16 v12, v117, v146, v12
	v_pk_fma_f16 v16, v117, v197, v16
	v_pk_fma_f16 v20, v117, v147, v20
	v_pk_fma_f16 v9, v117, v198, v9
	v_pk_fma_f16 v13, v118, v146, v13
	v_pk_fma_f16 v17, v118, v197, v17
	v_pk_fma_f16 v21, v118, v147, v21
	v_pk_fma_f16 v10, v118, v198, v10
	v_pk_fma_f16 v14, v119, v146, v14
	v_pk_fma_f16 v18, v119, v197, v18
	v_pk_fma_f16 v22, v119, v147, v22
	v_pk_fma_f16 v11, v119, v198, v11
	v_lshrrev_b32_e32 v229, 16, v152
	v_lshrrev_b32_e32 v230, 16, v153
	v_and_b32_e32 v152, 0xffff, v152
	v_and_b32_e32 v153, 0xffff, v153
	ds_load_2addr_b64 v[36:39], v111 offset0:128 offset1:160
	;; [unrolled: 26-line block ×3, first 2 shown]
	v_mul_u32_u24_e32 v152, 0x10001, v152
	v_mul_u32_u24_e32 v203, 0x10001, v229
	;; [unrolled: 1-line block ×4, first 2 shown]
	s_wait_dscnt 0x4
	v_pk_fma_f16 v15, v120, v150, v15
	v_pk_fma_f16 v19, v120, v201, v19
	;; [unrolled: 1-line block ×16, first 2 shown]
	v_lshrrev_b32_e32 v233, 16, v156
	v_lshrrev_b32_e32 v234, 16, v157
	v_and_b32_e32 v156, 0xffff, v156
	v_and_b32_e32 v157, 0xffff, v157
	ds_load_2addr_b64 v[40:43], v102 offset1:32
	v_mul_u32_u24_e32 v154, 0x10001, v154
	v_mul_u32_u24_e32 v205, 0x10001, v231
	;; [unrolled: 1-line block ×4, first 2 shown]
	s_wait_dscnt 0x4
	v_pk_fma_f16 v15, v32, v152, v15
	v_pk_fma_f16 v19, v32, v203, v19
	v_pk_fma_f16 v23, v32, v153, v23
	v_pk_fma_f16 v8, v32, v204, v8
	v_pk_fma_f16 v12, v33, v152, v12
	v_pk_fma_f16 v16, v33, v203, v16
	v_pk_fma_f16 v20, v33, v153, v20
	v_pk_fma_f16 v9, v33, v204, v9
	v_pk_fma_f16 v13, v34, v152, v13
	v_pk_fma_f16 v17, v34, v203, v17
	v_pk_fma_f16 v21, v34, v153, v21
	v_pk_fma_f16 v10, v34, v204, v10
	v_pk_fma_f16 v14, v35, v152, v14
	v_pk_fma_f16 v18, v35, v203, v18
	v_pk_fma_f16 v22, v35, v153, v22
	v_pk_fma_f16 v11, v35, v204, v11
	v_lshrrev_b32_e32 v235, 16, v158
	v_lshrrev_b32_e32 v236, 16, v159
	v_and_b32_e32 v158, 0xffff, v158
	v_and_b32_e32 v159, 0xffff, v159
	ds_load_2addr_b64 v[132:135], v102 offset0:64 offset1:96
	v_mul_u32_u24_e32 v156, 0x10001, v156
	v_mul_u32_u24_e32 v207, 0x10001, v233
	;; [unrolled: 1-line block ×4, first 2 shown]
	s_wait_dscnt 0x4
	v_pk_fma_f16 v15, v124, v154, v15
	v_pk_fma_f16 v19, v124, v205, v19
	;; [unrolled: 1-line block ×16, first 2 shown]
	v_lshrrev_b32_e32 v237, 16, v160
	v_lshrrev_b32_e32 v238, 16, v161
	v_and_b32_e32 v160, 0xffff, v160
	v_and_b32_e32 v161, 0xffff, v161
	ds_load_2addr_b64 v[4:7], v102 offset0:128 offset1:160
	v_mul_u32_u24_e32 v158, 0x10001, v158
	v_mul_u32_u24_e32 v209, 0x10001, v235
	;; [unrolled: 1-line block ×4, first 2 shown]
	s_wait_dscnt 0x4
	v_pk_fma_f16 v15, v36, v156, v15
	v_pk_fma_f16 v19, v36, v207, v19
	;; [unrolled: 1-line block ×16, first 2 shown]
	ds_load_2addr_b64 v[136:139], v102 offset0:192 offset1:224
	s_wait_loadcnt_dscnt 0x0
	s_barrier_signal -1
	s_barrier_wait -1
	global_inv scope:SCOPE_SE
	s_load_b32 s2, s[44:45], 0x4
	v_lshrrev_b32_e32 v239, 16, v162
	v_lshrrev_b32_e32 v240, 16, v163
	v_and_b32_e32 v162, 0xffff, v162
	v_and_b32_e32 v163, 0xffff, v163
	v_mul_u32_u24_e32 v160, 0x10001, v160
	v_mul_u32_u24_e32 v211, 0x10001, v237
	v_mul_u32_u24_e32 v161, 0x10001, v161
	v_mul_u32_u24_e32 v212, 0x10001, v238
	v_pk_fma_f16 v15, v128, v158, v15
	v_pk_fma_f16 v19, v128, v209, v19
	v_pk_fma_f16 v23, v128, v159, v23
	v_pk_fma_f16 v8, v128, v210, v8
	v_pk_fma_f16 v12, v129, v158, v12
	v_pk_fma_f16 v16, v129, v209, v16
	v_pk_fma_f16 v20, v129, v159, v20
	v_pk_fma_f16 v9, v129, v210, v9
	v_pk_fma_f16 v13, v130, v158, v13
	v_pk_fma_f16 v17, v130, v209, v17
	v_pk_fma_f16 v21, v130, v159, v21
	v_pk_fma_f16 v10, v130, v210, v10
	v_pk_fma_f16 v14, v131, v158, v14
	v_pk_fma_f16 v18, v131, v209, v18
	v_pk_fma_f16 v22, v131, v159, v22
	v_pk_fma_f16 v11, v131, v210, v11
	v_lshrrev_b32_e32 v241, 16, v164
	v_lshrrev_b32_e32 v242, 16, v165
	v_and_b32_e32 v164, 0xffff, v164
	v_and_b32_e32 v165, 0xffff, v165
	v_mul_u32_u24_e32 v162, 0x10001, v162
	v_mul_u32_u24_e32 v213, 0x10001, v239
	v_mul_u32_u24_e32 v163, 0x10001, v163
	v_mul_u32_u24_e32 v214, 0x10001, v240
	v_pk_fma_f16 v15, v40, v160, v15
	v_pk_fma_f16 v19, v40, v211, v19
	v_pk_fma_f16 v23, v40, v161, v23
	v_pk_fma_f16 v8, v40, v212, v8
	v_pk_fma_f16 v12, v41, v160, v12
	v_pk_fma_f16 v16, v41, v211, v16
	v_pk_fma_f16 v20, v41, v161, v20
	v_pk_fma_f16 v9, v41, v212, v9
	v_pk_fma_f16 v13, v42, v160, v13
	v_pk_fma_f16 v17, v42, v211, v17
	v_pk_fma_f16 v21, v42, v161, v21
	v_pk_fma_f16 v10, v42, v212, v10
	v_pk_fma_f16 v14, v43, v160, v14
	v_pk_fma_f16 v18, v43, v211, v18
	v_pk_fma_f16 v22, v43, v161, v22
	v_pk_fma_f16 v11, v43, v212, v11
	;; [unrolled: 24-line block ×3, first 2 shown]
	v_mul_u32_u24_e32 v166, 0x10001, v166
	v_mul_u32_u24_e32 v217, 0x10001, v243
	;; [unrolled: 1-line block ×4, first 2 shown]
	v_pk_fma_f16 v15, v4, v164, v15
	v_pk_fma_f16 v19, v4, v215, v19
	;; [unrolled: 1-line block ×16, first 2 shown]
	s_wait_kmcnt 0x0
	s_lshl_b32 s2, s2, 6
	v_pk_fma_f16 v38, v136, v166, v15
	v_pk_fma_f16 v35, v136, v217, v19
	;; [unrolled: 1-line block ×16, first 2 shown]
	s_wait_alu 0xfffe
	s_add_co_i32 s18, s2, s18
	s_wait_alu 0xfffe
	s_cmp_ge_i32 s18, s34
	s_cbranch_scc0 .LBB13_9
; %bb.10:
	s_clause 0x1
	scratch_load_b64 v[59:60], off, off offset:68
	scratch_load_b64 v[57:58], off, off offset:60
	v_dual_mov_b32 v4, 32 :: v_dual_mov_b32 v5, v104
	s_wait_loadcnt 0x1
	v_lshlrev_b32_e32 v56, 2, v59
.LBB13_11:
	s_delay_alu instid0(VALU_DEP_2)
	v_cmp_lt_i32_e32 vcc_lo, v86, v4
	s_cmp_lg_u64 s[16:17], 0
	s_cselect_b32 s2, -1, 0
	s_cmp_eq_u32 s14, 0
	s_wait_alu 0xfffd
	v_cndmask_b32_e32 v6, v5, v86, vcc_lo
	v_cmp_lt_i32_e32 vcc_lo, v91, v4
	s_cselect_b32 s3, -1, 0
	s_wait_alu 0xfffe
	s_and_b32 s2, s3, s2
	v_lshlrev_b32_e32 v6, 2, v6
	s_wait_alu 0xfffd
	v_cndmask_b32_e32 v10, v5, v91, vcc_lo
	v_cmp_lt_i32_e32 vcc_lo, v90, v4
	ds_bpermute_b32 v7, v6, v113
	s_wait_alu 0xfffd
	v_cndmask_b32_e32 v14, v5, v90, vcc_lo
	v_cmp_lt_i32_e32 vcc_lo, v89, v4
	s_wait_dscnt 0x0
	s_delay_alu instid0(VALU_DEP_2)
	v_dual_add_f32 v7, v113, v7 :: v_dual_lshlrev_b32 v14, 2, v14
	ds_bpermute_b32 v9, v6, v115
	v_lshlrev_b32_e32 v10, 2, v10
	ds_bpermute_b32 v8, v6, v114
	ds_bpermute_b32 v6, v6, v112
	;; [unrolled: 1-line block ×3, first 2 shown]
	s_wait_dscnt 0x3
	v_add_f32_e32 v9, v115, v9
	s_wait_dscnt 0x0
	v_add_f32_e32 v7, v7, v11
	ds_bpermute_b32 v13, v10, v9
	s_wait_dscnt 0x0
	v_dual_add_f32 v8, v114, v8 :: v_dual_add_f32 v9, v9, v13
	ds_bpermute_b32 v12, v10, v8
	s_wait_dscnt 0x0
	v_add_f32_e32 v8, v8, v12
	ds_bpermute_b32 v12, v14, v9
	s_wait_dscnt 0x0
	v_dual_add_f32 v6, v112, v6 :: v_dual_add_f32 v9, v9, v12
	ds_bpermute_b32 v10, v10, v6
	s_wait_dscnt 0x0
	v_add_f32_e32 v6, v6, v10
	ds_bpermute_b32 v10, v14, v7
	ds_bpermute_b32 v13, v14, v6
	s_wait_dscnt 0x1
	v_add_f32_e32 v7, v7, v10
	ds_bpermute_b32 v11, v14, v8
	s_wait_alu 0xfffd
	v_cndmask_b32_e32 v14, v5, v89, vcc_lo
	v_cmp_lt_i32_e32 vcc_lo, v88, v4
	s_wait_dscnt 0x1
	v_add_f32_e32 v6, v6, v13
	s_delay_alu instid0(VALU_DEP_3)
	v_lshlrev_b32_e32 v14, 2, v14
	s_wait_alu 0xfffd
	v_cndmask_b32_e32 v4, v5, v88, vcc_lo
	s_wait_alu 0xfffe
	s_and_b32 vcc_lo, exec_lo, s2
	ds_bpermute_b32 v10, v14, v7
	ds_bpermute_b32 v12, v14, v9
	;; [unrolled: 1-line block ×3, first 2 shown]
	v_lshlrev_b32_e32 v4, 2, v4
	s_wait_dscnt 0x3
	v_add_f32_e32 v8, v8, v11
	ds_bpermute_b32 v11, v14, v8
	s_wait_dscnt 0x3
	v_add_f32_e32 v5, v7, v10
	s_wait_dscnt 0x0
	v_dual_add_f32 v7, v8, v11 :: v_dual_add_f32 v8, v9, v12
	v_add_f32_e32 v9, v6, v13
	ds_bpermute_b32 v6, v4, v5
	ds_bpermute_b32 v10, v4, v7
	ds_bpermute_b32 v11, v4, v8
	ds_bpermute_b32 v12, v4, v9
	s_wait_dscnt 0x3
	v_add_f32_e32 v4, v5, v6
	s_wait_dscnt 0x1
	v_dual_add_f32 v5, v7, v10 :: v_dual_add_f32 v6, v8, v11
	s_wait_dscnt 0x0
	v_add_f32_e32 v7, v9, v12
	s_wait_alu 0xfffe
	s_cbranch_vccz .LBB13_14
; %bb.12:
	s_ashr_i32 s31, s30, 31
	v_dual_mov_b32 v8, 0 :: v_dual_max_num_f32 v13, v1, v1
	s_lshl_b64 s[2:3], s[30:31], 2
	s_wait_alu 0xfffe
	s_add_nc_u64 s[2:3], s[16:17], s[2:3]
	global_load_b128 v[8:11], v8, s[2:3]
	v_max_num_f32_e32 v12, v0, v0
	s_wait_loadcnt 0x0
	v_dual_max_num_f32 v14, v2, v2 :: v_dual_max_num_f32 v15, v8, v8
	v_dual_max_num_f32 v17, v9, v9 :: v_dual_max_num_f32 v16, v3, v3
	;; [unrolled: 1-line block ×3, first 2 shown]
	s_delay_alu instid0(VALU_DEP_2) | instskip(NEXT) | instid1(VALU_DEP_2)
	v_dual_max_num_f32 v13, v13, v17 :: v_dual_max_num_f32 v12, v12, v15
	v_dual_max_num_f32 v14, v14, v18 :: v_dual_max_num_f32 v15, v16, v19
	s_delay_alu instid0(VALU_DEP_2) | instskip(SKIP_1) | instid1(VALU_DEP_3)
	v_dual_sub_f32 v17, v1, v13 :: v_dual_sub_f32 v16, v0, v12
	v_dual_sub_f32 v9, v9, v13 :: v_dual_sub_f32 v8, v8, v12
	;; [unrolled: 1-line block ×3, first 2 shown]
	v_dual_sub_f32 v11, v11, v15 :: v_dual_mov_b32 v0, v12
	v_dual_mov_b32 v3, v15 :: v_dual_sub_f32 v10, v10, v14
	v_dual_mov_b32 v1, v13 :: v_dual_mov_b32 v2, v14
	v_mul_f32_e32 v13, 0x3fb8aa3b, v8
	v_dual_mul_f32 v12, 0x3fb8aa3b, v16 :: v_dual_mul_f32 v15, 0x3fb8aa3b, v9
	s_delay_alu instid0(VALU_DEP_4) | instskip(NEXT) | instid1(VALU_DEP_3)
	v_dual_mul_f32 v14, 0x3fb8aa3b, v17 :: v_dual_mul_f32 v21, 0x3fb8aa3b, v10
	v_fma_f32 v42, 0x3fb8aa3b, v8, -v13
	s_delay_alu instid0(VALU_DEP_3)
	v_fma_f32 v24, 0x3fb8aa3b, v16, -v12
	v_rndne_f32_e32 v25, v12
	v_rndne_f32_e32 v43, v13
	;; [unrolled: 1-line block ×3, first 2 shown]
	v_fma_f32 v46, 0x3fb8aa3b, v9, -v15
	v_fmac_f32_e32 v24, 0x32a5705f, v16
	v_sub_f32_e32 v12, v12, v25
	v_fma_f32 v50, 0x3fb8aa3b, v10, -v21
	v_rndne_f32_e32 v51, v21
	v_dual_fmac_f32 v42, 0x32a5705f, v8 :: v_dual_sub_f32 v13, v13, v43
	s_delay_alu instid0(VALU_DEP_4)
	v_dual_sub_f32 v15, v15, v47 :: v_dual_add_f32 v12, v12, v24
	v_dual_mul_f32 v20, 0x3fb8aa3b, v18 :: v_dual_mul_f32 v23, 0x3fb8aa3b, v11
	v_fma_f32 v44, 0x3fb8aa3b, v17, -v14
	v_rndne_f32_e32 v45, v14
	v_dual_fmac_f32 v50, 0x32a5705f, v10 :: v_dual_sub_f32 v21, v21, v51
	v_dual_mul_f32 v22, 0x3fb8aa3b, v19 :: v_dual_add_f32 v13, v13, v42
	v_exp_f32_e32 v12, v12
	v_rndne_f32_e32 v55, v23
	v_cvt_i32_f32_e32 v25, v25
	v_fmac_f32_e32 v44, 0x32a5705f, v17
	v_dual_fmac_f32 v46, 0x32a5705f, v9 :: v_dual_add_f32 v21, v21, v50
	v_sub_f32_e32 v14, v14, v45
	v_exp_f32_e32 v13, v13
	v_fma_f32 v48, 0x3fb8aa3b, v18, -v20
	v_rndne_f32_e32 v49, v20
	v_fma_f32 v54, 0x3fb8aa3b, v11, -v23
	v_cvt_i32_f32_e32 v43, v43
	v_sub_f32_e32 v23, v23, v55
	v_dual_add_f32 v15, v15, v46 :: v_dual_add_f32 v14, v14, v44
	v_ldexp_f32 v12, v12, v25
	v_cmp_ngt_f32_e32 vcc_lo, 0xc2ce8ed0, v16
	v_fmac_f32_e32 v54, 0x32a5705f, v11
	v_sub_f32_e32 v20, v20, v49
	v_exp_f32_e32 v14, v14
	v_ldexp_f32 v13, v13, v43
	s_wait_alu 0xfffd
	v_cndmask_b32_e32 v12, 0, v12, vcc_lo
	v_cmp_ngt_f32_e32 vcc_lo, 0xc2ce8ed0, v8
	v_fmac_f32_e32 v48, 0x32a5705f, v18
	v_cvt_i32_f32_e32 v45, v45
	v_add_f32_e32 v23, v23, v54
	v_exp_f32_e32 v15, v15
	s_wait_alu 0xfffd
	v_dual_cndmask_b32 v13, 0, v13 :: v_dual_add_f32 v20, v20, v48
	v_cvt_i32_f32_e32 v47, v47
	v_ldexp_f32 v14, v14, v45
	v_cmp_ngt_f32_e32 vcc_lo, 0xc2ce8ed0, v17
	v_cvt_i32_f32_e32 v49, v49
	v_exp_f32_e32 v20, v20
	v_exp_f32_e32 v21, v21
	v_exp_f32_e32 v23, v23
	v_ldexp_f32 v15, v15, v47
	s_wait_alu 0xfffd
	v_cndmask_b32_e32 v14, 0, v14, vcc_lo
	v_cmp_ngt_f32_e32 vcc_lo, 0xc2ce8ed0, v9
	v_fma_f32 v52, 0x3fb8aa3b, v19, -v22
	v_rndne_f32_e32 v53, v22
	v_cvt_i32_f32_e32 v51, v51
	v_cvt_i32_f32_e32 v42, v55
	v_ldexp_f32 v20, v20, v49
	s_wait_alu 0xfffd
	v_cndmask_b32_e32 v15, 0, v15, vcc_lo
	v_cmp_ngt_f32_e32 vcc_lo, 0xc2ce8ed0, v18
	v_ldexp_f32 v21, v21, v51
	v_ldexp_f32 v23, v23, v42
	v_sub_f32_e32 v22, v22, v53
	v_cvt_i32_f32_e32 v24, v53
	s_wait_alu 0xfffd
	v_cndmask_b32_e32 v20, 0, v20, vcc_lo
	v_cmp_ngt_f32_e32 vcc_lo, 0xc2ce8ed0, v10
	s_wait_alu 0xfffd
	v_dual_fmac_f32 v52, 0x32a5705f, v19 :: v_dual_cndmask_b32 v21, 0, v21
	s_delay_alu instid0(VALU_DEP_1) | instskip(SKIP_1) | instid1(VALU_DEP_2)
	v_add_f32_e32 v22, v22, v52
	v_cmp_ngt_f32_e32 vcc_lo, 0xc2ce8ed0, v19
	v_exp_f32_e32 v22, v22
	s_delay_alu instid0(TRANS32_DEP_1) | instskip(SKIP_1) | instid1(VALU_DEP_1)
	v_ldexp_f32 v22, v22, v24
	s_wait_alu 0xfffd
	v_cndmask_b32_e32 v22, 0, v22, vcc_lo
	v_cmp_ngt_f32_e32 vcc_lo, 0xc2ce8ed0, v11
	s_wait_alu 0xfffd
	v_cndmask_b32_e32 v23, 0, v23, vcc_lo
	v_cmp_nlt_f32_e32 vcc_lo, 0x42b17218, v16
	s_wait_alu 0xfffd
	v_cndmask_b32_e32 v12, 0x7f800000, v12, vcc_lo
	v_cmp_nlt_f32_e32 vcc_lo, 0x42b17218, v8
	;; [unrolled: 3-line block ×3, first 2 shown]
	s_wait_alu 0xfffd
	s_delay_alu instid0(VALU_DEP_2)
	v_dual_fmac_f32 v8, v4, v12 :: v_dual_cndmask_b32 v13, 0x7f800000, v14
	v_cmp_nlt_f32_e32 vcc_lo, 0x42b17218, v9
	v_cvt_f16_f32_e32 v4, v12
	s_wait_alu 0xfffd
	v_cndmask_b32_e32 v9, 0x7f800000, v15, vcc_lo
	v_cmp_nlt_f32_e32 vcc_lo, 0x42b17218, v18
	s_delay_alu instid0(VALU_DEP_2) | instskip(SKIP_1) | instid1(VALU_DEP_1)
	v_fmac_f32_e32 v9, v5, v13
	v_cvt_f16_f32_e32 v5, v13
	v_and_b32_e32 v13, 0xffff, v5
	s_wait_alu 0xfffd
	v_cndmask_b32_e32 v14, 0x7f800000, v20, vcc_lo
	v_cmp_nlt_f32_e32 vcc_lo, 0x42b17218, v10
	v_mov_b32_e32 v5, v9
	v_mul_u32_u24_e32 v13, 0x10001, v13
	s_wait_alu 0xfffd
	v_cndmask_b32_e32 v10, 0x7f800000, v21, vcc_lo
	v_cmp_nlt_f32_e32 vcc_lo, 0x42b17218, v19
	s_delay_alu instid0(VALU_DEP_3) | instskip(SKIP_1) | instid1(VALU_DEP_4)
	v_pk_mul_f16 v35, v35, v13
	v_pk_mul_f16 v37, v37, v13
	v_fmac_f32_e32 v10, v6, v14
	s_wait_alu 0xfffd
	v_cndmask_b32_e32 v15, 0x7f800000, v22, vcc_lo
	v_cmp_nlt_f32_e32 vcc_lo, 0x42b17218, v11
	v_cvt_f16_f32_e32 v6, v14
	v_pk_mul_f16 v34, v34, v13
	v_pk_mul_f16 v36, v36, v13
	v_cvt_f16_f32_e32 v12, v15
	s_wait_alu 0xfffd
	v_cndmask_b32_e32 v11, 0x7f800000, v23, vcc_lo
	v_and_b32_e32 v14, 0xffff, v6
	v_mov_b32_e32 v6, v10
	s_delay_alu instid0(VALU_DEP_3) | instskip(SKIP_1) | instid1(VALU_DEP_4)
	v_dual_fmac_f32 v11, v7, v15 :: v_dual_and_b32 v12, 0xffff, v12
	v_and_b32_e32 v7, 0xffff, v4
	v_mul_u32_u24_e32 v14, 0x10001, v14
	v_mov_b32_e32 v4, v8
	s_delay_alu instid0(VALU_DEP_4) | instskip(NEXT) | instid1(VALU_DEP_4)
	v_mul_u32_u24_e32 v12, 0x10001, v12
	v_mul_u32_u24_e32 v7, 0x10001, v7
	s_delay_alu instid0(VALU_DEP_4)
	v_pk_mul_f16 v28, v28, v14
	v_pk_mul_f16 v31, v31, v14
	v_pk_mul_f16 v27, v27, v14
	v_pk_mul_f16 v29, v29, v14
	v_pk_mul_f16 v38, v38, v7
	v_pk_mul_f16 v41, v41, v7
	v_pk_mul_f16 v39, v39, v7
	v_pk_mul_f16 v40, v40, v7
	v_pk_mul_f16 v32, v32, v12
	v_pk_mul_f16 v33, v33, v12
	v_pk_mul_f16 v30, v30, v12
	v_pk_mul_f16 v26, v26, v12
	v_mov_b32_e32 v7, v11
	s_mov_b32 s2, exec_lo
	v_cmpx_gt_i32_e64 s26, v57
	s_cbranch_execnz .LBB13_15
.LBB13_13:
	s_nop 0
	s_sendmsg sendmsg(MSG_DEALLOC_VGPRS)
	s_endpgm
.LBB13_14:
	s_delay_alu instid0(VALU_DEP_1)
	v_dual_mov_b32 v11, v7 :: v_dual_mov_b32 v10, v6
	v_dual_mov_b32 v9, v5 :: v_dual_mov_b32 v8, v4
	s_mov_b32 s2, exec_lo
	s_wait_loadcnt 0x0
	v_cmpx_gt_i32_e64 s26, v57
	s_cbranch_execz .LBB13_13
.LBB13_15:
	s_load_b32 s1, s[0:1], 0xd4
	v_mov_b32_e32 v14, 1.0
	s_wait_kmcnt 0x0
	s_cmp_lg_u32 s1, 1
	s_cselect_b32 s3, -1, 0
	s_cmp_eq_u32 s1, 1
	s_cselect_b32 s2, -1, 0
	s_wait_alu 0xfffe
	s_and_b32 vcc_lo, exec_lo, s3
	s_wait_alu 0xfffe
	s_cbranch_vccnz .LBB13_17
; %bb.16:
	v_div_scale_f32 v12, null, v4, v4, 1.0
	s_delay_alu instid0(VALU_DEP_1) | instskip(NEXT) | instid1(TRANS32_DEP_1)
	v_rcp_f32_e32 v13, v12
	v_fma_f32 v14, -v12, v13, 1.0
	s_delay_alu instid0(VALU_DEP_1) | instskip(SKIP_1) | instid1(VALU_DEP_1)
	v_fmac_f32_e32 v13, v14, v13
	v_div_scale_f32 v14, vcc_lo, 1.0, v4, 1.0
	v_mul_f32_e32 v15, v14, v13
	s_delay_alu instid0(VALU_DEP_1) | instskip(NEXT) | instid1(VALU_DEP_1)
	v_fma_f32 v16, -v12, v15, v14
	v_fmac_f32_e32 v15, v16, v13
	s_delay_alu instid0(VALU_DEP_1) | instskip(SKIP_1) | instid1(VALU_DEP_1)
	v_fma_f32 v12, -v12, v15, v14
	s_wait_alu 0xfffd
	v_div_fmas_f32 v12, v12, v13, v15
	s_delay_alu instid0(VALU_DEP_1)
	v_div_fixup_f32 v14, v12, v4, 1.0
.LBB13_17:
	v_mad_co_u64_u32 v[12:13], null, s28, s26, v[57:58]
	v_lshrrev_b32_e32 v4, 16, v41
	v_cvt_f32_f16_e32 v15, v41
	v_lshrrev_b32_e32 v16, 16, v38
	v_mov_b32_e32 v24, 0
	v_lshrrev_b32_e32 v19, 16, v40
	v_lshrrev_b32_e32 v20, 16, v39
	v_mad_co_u64_u32 v[12:13], null, v12, s27, s[30:31]
	v_cvt_f32_f16_e32 v18, v38
	v_cvt_f32_f16_e32 v22, v39
	v_cvt_f32_f16_e32 v4, v4
	v_mul_f32_e32 v17, v14, v15
	v_cvt_f32_f16_e32 v16, v16
	v_cvt_f32_f16_e32 v25, v19
	v_mad_co_u64_u32 v[12:13], null, s1, v12, s[14:15]
	v_cvt_f32_f16_e32 v13, v40
	v_mul_f32_e32 v15, v14, v18
	v_mul_f32_e32 v19, v14, v22
	;; [unrolled: 1-line block ×5, first 2 shown]
	v_lshl_add_u32 v23, v12, 8, v56
	v_cvt_f32_f16_e32 v13, v20
	v_cmp_eq_u32_e32 vcc_lo, 0, v59
	v_mul_f32_e32 v18, v14, v4
	s_delay_alu instid0(VALU_DEP_4) | instskip(NEXT) | instid1(VALU_DEP_4)
	v_lshlrev_b64_e32 v[38:39], 2, v[23:24]
	v_dual_mul_f32 v20, v14, v13 :: v_dual_add_nc_u32 v23, 0x80, v23
	s_delay_alu instid0(VALU_DEP_1) | instskip(NEXT) | instid1(VALU_DEP_3)
	v_lshlrev_b64_e32 v[13:14], 2, v[23:24]
	v_add_co_u32 v23, s0, s20, v38
	s_wait_alu 0xf1ff
	s_delay_alu instid0(VALU_DEP_4) | instskip(NEXT) | instid1(VALU_DEP_3)
	v_add_co_ci_u32_e64 v24, null, s21, v39, s0
	v_add_co_u32 v13, s0, s20, v13
	s_wait_alu 0xf1ff
	v_add_co_ci_u32_e64 v14, null, s21, v14, s0
	s_and_b32 s0, vcc_lo, s3
	s_clause 0x1
	global_store_b128 v[23:24], v[15:18], off
	global_store_b128 v[13:14], v[19:22], off
	s_wait_alu 0xfffe
	s_and_saveexec_b32 s3, s0
	s_cbranch_execz .LBB13_19
; %bb.18:
	v_ashrrev_i32_e32 v13, 31, v12
	v_dual_mov_b32 v15, v0 :: v_dual_mov_b32 v16, v8
	s_delay_alu instid0(VALU_DEP_2) | instskip(NEXT) | instid1(VALU_DEP_1)
	v_lshlrev_b64_e32 v[13:14], 3, v[12:13]
	v_add_co_u32 v13, vcc_lo, s22, v13
	s_wait_alu 0xfffd
	s_delay_alu instid0(VALU_DEP_2)
	v_add_co_ci_u32_e64 v14, null, s23, v14, vcc_lo
	global_store_b64 v[13:14], v[15:16], off
.LBB13_19:
	s_wait_alu 0xfffe
	s_or_b32 exec_lo, exec_lo, s3
	v_cndmask_b32_e64 v13, 0, 1, s2
	v_mov_b32_e32 v0, 1.0
	s_and_not1_b32 vcc_lo, exec_lo, s2
	s_wait_alu 0xfffe
	s_cbranch_vccnz .LBB13_21
; %bb.20:
	v_div_scale_f32 v0, null, v5, v5, 1.0
	s_delay_alu instid0(VALU_DEP_1) | instskip(NEXT) | instid1(TRANS32_DEP_1)
	v_rcp_f32_e32 v4, v0
	v_fma_f32 v8, -v0, v4, 1.0
	s_delay_alu instid0(VALU_DEP_1) | instskip(SKIP_1) | instid1(VALU_DEP_1)
	v_fmac_f32_e32 v4, v8, v4
	v_div_scale_f32 v8, vcc_lo, 1.0, v5, 1.0
	v_mul_f32_e32 v14, v8, v4
	s_delay_alu instid0(VALU_DEP_1) | instskip(NEXT) | instid1(VALU_DEP_1)
	v_fma_f32 v15, -v0, v14, v8
	v_fmac_f32_e32 v14, v15, v4
	s_delay_alu instid0(VALU_DEP_1) | instskip(SKIP_1) | instid1(VALU_DEP_1)
	v_fma_f32 v0, -v0, v14, v8
	s_wait_alu 0xfffd
	v_div_fmas_f32 v0, v0, v4, v14
	s_delay_alu instid0(VALU_DEP_1)
	v_div_fixup_f32 v0, v0, v5, 1.0
.LBB13_21:
	v_lshrrev_b32_e32 v5, 16, v37
	v_dual_mov_b32 v19, 0 :: v_dual_add_nc_u32 v4, s1, v12
	v_lshrrev_b32_e32 v8, 16, v35
	v_cvt_f32_f16_e32 v12, v37
	s_delay_alu instid0(VALU_DEP_4) | instskip(NEXT) | instid1(VALU_DEP_4)
	v_cvt_f32_f16_e32 v5, v5
	v_lshl_add_u32 v18, v4, 8, v56
	v_cvt_f32_f16_e32 v14, v35
	v_cvt_f32_f16_e32 v8, v8
	v_mul_f32_e32 v16, v0, v12
	v_mul_f32_e32 v17, v0, v5
	v_lshlrev_b64_e32 v[20:21], 2, v[18:19]
	s_delay_alu instid0(VALU_DEP_4) | instskip(SKIP_3) | instid1(VALU_DEP_4)
	v_dual_mul_f32 v15, v0, v8 :: v_dual_add_nc_u32 v18, 0x80, v18
	v_lshrrev_b32_e32 v5, 16, v36
	v_lshrrev_b32_e32 v8, 16, v34
	v_cvt_f32_f16_e32 v12, v36
	v_lshlrev_b64_e32 v[24:25], 2, v[18:19]
	v_cvt_f32_f16_e32 v34, v34
	v_cvt_f32_f16_e32 v5, v5
	;; [unrolled: 1-line block ×3, first 2 shown]
	v_add_co_u32 v22, vcc_lo, s20, v20
	s_wait_alu 0xfffd
	v_add_co_ci_u32_e64 v23, null, s21, v21, vcc_lo
	v_add_co_u32 v24, vcc_lo, s20, v24
	v_mul_f32_e32 v14, v0, v14
	v_mul_f32_e32 v21, v0, v5
	;; [unrolled: 1-line block ×5, first 2 shown]
	s_wait_alu 0xfffd
	v_add_co_ci_u32_e64 v25, null, s21, v25, vcc_lo
	s_clause 0x1
	global_store_b128 v[22:23], v[14:17], off
	global_store_b128 v[24:25], v[18:21], off
	s_and_saveexec_b32 s2, s0
	s_cbranch_execz .LBB13_23
; %bb.22:
	v_ashrrev_i32_e32 v5, 31, v4
	v_mov_b32_e32 v8, v1
	s_delay_alu instid0(VALU_DEP_2) | instskip(NEXT) | instid1(VALU_DEP_1)
	v_lshlrev_b64_e32 v[14:15], 3, v[4:5]
	v_add_co_u32 v14, vcc_lo, s22, v14
	s_wait_alu 0xfffd
	s_delay_alu instid0(VALU_DEP_2)
	v_add_co_ci_u32_e64 v15, null, s23, v15, vcc_lo
	global_store_b64 v[14:15], v[8:9], off
.LBB13_23:
	s_wait_alu 0xfffe
	s_or_b32 exec_lo, exec_lo, s2
	v_cmp_ne_u32_e32 vcc_lo, 1, v13
	v_mov_b32_e32 v1, 1.0
	s_cbranch_vccnz .LBB13_25
; %bb.24:
	v_div_scale_f32 v0, null, v6, v6, 1.0
	s_delay_alu instid0(VALU_DEP_1) | instskip(NEXT) | instid1(TRANS32_DEP_1)
	v_rcp_f32_e32 v1, v0
	v_fma_f32 v5, -v0, v1, 1.0
	s_delay_alu instid0(VALU_DEP_1) | instskip(SKIP_1) | instid1(VALU_DEP_1)
	v_fmac_f32_e32 v1, v5, v1
	v_div_scale_f32 v5, vcc_lo, 1.0, v6, 1.0
	v_mul_f32_e32 v8, v5, v1
	s_delay_alu instid0(VALU_DEP_1) | instskip(NEXT) | instid1(VALU_DEP_1)
	v_fma_f32 v9, -v0, v8, v5
	v_fmac_f32_e32 v8, v9, v1
	s_delay_alu instid0(VALU_DEP_1) | instskip(SKIP_1) | instid1(VALU_DEP_1)
	v_fma_f32 v0, -v0, v8, v5
	s_wait_alu 0xfffd
	v_div_fmas_f32 v0, v0, v1, v8
	s_delay_alu instid0(VALU_DEP_1)
	v_div_fixup_f32 v1, v0, v6, 1.0
.LBB13_25:
	v_lshrrev_b32_e32 v6, 16, v31
	v_dual_mov_b32 v5, 0 :: v_dual_add_nc_u32 v0, s1, v4
	v_lshrrev_b32_e32 v8, 16, v28
	v_cvt_f32_f16_e32 v9, v31
	s_delay_alu instid0(VALU_DEP_4) | instskip(NEXT) | instid1(VALU_DEP_4)
	v_cvt_f32_f16_e32 v6, v6
	v_lshl_add_u32 v4, v0, 8, v56
	v_cvt_f32_f16_e32 v14, v28
	v_cvt_f32_f16_e32 v12, v8
	v_mul_f32_e32 v16, v1, v9
	v_mul_f32_e32 v17, v1, v6
	v_lshlrev_b64_e32 v[8:9], 2, v[4:5]
	v_add_nc_u32_e32 v4, 0x80, v4
	v_mul_f32_e32 v15, v1, v12
	v_lshrrev_b32_e32 v6, 16, v29
	v_lshrrev_b32_e32 v12, 16, v27
	v_cvt_f32_f16_e32 v18, v29
	v_lshlrev_b64_e32 v[4:5], 2, v[4:5]
	v_cvt_f32_f16_e32 v22, v27
	v_cvt_f32_f16_e32 v6, v6
	;; [unrolled: 1-line block ×3, first 2 shown]
	v_add_co_u32 v8, vcc_lo, s20, v8
	s_wait_alu 0xfffd
	v_add_co_ci_u32_e64 v9, null, s21, v9, vcc_lo
	v_add_co_u32 v4, vcc_lo, s20, v4
	v_mul_f32_e32 v14, v1, v14
	v_mul_f32_e32 v21, v1, v6
	;; [unrolled: 1-line block ×5, first 2 shown]
	s_wait_alu 0xfffd
	v_add_co_ci_u32_e64 v5, null, s21, v5, vcc_lo
	s_clause 0x1
	global_store_b128 v[8:9], v[14:17], off
	global_store_b128 v[4:5], v[18:21], off
	s_and_saveexec_b32 s2, s0
	s_cbranch_execz .LBB13_27
; %bb.26:
	v_ashrrev_i32_e32 v1, 31, v0
	v_mov_b32_e32 v9, v2
	s_delay_alu instid0(VALU_DEP_2) | instskip(NEXT) | instid1(VALU_DEP_1)
	v_lshlrev_b64_e32 v[4:5], 3, v[0:1]
	v_add_co_u32 v4, vcc_lo, s22, v4
	s_wait_alu 0xfffd
	s_delay_alu instid0(VALU_DEP_2)
	v_add_co_ci_u32_e64 v5, null, s23, v5, vcc_lo
	global_store_b64 v[4:5], v[9:10], off
.LBB13_27:
	s_wait_alu 0xfffe
	s_or_b32 exec_lo, exec_lo, s2
	v_cmp_ne_u32_e32 vcc_lo, 1, v13
	v_mov_b32_e32 v1, 1.0
	s_cbranch_vccnz .LBB13_29
; %bb.28:
	v_div_scale_f32 v1, null, v7, v7, 1.0
	s_delay_alu instid0(VALU_DEP_1) | instskip(NEXT) | instid1(TRANS32_DEP_1)
	v_rcp_f32_e32 v2, v1
	v_fma_f32 v4, -v1, v2, 1.0
	s_delay_alu instid0(VALU_DEP_1) | instskip(SKIP_1) | instid1(VALU_DEP_1)
	v_fmac_f32_e32 v2, v4, v2
	v_div_scale_f32 v4, vcc_lo, 1.0, v7, 1.0
	v_mul_f32_e32 v5, v4, v2
	s_delay_alu instid0(VALU_DEP_1) | instskip(NEXT) | instid1(VALU_DEP_1)
	v_fma_f32 v6, -v1, v5, v4
	v_fmac_f32_e32 v5, v6, v2
	s_delay_alu instid0(VALU_DEP_1) | instskip(SKIP_1) | instid1(VALU_DEP_1)
	v_fma_f32 v1, -v1, v5, v4
	s_wait_alu 0xfffd
	v_div_fmas_f32 v1, v1, v2, v5
	s_delay_alu instid0(VALU_DEP_1)
	v_div_fixup_f32 v1, v1, v7, 1.0
.LBB13_29:
	v_lshrrev_b32_e32 v2, 16, v33
	v_dual_mov_b32 v9, 0 :: v_dual_add_nc_u32 v0, s1, v0
	v_lshrrev_b32_e32 v4, 16, v32
	v_cvt_f32_f16_e32 v5, v33
	s_delay_alu instid0(VALU_DEP_4) | instskip(NEXT) | instid1(VALU_DEP_4)
	v_cvt_f32_f16_e32 v2, v2
	v_lshl_add_u32 v8, v0, 8, v56
	v_cvt_f32_f16_e32 v10, v32
	v_cvt_f32_f16_e32 v4, v4
	v_mul_f32_e32 v6, v1, v5
	v_mul_f32_e32 v7, v1, v2
	v_lshlrev_b64_e32 v[12:13], 2, v[8:9]
	v_add_nc_u32_e32 v8, 0x80, v8
	v_mul_f32_e32 v5, v1, v4
	v_mul_f32_e32 v4, v1, v10
	v_lshrrev_b32_e32 v2, 16, v26
	v_lshrrev_b32_e32 v10, 16, v30
	v_lshlrev_b64_e32 v[8:9], 2, v[8:9]
	v_add_co_u32 v16, vcc_lo, s20, v12
	s_delay_alu instid0(VALU_DEP_4)
	v_cvt_f32_f16_e32 v2, v2
	v_cvt_f32_f16_e32 v12, v26
	;; [unrolled: 1-line block ×4, first 2 shown]
	s_wait_alu 0xfffd
	v_add_co_ci_u32_e64 v17, null, s21, v13, vcc_lo
	v_mul_f32_e32 v15, v1, v2
	v_mul_f32_e32 v14, v1, v12
	v_mul_f32_e32 v13, v1, v10
	v_mul_f32_e32 v12, v1, v18
	v_add_co_u32 v1, vcc_lo, s20, v8
	s_wait_alu 0xfffd
	v_add_co_ci_u32_e64 v2, null, s21, v9, vcc_lo
	s_clause 0x1
	global_store_b128 v[16:17], v[4:7], off
	global_store_b128 v[1:2], v[12:15], off
	s_and_b32 exec_lo, exec_lo, s0
	s_cbranch_execz .LBB13_13
; %bb.30:
	v_ashrrev_i32_e32 v1, 31, v0
	v_mov_b32_e32 v10, v3
	s_delay_alu instid0(VALU_DEP_2) | instskip(NEXT) | instid1(VALU_DEP_1)
	v_lshlrev_b64_e32 v[0:1], 3, v[0:1]
	v_add_co_u32 v0, vcc_lo, s22, v0
	s_wait_alu 0xfffd
	s_delay_alu instid0(VALU_DEP_2)
	v_add_co_ci_u32_e64 v1, null, s23, v1, vcc_lo
	global_store_b64 v[0:1], v[10:11], off
	s_nop 0
	s_sendmsg sendmsg(MSG_DEALLOC_VGPRS)
	s_endpgm
	.section	.rodata,"a",@progbits
	.p2align	6, 0x0
	.amdhsa_kernel _ZL15flash_attn_tileILi256ELi256ELi8ELi4ELb0EEvPKcS1_S1_S1_S1_PKiPfP15HIP_vector_typeIfLj2EEffffjfiS5_IjLj3EEiiiiiiiiiiiliiliiiiil
		.amdhsa_group_segment_fixed_size 37888
		.amdhsa_private_segment_fixed_size 80
		.amdhsa_kernarg_size 464
		.amdhsa_user_sgpr_count 2
		.amdhsa_user_sgpr_dispatch_ptr 0
		.amdhsa_user_sgpr_queue_ptr 0
		.amdhsa_user_sgpr_kernarg_segment_ptr 1
		.amdhsa_user_sgpr_dispatch_id 0
		.amdhsa_user_sgpr_private_segment_size 0
		.amdhsa_wavefront_size32 1
		.amdhsa_uses_dynamic_stack 0
		.amdhsa_enable_private_segment 1
		.amdhsa_system_sgpr_workgroup_id_x 1
		.amdhsa_system_sgpr_workgroup_id_y 1
		.amdhsa_system_sgpr_workgroup_id_z 1
		.amdhsa_system_sgpr_workgroup_info 0
		.amdhsa_system_vgpr_workitem_id 1
		.amdhsa_next_free_vgpr 256
		.amdhsa_next_free_sgpr 46
		.amdhsa_reserve_vcc 1
		.amdhsa_float_round_mode_32 0
		.amdhsa_float_round_mode_16_64 0
		.amdhsa_float_denorm_mode_32 3
		.amdhsa_float_denorm_mode_16_64 3
		.amdhsa_fp16_overflow 0
		.amdhsa_workgroup_processor_mode 1
		.amdhsa_memory_ordered 1
		.amdhsa_forward_progress 1
		.amdhsa_inst_pref_size 192
		.amdhsa_round_robin_scheduling 0
		.amdhsa_exception_fp_ieee_invalid_op 0
		.amdhsa_exception_fp_denorm_src 0
		.amdhsa_exception_fp_ieee_div_zero 0
		.amdhsa_exception_fp_ieee_overflow 0
		.amdhsa_exception_fp_ieee_underflow 0
		.amdhsa_exception_fp_ieee_inexact 0
		.amdhsa_exception_int_div_zero 0
	.end_amdhsa_kernel
	.section	.text._ZL15flash_attn_tileILi256ELi256ELi8ELi4ELb0EEvPKcS1_S1_S1_S1_PKiPfP15HIP_vector_typeIfLj2EEffffjfiS5_IjLj3EEiiiiiiiiiiiliiliiiiil,"axG",@progbits,_ZL15flash_attn_tileILi256ELi256ELi8ELi4ELb0EEvPKcS1_S1_S1_S1_PKiPfP15HIP_vector_typeIfLj2EEffffjfiS5_IjLj3EEiiiiiiiiiiiliiliiiiil,comdat
.Lfunc_end13:
	.size	_ZL15flash_attn_tileILi256ELi256ELi8ELi4ELb0EEvPKcS1_S1_S1_S1_PKiPfP15HIP_vector_typeIfLj2EEffffjfiS5_IjLj3EEiiiiiiiiiiiliiliiiiil, .Lfunc_end13-_ZL15flash_attn_tileILi256ELi256ELi8ELi4ELb0EEvPKcS1_S1_S1_S1_PKiPfP15HIP_vector_typeIfLj2EEffffjfiS5_IjLj3EEiiiiiiiiiiiliiliiiiil
                                        ; -- End function
	.set _ZL15flash_attn_tileILi256ELi256ELi8ELi4ELb0EEvPKcS1_S1_S1_S1_PKiPfP15HIP_vector_typeIfLj2EEffffjfiS5_IjLj3EEiiiiiiiiiiiliiliiiiil.num_vgpr, 256
	.set _ZL15flash_attn_tileILi256ELi256ELi8ELi4ELb0EEvPKcS1_S1_S1_S1_PKiPfP15HIP_vector_typeIfLj2EEffffjfiS5_IjLj3EEiiiiiiiiiiiliiliiiiil.num_agpr, 0
	.set _ZL15flash_attn_tileILi256ELi256ELi8ELi4ELb0EEvPKcS1_S1_S1_S1_PKiPfP15HIP_vector_typeIfLj2EEffffjfiS5_IjLj3EEiiiiiiiiiiiliiliiiiil.numbered_sgpr, 46
	.set _ZL15flash_attn_tileILi256ELi256ELi8ELi4ELb0EEvPKcS1_S1_S1_S1_PKiPfP15HIP_vector_typeIfLj2EEffffjfiS5_IjLj3EEiiiiiiiiiiiliiliiiiil.num_named_barrier, 0
	.set _ZL15flash_attn_tileILi256ELi256ELi8ELi4ELb0EEvPKcS1_S1_S1_S1_PKiPfP15HIP_vector_typeIfLj2EEffffjfiS5_IjLj3EEiiiiiiiiiiiliiliiiiil.private_seg_size, 80
	.set _ZL15flash_attn_tileILi256ELi256ELi8ELi4ELb0EEvPKcS1_S1_S1_S1_PKiPfP15HIP_vector_typeIfLj2EEffffjfiS5_IjLj3EEiiiiiiiiiiiliiliiiiil.uses_vcc, 1
	.set _ZL15flash_attn_tileILi256ELi256ELi8ELi4ELb0EEvPKcS1_S1_S1_S1_PKiPfP15HIP_vector_typeIfLj2EEffffjfiS5_IjLj3EEiiiiiiiiiiiliiliiiiil.uses_flat_scratch, 1
	.set _ZL15flash_attn_tileILi256ELi256ELi8ELi4ELb0EEvPKcS1_S1_S1_S1_PKiPfP15HIP_vector_typeIfLj2EEffffjfiS5_IjLj3EEiiiiiiiiiiiliiliiiiil.has_dyn_sized_stack, 0
	.set _ZL15flash_attn_tileILi256ELi256ELi8ELi4ELb0EEvPKcS1_S1_S1_S1_PKiPfP15HIP_vector_typeIfLj2EEffffjfiS5_IjLj3EEiiiiiiiiiiiliiliiiiil.has_recursion, 0
	.set _ZL15flash_attn_tileILi256ELi256ELi8ELi4ELb0EEvPKcS1_S1_S1_S1_PKiPfP15HIP_vector_typeIfLj2EEffffjfiS5_IjLj3EEiiiiiiiiiiiliiliiiiil.has_indirect_call, 0
	.section	.AMDGPU.csdata,"",@progbits
; Kernel info:
; codeLenInByte = 24528
; TotalNumSgprs: 48
; NumVgprs: 256
; ScratchSize: 80
; MemoryBound: 0
; FloatMode: 240
; IeeeMode: 1
; LDSByteSize: 37888 bytes/workgroup (compile time only)
; SGPRBlocks: 0
; VGPRBlocks: 31
; NumSGPRsForWavesPerEU: 48
; NumVGPRsForWavesPerEU: 256
; Occupancy: 5
; WaveLimiterHint : 1
; COMPUTE_PGM_RSRC2:SCRATCH_EN: 1
; COMPUTE_PGM_RSRC2:USER_SGPR: 2
; COMPUTE_PGM_RSRC2:TRAP_HANDLER: 0
; COMPUTE_PGM_RSRC2:TGID_X_EN: 1
; COMPUTE_PGM_RSRC2:TGID_Y_EN: 1
; COMPUTE_PGM_RSRC2:TGID_Z_EN: 1
; COMPUTE_PGM_RSRC2:TIDIG_COMP_CNT: 1
	.section	.text._ZL25flash_attn_mask_to_KV_maxILi8EEvPK7__half2Piiii,"axG",@progbits,_ZL25flash_attn_mask_to_KV_maxILi8EEvPK7__half2Piiii,comdat
	.globl	_ZL25flash_attn_mask_to_KV_maxILi8EEvPK7__half2Piiii ; -- Begin function _ZL25flash_attn_mask_to_KV_maxILi8EEvPK7__half2Piiii
	.p2align	8
	.type	_ZL25flash_attn_mask_to_KV_maxILi8EEvPK7__half2Piiii,@function
_ZL25flash_attn_mask_to_KV_maxILi8EEvPK7__half2Piiii: ; @_ZL25flash_attn_mask_to_KV_maxILi8EEvPK7__half2Piiii
; %bb.0:
	s_load_b64 s[8:9], s[0:1], 0x0
	s_mov_b32 s2, exec_lo
	v_cmpx_gt_u32_e32 32, v0
; %bb.1:
	v_dual_mov_b32 v2, 1 :: v_dual_lshlrev_b32 v1, 2, v0
	ds_store_b32 v1, v2
; %bb.2:
	s_or_b32 exec_lo, exec_lo, s2
	s_clause 0x2
	s_load_b96 s[4:6], s[0:1], 0x10
	s_load_b64 s[2:3], s[0:1], 0x8
	s_load_b32 s1, s[0:1], 0x20
	v_dual_mov_b32 v2, 0 :: v_dual_and_b32 v1, 31, v0
	v_lshrrev_b32_e32 v5, 3, v0
	s_wait_dscnt 0x0
	s_barrier_signal -1
	s_delay_alu instid0(VALU_DEP_2)
	v_lshlrev_b32_e32 v6, 2, v1
	s_barrier_wait -1
	global_inv scope:SCOPE_SE
	s_wait_kmcnt 0x0
	s_mul_i32 s0, ttmp9, s5
	s_mul_i32 s6, s6, ttmp7
	s_lshl_b32 s0, s0, 3
	s_delay_alu instid0(SALU_CYCLE_1) | instskip(SKIP_2) | instid1(SALU_CYCLE_1)
	s_add_co_i32 s6, s6, s0
	v_cmp_eq_u32_e64 s0, 0, v1
	s_ashr_i32 s7, s6, 31
	s_lshl_b64 s[6:7], s[6:7], 2
	s_delay_alu instid0(SALU_CYCLE_1)
	s_add_nc_u64 s[6:7], s[8:9], s[6:7]
	s_lshl_b32 s8, s4, 8
	s_branch .LBB14_4
.LBB14_3:                               ;   in Loop: Header=BB14_4 Depth=1
	s_wait_alu 0xfffe
	s_or_b32 exec_lo, exec_lo, s9
	s_wait_dscnt 0x0
	s_barrier_signal -1
	s_barrier_wait -1
	global_inv scope:SCOPE_SE
	ds_load_b32 v1, v6
	s_wait_loadcnt_dscnt 0x0
	s_barrier_signal -1
	s_barrier_wait -1
	global_inv scope:SCOPE_SE
	v_cmp_ne_u32_e32 vcc_lo, 0, v1
	s_cmp_lg_u32 vcc_lo, exec_lo
	s_cselect_b32 s9, -1, 0
	s_wait_alu 0xfffe
	s_and_b32 vcc_lo, exec_lo, s9
	s_wait_alu 0xfffe
	s_cbranch_vccnz .LBB14_36
.LBB14_4:                               ; =>This Inner Loop Header: Depth=1
	s_mov_b32 s4, s8
	s_addk_co_i32 s8, 0xff00
	s_wait_alu 0xfffe
	s_cmp_lt_i32 s8, 0
	s_cbranch_scc1 .LBB14_35
; %bb.5:                                ;   in Loop: Header=BB14_4 Depth=1
	s_lshr_b32 s9, s8, 1
	s_wait_alu 0xfffe
	v_add_nc_u32_e32 v1, s9, v0
	s_delay_alu instid0(VALU_DEP_1) | instskip(NEXT) | instid1(VALU_DEP_1)
	v_lshlrev_b64_e32 v[3:4], 2, v[1:2]
	v_add_co_u32 v3, vcc_lo, s6, v3
	s_wait_alu 0xfffd
	s_delay_alu instid0(VALU_DEP_2) | instskip(SKIP_4) | instid1(VALU_DEP_2)
	v_add_co_ci_u32_e64 v4, null, s7, v4, vcc_lo
	global_load_b32 v3, v[3:4], off
	s_wait_loadcnt 0x0
	v_lshrrev_b32_e32 v4, 16, v3
	v_cmp_class_f16_e64 s9, v3, 0x204
	v_cmp_class_f16_e64 s10, v4, 0x204
	s_and_b32 s11, s9, s10
	s_mov_b32 s10, 0
	s_wait_alu 0xfffe
	s_and_saveexec_b32 s9, s11
	s_cbranch_execz .LBB14_33
; %bb.6:                                ;   in Loop: Header=BB14_4 Depth=1
	v_add_nc_u32_e32 v3, s5, v1
	s_mov_b32 s11, 0
	s_delay_alu instid0(VALU_DEP_1) | instskip(NEXT) | instid1(VALU_DEP_1)
	v_ashrrev_i32_e32 v4, 31, v3
	v_lshlrev_b64_e32 v[7:8], 2, v[3:4]
	s_delay_alu instid0(VALU_DEP_1) | instskip(SKIP_1) | instid1(VALU_DEP_2)
	v_add_co_u32 v7, vcc_lo, s6, v7
	s_wait_alu 0xfffd
	v_add_co_ci_u32_e64 v8, null, s7, v8, vcc_lo
	global_load_b32 v1, v[7:8], off
	s_wait_loadcnt 0x0
	v_cmp_class_f16_e64 s12, v1, 0x204
	s_and_saveexec_b32 s10, s12
	s_cbranch_execz .LBB14_32
; %bb.7:                                ;   in Loop: Header=BB14_4 Depth=1
	v_lshrrev_b32_e32 v1, 16, v1
	s_mov_b32 s12, 0
	s_delay_alu instid0(VALU_DEP_1)
	v_cmp_class_f16_e64 s13, v1, 0x204
	s_and_saveexec_b32 s11, s13
	s_cbranch_execz .LBB14_31
; %bb.8:                                ;   in Loop: Header=BB14_4 Depth=1
	v_add_nc_u32_e32 v3, s5, v3
	s_mov_b32 s13, 0
	s_delay_alu instid0(VALU_DEP_1) | instskip(NEXT) | instid1(VALU_DEP_1)
	v_ashrrev_i32_e32 v4, 31, v3
	v_lshlrev_b64_e32 v[7:8], 2, v[3:4]
	s_delay_alu instid0(VALU_DEP_1) | instskip(SKIP_1) | instid1(VALU_DEP_2)
	v_add_co_u32 v7, vcc_lo, s6, v7
	s_wait_alu 0xfffd
	v_add_co_ci_u32_e64 v8, null, s7, v8, vcc_lo
	global_load_b32 v1, v[7:8], off
	s_wait_loadcnt 0x0
	v_cmp_class_f16_e64 s14, v1, 0x204
	s_and_saveexec_b32 s12, s14
	s_cbranch_execz .LBB14_30
; %bb.9:                                ;   in Loop: Header=BB14_4 Depth=1
	v_lshrrev_b32_e32 v1, 16, v1
	s_mov_b32 s14, 0
	s_delay_alu instid0(VALU_DEP_1)
	v_cmp_class_f16_e64 s15, v1, 0x204
	s_and_saveexec_b32 s13, s15
	s_cbranch_execz .LBB14_29
; %bb.10:                               ;   in Loop: Header=BB14_4 Depth=1
	v_add_nc_u32_e32 v3, s5, v3
	s_mov_b32 s15, 0
	s_delay_alu instid0(VALU_DEP_1) | instskip(NEXT) | instid1(VALU_DEP_1)
	v_ashrrev_i32_e32 v4, 31, v3
	v_lshlrev_b64_e32 v[7:8], 2, v[3:4]
	s_delay_alu instid0(VALU_DEP_1) | instskip(SKIP_1) | instid1(VALU_DEP_2)
	v_add_co_u32 v7, vcc_lo, s6, v7
	s_wait_alu 0xfffd
	v_add_co_ci_u32_e64 v8, null, s7, v8, vcc_lo
	global_load_b32 v1, v[7:8], off
	s_wait_loadcnt 0x0
	v_cmp_class_f16_e64 s16, v1, 0x204
	s_and_saveexec_b32 s14, s16
	s_cbranch_execz .LBB14_28
; %bb.11:                               ;   in Loop: Header=BB14_4 Depth=1
	v_lshrrev_b32_e32 v1, 16, v1
	s_mov_b32 s16, 0
	s_delay_alu instid0(VALU_DEP_1)
	v_cmp_class_f16_e64 s17, v1, 0x204
	s_and_saveexec_b32 s15, s17
	s_cbranch_execz .LBB14_27
; %bb.12:                               ;   in Loop: Header=BB14_4 Depth=1
	v_add_nc_u32_e32 v3, s5, v3
	s_mov_b32 s17, 0
	s_delay_alu instid0(VALU_DEP_1) | instskip(NEXT) | instid1(VALU_DEP_1)
	v_ashrrev_i32_e32 v4, 31, v3
	v_lshlrev_b64_e32 v[7:8], 2, v[3:4]
	s_delay_alu instid0(VALU_DEP_1) | instskip(SKIP_1) | instid1(VALU_DEP_2)
	v_add_co_u32 v7, vcc_lo, s6, v7
	s_wait_alu 0xfffd
	v_add_co_ci_u32_e64 v8, null, s7, v8, vcc_lo
	global_load_b32 v1, v[7:8], off
	s_wait_loadcnt 0x0
	v_cmp_class_f16_e64 s18, v1, 0x204
	s_and_saveexec_b32 s16, s18
	s_cbranch_execz .LBB14_26
; %bb.13:                               ;   in Loop: Header=BB14_4 Depth=1
	;; [unrolled: 22-line block ×4, first 2 shown]
	v_lshrrev_b32_e32 v1, 16, v1
	s_mov_b32 s22, 0
	s_delay_alu instid0(VALU_DEP_1)
	v_cmp_class_f16_e64 s23, v1, 0x204
	s_and_saveexec_b32 s21, s23
	s_cbranch_execz .LBB14_21
; %bb.18:                               ;   in Loop: Header=BB14_4 Depth=1
	v_add_nc_u32_e32 v3, s5, v3
	s_delay_alu instid0(VALU_DEP_1) | instskip(NEXT) | instid1(VALU_DEP_1)
	v_ashrrev_i32_e32 v4, 31, v3
	v_lshlrev_b64_e32 v[3:4], 2, v[3:4]
	s_delay_alu instid0(VALU_DEP_1) | instskip(SKIP_1) | instid1(VALU_DEP_2)
	v_add_co_u32 v3, vcc_lo, s6, v3
	s_wait_alu 0xfffd
	v_add_co_ci_u32_e64 v4, null, s7, v4, vcc_lo
	global_load_b32 v1, v[3:4], off
	s_wait_loadcnt 0x0
	v_cmp_class_f16_e64 s24, v1, 0x204
	s_and_saveexec_b32 s23, s24
; %bb.19:                               ;   in Loop: Header=BB14_4 Depth=1
	v_lshrrev_b32_e32 v1, 16, v1
	s_delay_alu instid0(VALU_DEP_1)
	v_cmp_class_f16_e64 s22, v1, 0x204
	s_and_b32 s22, s22, exec_lo
; %bb.20:                               ;   in Loop: Header=BB14_4 Depth=1
	s_or_b32 exec_lo, exec_lo, s23
	s_delay_alu instid0(SALU_CYCLE_1)
	s_and_b32 s22, s22, exec_lo
.LBB14_21:                              ;   in Loop: Header=BB14_4 Depth=1
	s_or_b32 exec_lo, exec_lo, s21
	s_delay_alu instid0(SALU_CYCLE_1)
	s_and_b32 s21, s22, exec_lo
.LBB14_22:                              ;   in Loop: Header=BB14_4 Depth=1
	s_or_b32 exec_lo, exec_lo, s20
	s_delay_alu instid0(SALU_CYCLE_1)
	s_and_b32 s20, s21, exec_lo
.LBB14_23:                              ;   in Loop: Header=BB14_4 Depth=1
	s_or_b32 exec_lo, exec_lo, s19
	s_delay_alu instid0(SALU_CYCLE_1)
	s_and_b32 s19, s20, exec_lo
.LBB14_24:                              ;   in Loop: Header=BB14_4 Depth=1
	s_or_b32 exec_lo, exec_lo, s18
	s_delay_alu instid0(SALU_CYCLE_1)
	s_and_b32 s18, s19, exec_lo
.LBB14_25:                              ;   in Loop: Header=BB14_4 Depth=1
	s_or_b32 exec_lo, exec_lo, s17
	s_delay_alu instid0(SALU_CYCLE_1)
	s_and_b32 s17, s18, exec_lo
.LBB14_26:                              ;   in Loop: Header=BB14_4 Depth=1
	s_or_b32 exec_lo, exec_lo, s16
	s_delay_alu instid0(SALU_CYCLE_1)
	s_and_b32 s16, s17, exec_lo
.LBB14_27:                              ;   in Loop: Header=BB14_4 Depth=1
	s_or_b32 exec_lo, exec_lo, s15
	s_delay_alu instid0(SALU_CYCLE_1)
	s_and_b32 s15, s16, exec_lo
.LBB14_28:                              ;   in Loop: Header=BB14_4 Depth=1
	s_or_b32 exec_lo, exec_lo, s14
	s_delay_alu instid0(SALU_CYCLE_1)
	s_and_b32 s14, s15, exec_lo
.LBB14_29:                              ;   in Loop: Header=BB14_4 Depth=1
	s_or_b32 exec_lo, exec_lo, s13
	s_delay_alu instid0(SALU_CYCLE_1)
	s_and_b32 s13, s14, exec_lo
.LBB14_30:                              ;   in Loop: Header=BB14_4 Depth=1
	s_or_b32 exec_lo, exec_lo, s12
	s_delay_alu instid0(SALU_CYCLE_1)
	s_and_b32 s12, s13, exec_lo
.LBB14_31:                              ;   in Loop: Header=BB14_4 Depth=1
	s_wait_alu 0xfffe
	s_or_b32 exec_lo, exec_lo, s11
	s_delay_alu instid0(SALU_CYCLE_1)
	s_and_b32 s11, s12, exec_lo
.LBB14_32:                              ;   in Loop: Header=BB14_4 Depth=1
	s_wait_alu 0xfffe
	s_or_b32 exec_lo, exec_lo, s10
	s_delay_alu instid0(SALU_CYCLE_1)
	s_and_b32 s10, s11, exec_lo
.LBB14_33:                              ;   in Loop: Header=BB14_4 Depth=1
	s_wait_alu 0xfffe
	s_or_b32 exec_lo, exec_lo, s9
	v_cndmask_b32_e64 v1, 0, 1, s10
	s_mov_b32 s11, exec_lo
	s_delay_alu instid0(VALU_DEP_1)
	v_cmp_ne_u32_e32 vcc_lo, 0, v1
	s_and_saveexec_b32 s9, s0
	s_cbranch_execz .LBB14_3
; %bb.34:                               ;   in Loop: Header=BB14_4 Depth=1
	s_wait_alu 0xfffe
	s_cmp_eq_u32 vcc_lo, s11
	s_cselect_b32 s10, -1, 0
	s_wait_alu 0xfffe
	v_cndmask_b32_e64 v1, 0, 1, s10
	ds_store_b32 v5, v1
	s_branch .LBB14_3
.LBB14_35:                              ;   in Loop: Header=BB14_4 Depth=1
	s_cbranch_execz .LBB14_4
.LBB14_36:
	s_mov_b32 s0, exec_lo
	v_cmpx_eq_u32_e32 0, v0
	s_cbranch_execz .LBB14_38
; %bb.37:
	s_mul_i32 s0, s1, ttmp7
	v_dual_mov_b32 v0, 0 :: v_dual_mov_b32 v1, s4
	s_add_co_i32 s0, s0, ttmp9
	s_delay_alu instid0(SALU_CYCLE_1) | instskip(NEXT) | instid1(SALU_CYCLE_1)
	s_ashr_i32 s1, s0, 31
	s_lshl_b64 s[0:1], s[0:1], 2
	s_delay_alu instid0(SALU_CYCLE_1)
	s_add_nc_u64 s[0:1], s[2:3], s[0:1]
	global_store_b32 v0, v1, s[0:1]
.LBB14_38:
	s_endpgm
	.section	.rodata,"a",@progbits
	.p2align	6, 0x0
	.amdhsa_kernel _ZL25flash_attn_mask_to_KV_maxILi8EEvPK7__half2Piiii
		.amdhsa_group_segment_fixed_size 128
		.amdhsa_private_segment_fixed_size 0
		.amdhsa_kernarg_size 288
		.amdhsa_user_sgpr_count 2
		.amdhsa_user_sgpr_dispatch_ptr 0
		.amdhsa_user_sgpr_queue_ptr 0
		.amdhsa_user_sgpr_kernarg_segment_ptr 1
		.amdhsa_user_sgpr_dispatch_id 0
		.amdhsa_user_sgpr_private_segment_size 0
		.amdhsa_wavefront_size32 1
		.amdhsa_uses_dynamic_stack 0
		.amdhsa_enable_private_segment 0
		.amdhsa_system_sgpr_workgroup_id_x 1
		.amdhsa_system_sgpr_workgroup_id_y 1
		.amdhsa_system_sgpr_workgroup_id_z 0
		.amdhsa_system_sgpr_workgroup_info 0
		.amdhsa_system_vgpr_workitem_id 0
		.amdhsa_next_free_vgpr 9
		.amdhsa_next_free_sgpr 25
		.amdhsa_reserve_vcc 1
		.amdhsa_float_round_mode_32 0
		.amdhsa_float_round_mode_16_64 0
		.amdhsa_float_denorm_mode_32 3
		.amdhsa_float_denorm_mode_16_64 3
		.amdhsa_fp16_overflow 0
		.amdhsa_workgroup_processor_mode 1
		.amdhsa_memory_ordered 1
		.amdhsa_forward_progress 1
		.amdhsa_inst_pref_size 12
		.amdhsa_round_robin_scheduling 0
		.amdhsa_exception_fp_ieee_invalid_op 0
		.amdhsa_exception_fp_denorm_src 0
		.amdhsa_exception_fp_ieee_div_zero 0
		.amdhsa_exception_fp_ieee_overflow 0
		.amdhsa_exception_fp_ieee_underflow 0
		.amdhsa_exception_fp_ieee_inexact 0
		.amdhsa_exception_int_div_zero 0
	.end_amdhsa_kernel
	.section	.text._ZL25flash_attn_mask_to_KV_maxILi8EEvPK7__half2Piiii,"axG",@progbits,_ZL25flash_attn_mask_to_KV_maxILi8EEvPK7__half2Piiii,comdat
.Lfunc_end14:
	.size	_ZL25flash_attn_mask_to_KV_maxILi8EEvPK7__half2Piiii, .Lfunc_end14-_ZL25flash_attn_mask_to_KV_maxILi8EEvPK7__half2Piiii
                                        ; -- End function
	.set _ZL25flash_attn_mask_to_KV_maxILi8EEvPK7__half2Piiii.num_vgpr, 9
	.set _ZL25flash_attn_mask_to_KV_maxILi8EEvPK7__half2Piiii.num_agpr, 0
	.set _ZL25flash_attn_mask_to_KV_maxILi8EEvPK7__half2Piiii.numbered_sgpr, 25
	.set _ZL25flash_attn_mask_to_KV_maxILi8EEvPK7__half2Piiii.num_named_barrier, 0
	.set _ZL25flash_attn_mask_to_KV_maxILi8EEvPK7__half2Piiii.private_seg_size, 0
	.set _ZL25flash_attn_mask_to_KV_maxILi8EEvPK7__half2Piiii.uses_vcc, 1
	.set _ZL25flash_attn_mask_to_KV_maxILi8EEvPK7__half2Piiii.uses_flat_scratch, 0
	.set _ZL25flash_attn_mask_to_KV_maxILi8EEvPK7__half2Piiii.has_dyn_sized_stack, 0
	.set _ZL25flash_attn_mask_to_KV_maxILi8EEvPK7__half2Piiii.has_recursion, 0
	.set _ZL25flash_attn_mask_to_KV_maxILi8EEvPK7__half2Piiii.has_indirect_call, 0
	.section	.AMDGPU.csdata,"",@progbits
; Kernel info:
; codeLenInByte = 1456
; TotalNumSgprs: 27
; NumVgprs: 9
; ScratchSize: 0
; MemoryBound: 0
; FloatMode: 240
; IeeeMode: 1
; LDSByteSize: 128 bytes/workgroup (compile time only)
; SGPRBlocks: 0
; VGPRBlocks: 1
; NumSGPRsForWavesPerEU: 27
; NumVGPRsForWavesPerEU: 9
; Occupancy: 16
; WaveLimiterHint : 0
; COMPUTE_PGM_RSRC2:SCRATCH_EN: 0
; COMPUTE_PGM_RSRC2:USER_SGPR: 2
; COMPUTE_PGM_RSRC2:TRAP_HANDLER: 0
; COMPUTE_PGM_RSRC2:TGID_X_EN: 1
; COMPUTE_PGM_RSRC2:TGID_Y_EN: 1
; COMPUTE_PGM_RSRC2:TGID_Z_EN: 0
; COMPUTE_PGM_RSRC2:TIDIG_COMP_CNT: 0
	.section	.text._ZL33flash_attn_stream_k_fixup_uniformILi256ELi8ELi4EEvPfPK15HIP_vector_typeIfLj2EEiiiiiiS1_IjLj3EES5_S5_,"axG",@progbits,_ZL33flash_attn_stream_k_fixup_uniformILi256ELi8ELi4EEvPfPK15HIP_vector_typeIfLj2EEiiiiiiS1_IjLj3EES5_S5_,comdat
	.globl	_ZL33flash_attn_stream_k_fixup_uniformILi256ELi8ELi4EEvPfPK15HIP_vector_typeIfLj2EEiiiiiiS1_IjLj3EES5_S5_ ; -- Begin function _ZL33flash_attn_stream_k_fixup_uniformILi256ELi8ELi4EEvPfPK15HIP_vector_typeIfLj2EEiiiiiiS1_IjLj3EES5_S5_
	.p2align	8
	.type	_ZL33flash_attn_stream_k_fixup_uniformILi256ELi8ELi4EEvPfPK15HIP_vector_typeIfLj2EEiiiiiiS1_IjLj3EES5_S5_,@function
_ZL33flash_attn_stream_k_fixup_uniformILi256ELi8ELi4EEvPfPK15HIP_vector_typeIfLj2EEiiiiiiS1_IjLj3EES5_S5_: ; @_ZL33flash_attn_stream_k_fixup_uniformILi256ELi8ELi4EEvPfPK15HIP_vector_typeIfLj2EEiiiiiiS1_IjLj3EES5_S5_
; %bb.0:
	s_clause 0x1
	s_load_b256 s[4:11], s[0:1], 0x1c
	s_load_b128 s[12:15], s[0:1], 0x3c
	s_wait_kmcnt 0x0
	s_mul_hi_u32 s2, s7, ttmp9
	s_delay_alu instid0(SALU_CYCLE_1) | instskip(NEXT) | instid1(SALU_CYCLE_1)
	s_add_co_i32 s2, ttmp9, s2
	s_lshr_b32 s2, s2, s8
	s_delay_alu instid0(SALU_CYCLE_1) | instskip(SKIP_2) | instid1(SALU_CYCLE_1)
	s_mul_i32 s3, s2, s9
	s_load_b64 s[8:9], s[0:1], 0x10
	s_sub_co_i32 s7, ttmp9, s3
	s_mul_hi_u32 s3, s7, s10
	s_delay_alu instid0(SALU_CYCLE_1) | instskip(NEXT) | instid1(SALU_CYCLE_1)
	s_add_co_i32 s3, s7, s3
	s_lshr_b32 s3, s3, s11
	s_delay_alu instid0(SALU_CYCLE_1) | instskip(NEXT) | instid1(SALU_CYCLE_1)
	s_mul_i32 s10, s3, s12
	s_sub_co_i32 s7, s7, s10
	s_delay_alu instid0(SALU_CYCLE_1) | instskip(NEXT) | instid1(SALU_CYCLE_1)
	s_mul_hi_u32 s10, s7, s13
	s_add_co_i32 s10, s7, s10
	s_delay_alu instid0(SALU_CYCLE_1) | instskip(NEXT) | instid1(SALU_CYCLE_1)
	s_lshr_b32 s12, s10, s14
	s_mul_i32 s10, s12, s15
	s_lshl_b32 s12, s12, 2
	s_sub_co_i32 s11, s7, s10
	s_and_b32 s7, ttmp7, 0xffff
	s_lshl_b32 s13, s11, 3
	s_lshr_b32 s10, ttmp7, 16
	s_add_co_i32 s13, s13, s7
	s_wait_kmcnt 0x0
	s_cmp_lt_i32 s13, s8
	s_cselect_b32 s13, -1, 0
	s_add_co_i32 s14, s12, s10
	s_delay_alu instid0(SALU_CYCLE_1) | instskip(SKIP_1) | instid1(SALU_CYCLE_1)
	s_cmp_lt_i32 s14, s5
	s_cselect_b32 s14, -1, 0
	s_and_b32 s13, s13, s14
	s_delay_alu instid0(SALU_CYCLE_1)
	s_and_not1_b32 vcc_lo, exec_lo, s13
	s_cbranch_vccnz .LBB15_6
; %bb.1:
	s_mul_i32 s2, s2, s8
	s_mul_i32 s5, s3, s5
	s_add_co_i32 s2, s2, s7
	s_delay_alu instid0(SALU_CYCLE_1) | instskip(NEXT) | instid1(SALU_CYCLE_1)
	s_mul_i32 s2, s2, s9
	s_add_co_i32 s8, s2, s10
	s_load_b128 s[0:3], s[0:1], 0x0
	s_add_co_i32 s5, s8, s5
	s_mul_i32 s8, s9, s11
	s_add_co_i32 s5, s5, s12
	s_lshl_b32 s8, s8, 11
	s_lshl_b32 s5, s5, 8
	s_delay_alu instid0(SALU_CYCLE_1)
	s_add_co_i32 s8, s8, s5
	s_lshl_b32 s5, s7, 2
	v_or_b32_e32 v1, s8, v0
	s_mul_i32 s8, s6, ttmp9
	s_wait_alu 0xfffe
	s_add_co_i32 s9, s8, s6
	s_wait_alu 0xfffe
	s_add_co_i32 s12, s9, -2
	v_ashrrev_i32_e32 v2, 31, v1
	s_delay_alu instid0(VALU_DEP_1) | instskip(SKIP_1) | instid1(VALU_DEP_1)
	v_lshlrev_b64_e32 v[1:2], 2, v[1:2]
	s_wait_kmcnt 0x0
	v_add_co_u32 v1, vcc_lo, s0, v1
	s_delay_alu instid0(VALU_DEP_1)
	v_add_co_ci_u32_e64 v2, null, s1, v2, vcc_lo
	s_add_co_i32 s0, s5, s10
	s_lshl_b32 s1, s9, 5
	global_load_b32 v5, v[1:2], off
	s_wait_alu 0xfffe
	s_add_co_i32 s0, s0, s1
	s_wait_alu 0xfffe
	s_sub_co_i32 s0, s0, 32
	s_wait_alu 0xfffe
	s_ashr_i32 s1, s0, 31
	s_wait_alu 0xfffe
	s_lshl_b64 s[0:1], s[0:1], 3
	s_cmp_lt_i32 s12, s8
	s_wait_alu 0xfffe
	s_add_nc_u64 s[0:1], s[2:3], s[0:1]
	s_load_b32 s11, s[0:1], 0x4
	s_cbranch_scc1 .LBB15_4
; %bb.2:
	s_load_b32 s0, s[0:1], 0x0
	s_add_co_i32 s13, ttmp9, 1
	s_lshl_b32 s12, s4, 7
	s_mul_i32 s1, s6, s13
	s_lshl_b32 s6, s7, 10
	s_lshl_b32 s7, s10, 8
	s_wait_alu 0xfffe
	s_lshl_b32 s14, s1, 13
	s_add_co_i32 s6, s7, s6
	s_lshl_b32 s1, s1, 5
	s_add_co_i32 s14, s6, s14
	s_wait_alu 0xfffe
	s_add_co_i32 s1, s10, s1
	v_or_b32_e32 v0, s14, v0
	s_lshl_b32 s4, s4, 5
	s_ashr_i32 s13, s12, 31
	s_wait_alu 0xfffe
	s_add_co_i32 s1, s1, s4
	s_wait_kmcnt 0x0
	v_dual_mov_b32 v6, s11 :: v_dual_add_nc_u32 v3, 0xffffc000, v0
	s_lshl_b64 s[6:7], s[12:13], 2
	s_wait_alu 0xfffe
	s_add_co_i32 s4, s1, s5
	s_add_nc_u64 s[6:7], s[2:3], s[6:7]
	s_add_co_i32 s1, s9, -1
	s_sub_co_i32 s4, s4, 64
.LBB15_3:                               ; =>This Inner Loop Header: Depth=1
	v_ashrrev_i32_e32 v4, 31, v3
	s_ashr_i32 s5, s4, 31
	v_mov_b32_e32 v10, v6
	s_lshl_b64 s[10:11], s[4:5], 3
	s_wait_loadcnt 0x0
	v_mov_b32_e32 v9, v5
	v_lshlrev_b64_e32 v[7:8], 2, v[3:4]
	s_wait_alu 0xfffe
	s_add_nc_u64 s[10:11], s[2:3], s[10:11]
	v_max_num_f32_e64 v4, s0, s0
	s_load_b64 s[10:11], s[10:11], 0x0
	v_add_nc_u32_e32 v3, 0xffffe000, v3
	v_add_co_u32 v7, vcc_lo, s6, v7
	s_wait_alu 0xfffd
	v_add_co_ci_u32_e64 v8, null, s7, v8, vcc_lo
	v_readfirstlane_b32 s5, v4
	global_load_b32 v0, v[7:8], off
	s_wait_kmcnt 0x0
	v_max_num_f32_e64 v4, s10, s10
	s_delay_alu instid0(VALU_DEP_1) | instskip(SKIP_1) | instid1(SALU_CYCLE_3)
	v_readfirstlane_b32 s9, v4
	s_max_num_f32 s5, s5, s9
	s_sub_f32 s0, s0, s5
	s_sub_f32 s9, s10, s5
	s_wait_alu 0xfffe
	s_delay_alu instid0(SALU_CYCLE_1) | instskip(NEXT) | instid1(SALU_CYCLE_1)
	s_mul_f32 s10, s0, 0x3fb8aa3b
	s_mul_f32 s12, s9, 0x3fb8aa3b
	s_wait_alu 0xfffe
	s_delay_alu instid0(SALU_CYCLE_1)
	s_xor_b32 s13, s10, 0x80000000
	s_rndne_f32 s14, s10
	s_fmamk_f32 s13, s0, 0x3fb8aa3b, s13
	s_cmp_nlt_f32 s0, 0xc2ce8ed0
	s_rndne_f32 s15, s12
	s_wait_alu 0xfffe
	s_sub_f32 s10, s10, s14
	s_fmamk_f32 s13, s0, 0x32a5705f, s13
	s_cvt_i32_f32 s14, s14
	s_cselect_b32 vcc_lo, -1, 0
	s_cmp_ngt_f32 s0, 0x42b17218
	s_wait_alu 0xfffe
	s_add_f32 s10, s10, s13
	s_sub_f32 s13, s12, s15
	s_wait_alu 0xfffe
	s_delay_alu instid0(SALU_CYCLE_1) | instskip(SKIP_1) | instid1(TRANS32_DEP_1)
	v_s_exp_f32 s10, s10
	s_wait_alu 0xf1ff
	v_ldexp_f32 v4, s10, s14
	s_cvt_i32_f32 s10, s15
	s_delay_alu instid0(VALU_DEP_1) | instskip(SKIP_3) | instid1(VALU_DEP_1)
	v_cndmask_b32_e32 v4, 0, v4, vcc_lo
	s_cselect_b32 vcc_lo, -1, 0
	s_cmp_ge_f32 s0, 0xc1a00000
	s_wait_alu 0xfffe
	v_cndmask_b32_e32 v4, 0x7f800000, v4, vcc_lo
	s_cselect_b32 vcc_lo, -1, 0
	s_xor_b32 s0, s12, 0x80000000
	s_cmp_nlt_f32 s9, 0xc2ce8ed0
	s_wait_alu 0xfffe
	s_fmamk_f32 s0, s9, 0x3fb8aa3b, s0
	s_wait_alu 0xfffe
	s_delay_alu instid0(SALU_CYCLE_2) | instskip(SKIP_1) | instid1(SALU_CYCLE_2)
	s_fmamk_f32 s0, s9, 0x32a5705f, s0
	s_wait_alu 0xfffe
	s_add_f32 s0, s13, s0
	s_wait_alu 0xfffe
	s_delay_alu instid0(SALU_CYCLE_2) | instskip(SKIP_1) | instid1(TRANS32_DEP_1)
	v_s_exp_f32 s0, s0
	s_wait_alu 0xf1ff
	v_ldexp_f32 v7, s0, s10
	s_cselect_b32 s0, -1, 0
	s_cmp_ngt_f32 s9, 0x42b17218
	s_wait_alu 0xfffe
	s_delay_alu instid0(VALU_DEP_1) | instskip(SKIP_3) | instid1(VALU_DEP_1)
	v_cndmask_b32_e64 v7, 0, v7, s0
	s_cselect_b32 s0, -1, 0
	s_cmp_ge_f32 s9, 0xc1a00000
	s_wait_alu 0xfffe
	v_cndmask_b32_e64 v7, 0x7f800000, v7, s0
	s_cselect_b32 s0, -1, 0
	s_add_co_i32 s1, s1, -1
	s_sub_co_i32 s4, s4, 32
	s_wait_alu 0xfffe
	s_cmp_le_i32 s1, s8
	v_cndmask_b32_e64 v7, 0, v7, s0
	s_mov_b32 s0, s5
	s_wait_loadcnt 0x0
	s_delay_alu instid0(VALU_DEP_1) | instskip(NEXT) | instid1(VALU_DEP_1)
	v_dual_mul_f32 v5, v0, v7 :: v_dual_cndmask_b32 v4, 0, v4
	v_dual_mul_f32 v8, s11, v7 :: v_dual_fmac_f32 v5, v9, v4
	s_delay_alu instid0(VALU_DEP_1) | instskip(NEXT) | instid1(VALU_DEP_1)
	v_mov_b32_e32 v6, v8
	v_fmac_f32_e32 v6, v10, v4
	s_cbranch_scc0 .LBB15_3
	s_branch .LBB15_5
.LBB15_4:
	s_wait_kmcnt 0x0
	v_mov_b32_e32 v6, s11
.LBB15_5:
	s_wait_loadcnt 0x0
	s_delay_alu instid0(VALU_DEP_1) | instskip(NEXT) | instid1(VALU_DEP_1)
	v_div_scale_f32 v0, null, v6, v6, v5
	v_rcp_f32_e32 v3, v0
	s_delay_alu instid0(TRANS32_DEP_1) | instskip(NEXT) | instid1(VALU_DEP_1)
	v_fma_f32 v4, -v0, v3, 1.0
	v_fmac_f32_e32 v3, v4, v3
	v_div_scale_f32 v4, vcc_lo, v5, v6, v5
	s_delay_alu instid0(VALU_DEP_1) | instskip(NEXT) | instid1(VALU_DEP_1)
	v_mul_f32_e32 v7, v4, v3
	v_fma_f32 v8, -v0, v7, v4
	s_delay_alu instid0(VALU_DEP_1) | instskip(NEXT) | instid1(VALU_DEP_1)
	v_fmac_f32_e32 v7, v8, v3
	v_fma_f32 v0, -v0, v7, v4
	s_wait_alu 0xfffd
	s_delay_alu instid0(VALU_DEP_1) | instskip(NEXT) | instid1(VALU_DEP_1)
	v_div_fmas_f32 v0, v0, v3, v7
	v_div_fixup_f32 v0, v0, v6, v5
	global_store_b32 v[1:2], v0, off
.LBB15_6:
	s_endpgm
	.section	.rodata,"a",@progbits
	.p2align	6, 0x0
	.amdhsa_kernel _ZL33flash_attn_stream_k_fixup_uniformILi256ELi8ELi4EEvPfPK15HIP_vector_typeIfLj2EEiiiiiiS1_IjLj3EES5_S5_
		.amdhsa_group_segment_fixed_size 0
		.amdhsa_private_segment_fixed_size 0
		.amdhsa_kernarg_size 76
		.amdhsa_user_sgpr_count 2
		.amdhsa_user_sgpr_dispatch_ptr 0
		.amdhsa_user_sgpr_queue_ptr 0
		.amdhsa_user_sgpr_kernarg_segment_ptr 1
		.amdhsa_user_sgpr_dispatch_id 0
		.amdhsa_user_sgpr_private_segment_size 0
		.amdhsa_wavefront_size32 1
		.amdhsa_uses_dynamic_stack 0
		.amdhsa_enable_private_segment 0
		.amdhsa_system_sgpr_workgroup_id_x 1
		.amdhsa_system_sgpr_workgroup_id_y 1
		.amdhsa_system_sgpr_workgroup_id_z 1
		.amdhsa_system_sgpr_workgroup_info 0
		.amdhsa_system_vgpr_workitem_id 0
		.amdhsa_next_free_vgpr 11
		.amdhsa_next_free_sgpr 16
		.amdhsa_reserve_vcc 1
		.amdhsa_float_round_mode_32 0
		.amdhsa_float_round_mode_16_64 0
		.amdhsa_float_denorm_mode_32 3
		.amdhsa_float_denorm_mode_16_64 3
		.amdhsa_fp16_overflow 0
		.amdhsa_workgroup_processor_mode 1
		.amdhsa_memory_ordered 1
		.amdhsa_forward_progress 1
		.amdhsa_inst_pref_size 9
		.amdhsa_round_robin_scheduling 0
		.amdhsa_exception_fp_ieee_invalid_op 0
		.amdhsa_exception_fp_denorm_src 0
		.amdhsa_exception_fp_ieee_div_zero 0
		.amdhsa_exception_fp_ieee_overflow 0
		.amdhsa_exception_fp_ieee_underflow 0
		.amdhsa_exception_fp_ieee_inexact 0
		.amdhsa_exception_int_div_zero 0
	.end_amdhsa_kernel
	.section	.text._ZL33flash_attn_stream_k_fixup_uniformILi256ELi8ELi4EEvPfPK15HIP_vector_typeIfLj2EEiiiiiiS1_IjLj3EES5_S5_,"axG",@progbits,_ZL33flash_attn_stream_k_fixup_uniformILi256ELi8ELi4EEvPfPK15HIP_vector_typeIfLj2EEiiiiiiS1_IjLj3EES5_S5_,comdat
.Lfunc_end15:
	.size	_ZL33flash_attn_stream_k_fixup_uniformILi256ELi8ELi4EEvPfPK15HIP_vector_typeIfLj2EEiiiiiiS1_IjLj3EES5_S5_, .Lfunc_end15-_ZL33flash_attn_stream_k_fixup_uniformILi256ELi8ELi4EEvPfPK15HIP_vector_typeIfLj2EEiiiiiiS1_IjLj3EES5_S5_
                                        ; -- End function
	.set _ZL33flash_attn_stream_k_fixup_uniformILi256ELi8ELi4EEvPfPK15HIP_vector_typeIfLj2EEiiiiiiS1_IjLj3EES5_S5_.num_vgpr, 11
	.set _ZL33flash_attn_stream_k_fixup_uniformILi256ELi8ELi4EEvPfPK15HIP_vector_typeIfLj2EEiiiiiiS1_IjLj3EES5_S5_.num_agpr, 0
	.set _ZL33flash_attn_stream_k_fixup_uniformILi256ELi8ELi4EEvPfPK15HIP_vector_typeIfLj2EEiiiiiiS1_IjLj3EES5_S5_.numbered_sgpr, 16
	.set _ZL33flash_attn_stream_k_fixup_uniformILi256ELi8ELi4EEvPfPK15HIP_vector_typeIfLj2EEiiiiiiS1_IjLj3EES5_S5_.num_named_barrier, 0
	.set _ZL33flash_attn_stream_k_fixup_uniformILi256ELi8ELi4EEvPfPK15HIP_vector_typeIfLj2EEiiiiiiS1_IjLj3EES5_S5_.private_seg_size, 0
	.set _ZL33flash_attn_stream_k_fixup_uniformILi256ELi8ELi4EEvPfPK15HIP_vector_typeIfLj2EEiiiiiiS1_IjLj3EES5_S5_.uses_vcc, 1
	.set _ZL33flash_attn_stream_k_fixup_uniformILi256ELi8ELi4EEvPfPK15HIP_vector_typeIfLj2EEiiiiiiS1_IjLj3EES5_S5_.uses_flat_scratch, 0
	.set _ZL33flash_attn_stream_k_fixup_uniformILi256ELi8ELi4EEvPfPK15HIP_vector_typeIfLj2EEiiiiiiS1_IjLj3EES5_S5_.has_dyn_sized_stack, 0
	.set _ZL33flash_attn_stream_k_fixup_uniformILi256ELi8ELi4EEvPfPK15HIP_vector_typeIfLj2EEiiiiiiS1_IjLj3EES5_S5_.has_recursion, 0
	.set _ZL33flash_attn_stream_k_fixup_uniformILi256ELi8ELi4EEvPfPK15HIP_vector_typeIfLj2EEiiiiiiS1_IjLj3EES5_S5_.has_indirect_call, 0
	.section	.AMDGPU.csdata,"",@progbits
; Kernel info:
; codeLenInByte = 1140
; TotalNumSgprs: 18
; NumVgprs: 11
; ScratchSize: 0
; MemoryBound: 0
; FloatMode: 240
; IeeeMode: 1
; LDSByteSize: 0 bytes/workgroup (compile time only)
; SGPRBlocks: 0
; VGPRBlocks: 1
; NumSGPRsForWavesPerEU: 18
; NumVGPRsForWavesPerEU: 11
; Occupancy: 16
; WaveLimiterHint : 0
; COMPUTE_PGM_RSRC2:SCRATCH_EN: 0
; COMPUTE_PGM_RSRC2:USER_SGPR: 2
; COMPUTE_PGM_RSRC2:TRAP_HANDLER: 0
; COMPUTE_PGM_RSRC2:TGID_X_EN: 1
; COMPUTE_PGM_RSRC2:TGID_Y_EN: 1
; COMPUTE_PGM_RSRC2:TGID_Z_EN: 1
; COMPUTE_PGM_RSRC2:TIDIG_COMP_CNT: 0
	.section	.text._ZL33flash_attn_stream_k_fixup_generalILi256ELi8ELi4EEvPfPK15HIP_vector_typeIfLj2EEiiiiS1_IjLj3EES5_S5_S5_,"axG",@progbits,_ZL33flash_attn_stream_k_fixup_generalILi256ELi8ELi4EEvPfPK15HIP_vector_typeIfLj2EEiiiiS1_IjLj3EES5_S5_S5_,comdat
	.globl	_ZL33flash_attn_stream_k_fixup_generalILi256ELi8ELi4EEvPfPK15HIP_vector_typeIfLj2EEiiiiS1_IjLj3EES5_S5_S5_ ; -- Begin function _ZL33flash_attn_stream_k_fixup_generalILi256ELi8ELi4EEvPfPK15HIP_vector_typeIfLj2EEiiiiS1_IjLj3EES5_S5_S5_
	.p2align	8
	.type	_ZL33flash_attn_stream_k_fixup_generalILi256ELi8ELi4EEvPfPK15HIP_vector_typeIfLj2EEiiiiS1_IjLj3EES5_S5_S5_,@function
_ZL33flash_attn_stream_k_fixup_generalILi256ELi8ELi4EEvPfPK15HIP_vector_typeIfLj2EEiiiiS1_IjLj3EES5_S5_S5_: ; @_ZL33flash_attn_stream_k_fixup_generalILi256ELi8ELi4EEvPfPK15HIP_vector_typeIfLj2EEiiiiS1_IjLj3EES5_S5_S5_
; %bb.0:
	s_clause 0x1
	s_load_b128 s[4:7], s[0:1], 0x10
	s_load_b32 s16, s[0:1], 0x50
	s_mov_b32 s2, ttmp9
	s_ashr_i32 s3, ttmp9, 31
	s_mov_b32 s17, 0
	s_delay_alu instid0(SALU_CYCLE_1) | instskip(SKIP_3) | instid1(SALU_CYCLE_1)
	s_mov_b32 s8, s17
	s_wait_kmcnt 0x0
	s_ashr_i32 s19, s7, 31
	s_mov_b32 s18, s7
	s_mul_u64 s[2:3], s[18:19], s[2:3]
	s_delay_alu instid0(SALU_CYCLE_1) | instskip(NEXT) | instid1(SALU_CYCLE_1)
	s_mov_b32 s9, s3
	s_cmp_lg_u64 s[8:9], 0
	s_cbranch_scc0 .LBB16_21
; %bb.1:
	s_add_nc_u64 s[8:9], s[16:17], 0
	s_mov_b32 s15, s17
	s_xor_b64 s[8:9], s[8:9], 0
	s_mov_b32 s23, s17
	s_cvt_f32_u32 s7, s8
	s_cvt_f32_u32 s10, s9
	s_sub_nc_u64 s[12:13], 0, s[8:9]
	s_delay_alu instid0(SALU_CYCLE_2) | instskip(NEXT) | instid1(SALU_CYCLE_3)
	s_fmamk_f32 s7, s10, 0x4f800000, s7
	v_s_rcp_f32 s7, s7
	s_delay_alu instid0(TRANS32_DEP_1) | instskip(SKIP_1) | instid1(SALU_CYCLE_2)
	s_mul_f32 s7, s7, 0x5f7ffffc
	s_wait_alu 0xfffe
	s_mul_f32 s10, s7, 0x2f800000
	s_delay_alu instid0(SALU_CYCLE_3) | instskip(NEXT) | instid1(SALU_CYCLE_3)
	s_trunc_f32 s10, s10
	s_fmamk_f32 s7, s10, 0xcf800000, s7
	s_cvt_u32_f32 s11, s10
	s_wait_alu 0xfffe
	s_delay_alu instid0(SALU_CYCLE_1) | instskip(NEXT) | instid1(SALU_CYCLE_3)
	s_cvt_u32_f32 s10, s7
	s_mul_u64 s[20:21], s[12:13], s[10:11]
	s_delay_alu instid0(SALU_CYCLE_1)
	s_mul_hi_u32 s25, s10, s21
	s_mul_i32 s24, s10, s21
	s_mul_hi_u32 s14, s10, s20
	s_mul_i32 s22, s11, s20
	s_add_nc_u64 s[14:15], s[14:15], s[24:25]
	s_mul_hi_u32 s7, s11, s20
	s_mul_hi_u32 s26, s11, s21
	s_add_co_u32 s14, s14, s22
	s_wait_alu 0xfffe
	s_add_co_ci_u32 s22, s15, s7
	s_mul_i32 s20, s11, s21
	s_add_co_ci_u32 s21, s26, 0
	s_delay_alu instid0(SALU_CYCLE_1)
	s_add_nc_u64 s[14:15], s[22:23], s[20:21]
	s_mov_b32 s21, s17
	s_add_co_u32 s10, s10, s14
	s_cselect_b32 s7, -1, 0
	s_wait_alu 0xfffe
	s_cmp_lg_u32 s7, 0
	s_add_co_ci_u32 s11, s11, s15
	s_mov_b32 s15, s17
	s_mul_u64 s[12:13], s[12:13], s[10:11]
	s_delay_alu instid0(SALU_CYCLE_1)
	s_mul_hi_u32 s23, s10, s13
	s_mul_i32 s22, s10, s13
	s_mul_hi_u32 s14, s10, s12
	s_mul_i32 s20, s11, s12
	s_add_nc_u64 s[14:15], s[14:15], s[22:23]
	s_mul_hi_u32 s7, s11, s12
	s_mul_hi_u32 s24, s11, s13
	s_mul_i32 s12, s11, s13
	s_add_co_u32 s13, s14, s20
	s_wait_alu 0xfffe
	s_add_co_ci_u32 s20, s15, s7
	s_add_co_ci_u32 s13, s24, 0
	s_mov_b32 s15, s17
	s_add_nc_u64 s[12:13], s[20:21], s[12:13]
	s_delay_alu instid0(SALU_CYCLE_1) | instskip(SKIP_1) | instid1(SALU_CYCLE_1)
	s_add_co_u32 s7, s10, s12
	s_cselect_b32 s10, -1, 0
	s_cmp_lg_u32 s10, 0
	s_add_co_ci_u32 s20, s11, s13
	s_ashr_i32 s10, s3, 31
	s_delay_alu instid0(SALU_CYCLE_1) | instskip(NEXT) | instid1(SALU_CYCLE_1)
	s_mov_b32 s11, s10
	s_add_nc_u64 s[12:13], s[2:3], s[10:11]
	s_delay_alu instid0(SALU_CYCLE_1) | instskip(NEXT) | instid1(SALU_CYCLE_1)
	s_xor_b64 s[12:13], s[12:13], s[10:11]
	s_mul_hi_u32 s23, s12, s20
	s_mul_i32 s22, s12, s20
	s_wait_alu 0xfffe
	s_mul_hi_u32 s14, s12, s7
	s_mul_hi_u32 s24, s13, s7
	s_mul_i32 s7, s13, s7
	s_add_nc_u64 s[14:15], s[14:15], s[22:23]
	s_mul_hi_u32 s3, s13, s20
	s_wait_alu 0xfffe
	s_add_co_u32 s7, s14, s7
	s_mul_i32 s22, s13, s20
	s_add_co_ci_u32 s20, s15, s24
	s_add_co_ci_u32 s23, s3, 0
	s_delay_alu instid0(SALU_CYCLE_1) | instskip(NEXT) | instid1(SALU_CYCLE_1)
	s_add_nc_u64 s[14:15], s[20:21], s[22:23]
	s_mul_u64 s[20:21], s[8:9], s[14:15]
	s_delay_alu instid0(SALU_CYCLE_1)
	s_sub_co_u32 s3, s12, s20
	s_cselect_b32 s7, -1, 0
	s_sub_co_i32 s12, s13, s21
	s_wait_alu 0xfffe
	s_cmp_lg_u32 s7, 0
	s_sub_co_ci_u32 s12, s12, s9
	s_sub_co_u32 s20, s3, s8
	s_cselect_b32 s22, -1, 0
	s_delay_alu instid0(SALU_CYCLE_1) | instskip(SKIP_2) | instid1(SALU_CYCLE_1)
	s_cmp_lg_u32 s22, 0
	s_add_nc_u64 s[22:23], s[14:15], 1
	s_sub_co_ci_u32 s12, s12, 0
	s_cmp_ge_u32 s12, s9
	s_cselect_b32 s24, -1, 0
	s_cmp_ge_u32 s20, s8
	s_cselect_b32 s20, -1, 0
	s_cmp_eq_u32 s12, s9
	s_cselect_b32 s12, s20, s24
	s_add_nc_u64 s[24:25], s[14:15], 2
	s_cmp_lg_u32 s12, 0
	s_cselect_b32 s12, s24, s22
	s_cselect_b32 s20, s25, s23
	s_cmp_lg_u32 s7, 0
	s_sub_co_ci_u32 s7, s13, s21
	s_wait_alu 0xfffe
	s_cmp_ge_u32 s7, s9
	s_cselect_b32 s13, -1, 0
	s_cmp_ge_u32 s3, s8
	s_cselect_b32 s3, -1, 0
	s_cmp_eq_u32 s7, s9
	s_cselect_b32 s3, s3, s13
	s_delay_alu instid0(SALU_CYCLE_1) | instskip(SKIP_4) | instid1(SALU_CYCLE_1)
	s_cmp_lg_u32 s3, 0
	s_mov_b32 s3, s17
	s_cselect_b32 s9, s20, s15
	s_cselect_b32 s8, s12, s14
	s_xor_b64 s[10:11], s[10:11], 0
	s_xor_b64 s[8:9], s[8:9], s[10:11]
	s_delay_alu instid0(SALU_CYCLE_1)
	s_sub_nc_u64 s[20:21], s[8:9], s[10:11]
	s_and_not1_b32 vcc_lo, exec_lo, s3
	s_cbranch_vccnz .LBB16_3
.LBB16_2:
	v_cvt_f32_u32_e32 v1, s16
	s_sub_co_i32 s7, 0, s16
	s_delay_alu instid0(VALU_DEP_1) | instskip(NEXT) | instid1(TRANS32_DEP_1)
	v_rcp_iflag_f32_e32 v1, v1
	v_mul_f32_e32 v1, 0x4f7ffffe, v1
	s_delay_alu instid0(VALU_DEP_1) | instskip(NEXT) | instid1(VALU_DEP_1)
	v_cvt_u32_f32_e32 v1, v1
	v_readfirstlane_b32 s3, v1
	s_wait_alu 0xfffe
	s_mul_i32 s7, s7, s3
	s_wait_alu 0xfffe
	s_mul_hi_u32 s7, s3, s7
	s_wait_alu 0xfffe
	s_add_co_i32 s3, s3, s7
	s_delay_alu instid0(SALU_CYCLE_1) | instskip(NEXT) | instid1(SALU_CYCLE_1)
	s_mul_hi_u32 s3, s2, s3
	s_mul_i32 s7, s3, s16
	s_wait_alu 0xfffe
	s_sub_co_i32 s2, s2, s7
	s_add_co_i32 s7, s3, 1
	s_sub_co_i32 s8, s2, s16
	s_cmp_ge_u32 s2, s16
	s_wait_alu 0xfffe
	s_cselect_b32 s3, s7, s3
	s_cselect_b32 s2, s8, s2
	s_add_co_i32 s7, s3, 1
	s_cmp_ge_u32 s2, s16
	s_wait_alu 0xfffe
	s_cselect_b32 s20, s7, s3
.LBB16_3:
	s_add_co_i32 s2, ttmp9, 1
	s_mov_b32 s8, 0
	s_ashr_i32 s3, s2, 31
	s_delay_alu instid0(SALU_CYCLE_1) | instskip(NEXT) | instid1(SALU_CYCLE_1)
	s_mul_u64 s[2:3], s[18:19], s[2:3]
	s_mov_b32 s9, s3
	s_delay_alu instid0(SALU_CYCLE_1)
	s_cmp_lg_u64 s[8:9], 0
	s_cbranch_scc0 .LBB16_22
; %bb.4:
	s_add_nc_u64 s[10:11], s[16:17], 0
	s_mov_b32 s23, s8
	s_xor_b64 s[10:11], s[10:11], 0
	s_mov_b32 s27, s8
	s_cvt_f32_u32 s7, s10
	s_cvt_f32_u32 s9, s11
	s_sub_nc_u64 s[14:15], 0, s[10:11]
	s_wait_alu 0xfffe
	s_delay_alu instid0(SALU_CYCLE_1) | instskip(SKIP_1) | instid1(SALU_CYCLE_2)
	s_fmamk_f32 s7, s9, 0x4f800000, s7
	s_wait_alu 0xfffe
	v_s_rcp_f32 s7, s7
	s_delay_alu instid0(TRANS32_DEP_1) | instskip(SKIP_1) | instid1(SALU_CYCLE_2)
	s_mul_f32 s7, s7, 0x5f7ffffc
	s_wait_alu 0xfffe
	s_mul_f32 s9, s7, 0x2f800000
	s_delay_alu instid0(SALU_CYCLE_3) | instskip(NEXT) | instid1(SALU_CYCLE_3)
	s_trunc_f32 s9, s9
	s_fmamk_f32 s7, s9, 0xcf800000, s7
	s_cvt_u32_f32 s13, s9
	s_wait_alu 0xfffe
	s_delay_alu instid0(SALU_CYCLE_1) | instskip(NEXT) | instid1(SALU_CYCLE_3)
	s_cvt_u32_f32 s12, s7
	s_mul_u64 s[24:25], s[14:15], s[12:13]
	s_delay_alu instid0(SALU_CYCLE_1)
	s_mul_hi_u32 s29, s12, s25
	s_mul_i32 s28, s12, s25
	s_mul_hi_u32 s22, s12, s24
	s_mul_i32 s9, s13, s24
	s_add_nc_u64 s[22:23], s[22:23], s[28:29]
	s_mul_hi_u32 s7, s13, s24
	s_mul_hi_u32 s21, s13, s25
	s_add_co_u32 s9, s22, s9
	s_wait_alu 0xfffe
	s_add_co_ci_u32 s26, s23, s7
	s_mul_i32 s24, s13, s25
	s_add_co_ci_u32 s25, s21, 0
	s_delay_alu instid0(SALU_CYCLE_1)
	s_add_nc_u64 s[22:23], s[26:27], s[24:25]
	s_mov_b32 s25, s8
	s_add_co_u32 s12, s12, s22
	s_cselect_b32 s7, -1, 0
	s_wait_alu 0xfffe
	s_cmp_lg_u32 s7, 0
	s_add_co_ci_u32 s13, s13, s23
	s_mov_b32 s23, s8
	s_mul_u64 s[14:15], s[14:15], s[12:13]
	s_delay_alu instid0(SALU_CYCLE_1)
	s_mul_hi_u32 s27, s12, s15
	s_mul_i32 s26, s12, s15
	s_mul_hi_u32 s22, s12, s14
	s_mul_i32 s9, s13, s14
	s_add_nc_u64 s[22:23], s[22:23], s[26:27]
	s_mul_hi_u32 s7, s13, s14
	s_mul_hi_u32 s21, s13, s15
	s_add_co_u32 s9, s22, s9
	s_wait_alu 0xfffe
	s_add_co_ci_u32 s24, s23, s7
	s_mul_i32 s14, s13, s15
	s_add_co_ci_u32 s15, s21, 0
	s_mov_b32 s23, s8
	s_add_nc_u64 s[14:15], s[24:25], s[14:15]
	s_delay_alu instid0(SALU_CYCLE_1) | instskip(SKIP_1) | instid1(SALU_CYCLE_1)
	s_add_co_u32 s7, s12, s14
	s_cselect_b32 s9, -1, 0
	s_cmp_lg_u32 s9, 0
	s_add_co_ci_u32 s9, s13, s15
	s_ashr_i32 s12, s3, 31
	s_delay_alu instid0(SALU_CYCLE_1) | instskip(NEXT) | instid1(SALU_CYCLE_1)
	s_mov_b32 s13, s12
	s_add_nc_u64 s[14:15], s[2:3], s[12:13]
	s_delay_alu instid0(SALU_CYCLE_1) | instskip(NEXT) | instid1(SALU_CYCLE_1)
	s_xor_b64 s[14:15], s[14:15], s[12:13]
	s_mul_hi_u32 s27, s14, s9
	s_mul_i32 s26, s14, s9
	s_wait_alu 0xfffe
	s_mul_hi_u32 s22, s14, s7
	s_mul_hi_u32 s21, s15, s7
	s_mul_i32 s7, s15, s7
	s_add_nc_u64 s[22:23], s[22:23], s[26:27]
	s_mul_hi_u32 s3, s15, s9
	s_wait_alu 0xfffe
	s_add_co_u32 s7, s22, s7
	s_add_co_ci_u32 s24, s23, s21
	s_mul_i32 s26, s15, s9
	s_add_co_ci_u32 s27, s3, 0
	s_delay_alu instid0(SALU_CYCLE_1) | instskip(NEXT) | instid1(SALU_CYCLE_1)
	s_add_nc_u64 s[22:23], s[24:25], s[26:27]
	s_mul_u64 s[24:25], s[10:11], s[22:23]
	s_add_nc_u64 s[26:27], s[22:23], 1
	s_sub_co_u32 s3, s14, s24
	s_cselect_b32 s7, -1, 0
	s_sub_co_i32 s9, s15, s25
	s_wait_alu 0xfffe
	s_cmp_lg_u32 s7, 0
	s_add_nc_u64 s[28:29], s[22:23], 2
	s_sub_co_ci_u32 s9, s9, s11
	s_sub_co_u32 s14, s3, s10
	s_cselect_b32 s21, -1, 0
	s_delay_alu instid0(SALU_CYCLE_1) | instskip(SKIP_1) | instid1(SALU_CYCLE_1)
	s_cmp_lg_u32 s21, 0
	s_sub_co_ci_u32 s9, s9, 0
	s_cmp_ge_u32 s9, s11
	s_cselect_b32 s21, -1, 0
	s_cmp_ge_u32 s14, s10
	s_cselect_b32 s14, -1, 0
	s_cmp_eq_u32 s9, s11
	s_cselect_b32 s9, s14, s21
	s_delay_alu instid0(SALU_CYCLE_1)
	s_cmp_lg_u32 s9, 0
	s_cselect_b32 s9, s28, s26
	s_cselect_b32 s14, s29, s27
	s_cmp_lg_u32 s7, 0
	s_sub_co_ci_u32 s7, s15, s25
	s_wait_alu 0xfffe
	s_cmp_ge_u32 s7, s11
	s_cselect_b32 s15, -1, 0
	s_cmp_ge_u32 s3, s10
	s_cselect_b32 s3, -1, 0
	s_cmp_eq_u32 s7, s11
	s_cselect_b32 s3, s3, s15
	s_delay_alu instid0(SALU_CYCLE_1) | instskip(SKIP_3) | instid1(SALU_CYCLE_1)
	s_cmp_lg_u32 s3, 0
	s_cselect_b32 s11, s14, s23
	s_cselect_b32 s10, s9, s22
	s_xor_b64 s[12:13], s[12:13], 0
	s_xor_b64 s[10:11], s[10:11], s[12:13]
	s_delay_alu instid0(SALU_CYCLE_1)
	s_sub_nc_u64 s[10:11], s[10:11], s[12:13]
	s_load_b96 s[12:14], s[0:1], 0x44
	s_and_not1_b32 vcc_lo, exec_lo, s8
	s_cbranch_vccnz .LBB16_6
.LBB16_5:
	v_cvt_f32_u32_e32 v1, s16
	s_sub_co_i32 s7, 0, s16
	s_delay_alu instid0(VALU_DEP_1) | instskip(NEXT) | instid1(TRANS32_DEP_1)
	v_rcp_iflag_f32_e32 v1, v1
	v_mul_f32_e32 v1, 0x4f7ffffe, v1
	s_delay_alu instid0(VALU_DEP_1) | instskip(NEXT) | instid1(VALU_DEP_1)
	v_cvt_u32_f32_e32 v1, v1
	v_readfirstlane_b32 s3, v1
	s_wait_alu 0xfffe
	s_mul_i32 s7, s7, s3
	s_wait_alu 0xfffe
	s_mul_hi_u32 s7, s3, s7
	s_wait_alu 0xfffe
	s_add_co_i32 s3, s3, s7
	s_delay_alu instid0(SALU_CYCLE_1) | instskip(NEXT) | instid1(SALU_CYCLE_1)
	s_mul_hi_u32 s3, s2, s3
	s_mul_i32 s7, s3, s16
	s_wait_alu 0xfffe
	s_sub_co_i32 s2, s2, s7
	s_add_co_i32 s7, s3, 1
	s_sub_co_i32 s8, s2, s16
	s_cmp_ge_u32 s2, s16
	s_wait_alu 0xfffe
	s_cselect_b32 s3, s7, s3
	s_cselect_b32 s2, s8, s2
	s_add_co_i32 s7, s3, 1
	s_cmp_ge_u32 s2, s16
	s_wait_alu 0xfffe
	s_cselect_b32 s10, s7, s3
.LBB16_6:
	s_mov_b32 s21, 0
	s_wait_kmcnt 0x0
	s_mov_b32 s22, s12
	s_mov_b32 s23, s21
	s_cmp_eq_u32 s20, s10
	s_mul_u64 s[2:3], s[20:21], s[22:23]
	s_cselect_b32 s7, -1, 0
	s_add_co_i32 s2, s3, s20
	s_mov_b32 s11, s21
	s_lshr_b32 s12, s2, s13
	s_mul_u64 s[2:3], s[10:11], s[22:23]
	s_mul_i32 s2, s12, s14
	s_delay_alu instid0(SALU_CYCLE_1) | instskip(SKIP_2) | instid1(SALU_CYCLE_1)
	s_cmp_eq_u32 s2, s20
	s_cselect_b32 s2, -1, 0
	s_add_co_i32 s3, s3, s10
	s_lshr_b32 s3, s3, s13
	s_delay_alu instid0(SALU_CYCLE_1)
	s_cmp_eq_u32 s12, s3
	s_mul_i32 s3, s3, s14
	s_cselect_b32 s8, -1, 0
	s_cmp_lg_u32 s3, s10
	s_cselect_b32 s3, -1, 0
	s_wait_alu 0xfffe
	s_or_b32 s2, s7, s2
	s_and_b32 s3, s8, s3
	s_delay_alu instid0(SALU_CYCLE_1) | instskip(NEXT) | instid1(SALU_CYCLE_1)
	s_or_b32 s2, s2, s3
	s_and_b32 vcc_lo, exec_lo, s2
	s_cbranch_vccnz .LBB16_24
; %bb.7:
	s_load_b256 s[24:31], s[0:1], 0x20
	s_mov_b32 s3, s21
	s_wait_kmcnt 0x0
	s_mov_b32 s2, s24
	s_delay_alu instid0(SALU_CYCLE_1) | instskip(NEXT) | instid1(SALU_CYCLE_1)
	s_mul_u64 s[2:3], s[20:21], s[2:3]
	s_add_co_i32 s2, s3, s20
	s_delay_alu instid0(SALU_CYCLE_1) | instskip(SKIP_2) | instid1(SALU_CYCLE_1)
	s_lshr_b32 s7, s2, s25
	s_load_b32 s2, s[0:1], 0x40
	s_mul_i32 s3, s7, s26
	s_sub_co_i32 s3, s20, s3
	s_delay_alu instid0(SALU_CYCLE_1) | instskip(NEXT) | instid1(SALU_CYCLE_1)
	s_mul_hi_u32 s8, s3, s27
	s_add_co_i32 s8, s3, s8
	s_delay_alu instid0(SALU_CYCLE_1) | instskip(NEXT) | instid1(SALU_CYCLE_1)
	s_lshr_b32 s8, s8, s28
	s_mul_i32 s9, s8, s29
	s_delay_alu instid0(SALU_CYCLE_1) | instskip(NEXT) | instid1(SALU_CYCLE_1)
	s_sub_co_i32 s9, s3, s9
	s_mul_hi_u32 s3, s9, s30
	s_delay_alu instid0(SALU_CYCLE_1) | instskip(NEXT) | instid1(SALU_CYCLE_1)
	s_add_co_i32 s3, s9, s3
	s_lshr_b32 s24, s3, s31
	s_mov_b32 s3, s21
	s_wait_kmcnt 0x0
	s_mul_i32 s2, s24, s2
	s_lshl_b32 s21, s24, 2
	s_sub_co_i32 s2, s9, s2
	s_delay_alu instid0(SALU_CYCLE_1) | instskip(SKIP_2) | instid1(SALU_CYCLE_1)
	s_mul_u64 s[10:11], s[2:3], s[22:23]
	s_lshr_b32 s3, ttmp7, 16
	s_add_co_i32 s2, s2, s11
	s_lshr_b32 s15, s2, s13
	s_and_b32 s2, ttmp7, 0xffff
	s_lshl_b32 s9, s15, 3
	s_delay_alu instid0(SALU_CYCLE_1) | instskip(NEXT) | instid1(SALU_CYCLE_1)
	s_add_co_i32 s9, s9, s2
	s_cmp_lt_i32 s9, s4
	s_cselect_b32 s9, -1, 0
	s_add_co_i32 s10, s21, s3
	s_delay_alu instid0(SALU_CYCLE_1) | instskip(SKIP_1) | instid1(SALU_CYCLE_1)
	s_cmp_lt_i32 s10, s6
	s_cselect_b32 s10, -1, 0
	s_and_b32 s9, s9, s10
	s_delay_alu instid0(SALU_CYCLE_1)
	s_and_not1_b32 vcc_lo, exec_lo, s9
	s_cbranch_vccnz .LBB16_24
; %bb.8:
	s_mul_i32 s4, s7, s4
	s_mul_i32 s6, s8, s6
	s_add_co_i32 s4, s4, s2
	s_load_b128 s[8:11], s[0:1], 0x0
	s_mul_i32 s4, s4, s5
	s_mul_i32 s1, s5, s15
	s_add_co_i32 s4, s4, s3
	s_lshl_b32 s1, s1, 11
	s_add_co_i32 s0, s4, s6
	s_lshl_b32 s15, s2, 2
	s_add_co_i32 s0, s0, s21
	s_add_co_i32 s15, s15, s3
	s_lshl_b32 s0, s0, 8
	v_cvt_f32_u32_e32 v4, s16
	s_add_co_i32 s1, s1, s0
	s_add_co_i32 s34, ttmp9, -1
	v_or_b32_e32 v1, s1, v0
	s_add_nc_u64 s[0:1], s[16:17], 0
	v_rcp_iflag_f32_e32 v4, v4
	s_wait_alu 0xfffe
	s_xor_b64 s[6:7], s[0:1], 0
	s_lshl_b32 s0, ttmp9, 5
	v_ashrrev_i32_e32 v2, 31, v1
	s_wait_alu 0xfffe
	s_cvt_f32_u32 s1, s6
	s_cvt_f32_u32 s2, s7
	s_add_co_i32 s0, s15, s0
	v_lshl_or_b32 v0, s15, 8, v0
	v_lshlrev_b64_e32 v[1:2], 2, v[1:2]
	s_wait_alu 0xfffe
	s_fmamk_f32 s2, s2, 0x4f800000, s1
	s_ashr_i32 s1, s0, 31
	s_sub_nc_u64 s[30:31], 0, s[6:7]
	s_wait_alu 0xfffe
	s_lshl_b64 s[0:1], s[0:1], 3
	v_s_rcp_f32 s2, s2
	s_wait_kmcnt 0x0
	v_add_co_u32 v1, vcc_lo, s8, v1
	s_delay_alu instid0(VALU_DEP_1)
	v_add_co_ci_u32_e64 v2, null, s9, v2, vcc_lo
	s_wait_alu 0xfffe
	s_add_nc_u64 s[0:1], s[10:11], s[0:1]
	s_mov_b32 s8, 0
	s_load_b64 s[26:27], s[0:1], 0x0
	global_load_b32 v3, v[1:2], off
	s_mul_f32 s2, s2, 0x5f7ffffc
	v_mul_f32_e32 v4, 0x4f7ffffe, v4
	s_lshl_b32 s0, s16, 7
	s_wait_alu 0xfffe
	s_mul_f32 s1, s2, 0x2f800000
	s_wait_alu 0xfffe
	s_delay_alu instid0(SALU_CYCLE_2)
	s_trunc_f32 s3, s1
	s_mov_b32 s1, s8
	s_wait_alu 0xfffe
	s_lshl_b64 s[0:1], s[0:1], 2
	s_fmamk_f32 s2, s3, 0xcf800000, s2
	s_cvt_u32_f32 s29, s3
	s_wait_alu 0xfffe
	s_add_nc_u64 s[24:25], s[10:11], s[0:1]
	s_cvt_u32_f32 s28, s2
	s_wait_kmcnt 0x0
	v_mov_b32_e32 v5, s27
	v_cvt_u32_f32_e32 v4, v4
.LBB16_9:                               ; =>This Inner Loop Header: Depth=1
	s_wait_alu 0xfffe
	s_ashr_i32 s35, s34, 31
	s_mov_b32 s2, -1
	s_wait_alu 0xfffe
	s_mul_u64 s[0:1], s[34:35], s[18:19]
                                        ; implicit-def: $sgpr38_sgpr39
	s_wait_alu 0xfffe
	s_mov_b32 s9, s1
	s_wait_alu 0xfffe
	s_cmp_lg_u64 s[8:9], 0
	s_cbranch_scc0 .LBB16_11
; %bb.10:                               ;   in Loop: Header=BB16_9 Depth=1
	s_mul_u64 s[2:3], s[30:31], s[28:29]
	s_mov_b32 s37, s8
	s_wait_alu 0xfffe
	s_mul_hi_u32 s5, s28, s3
	s_mul_i32 s4, s28, s3
	s_mul_hi_u32 s36, s28, s2
	s_mul_hi_u32 s9, s29, s2
	s_wait_alu 0xfffe
	s_add_nc_u64 s[4:5], s[36:37], s[4:5]
	s_mul_i32 s2, s29, s2
	s_mul_hi_u32 s17, s29, s3
	s_wait_alu 0xfffe
	s_add_co_u32 s2, s4, s2
	s_add_co_ci_u32 s2, s5, s9
	s_add_co_ci_u32 s5, s17, 0
	s_mul_i32 s4, s29, s3
	s_mov_b32 s3, s8
	s_mov_b32 s39, s8
	s_wait_alu 0xfffe
	s_add_nc_u64 s[2:3], s[2:3], s[4:5]
	s_wait_alu 0xfffe
	s_add_co_u32 s2, s28, s2
	s_cselect_b32 s4, -1, 0
	s_wait_alu 0xfffe
	s_cmp_lg_u32 s4, 0
	s_add_co_ci_u32 s3, s29, s3
	s_wait_alu 0xfffe
	s_mul_u64 s[4:5], s[30:31], s[2:3]
	s_wait_alu 0xfffe
	s_mul_hi_u32 s37, s2, s5
	s_mul_i32 s36, s2, s5
	s_mul_hi_u32 s38, s2, s4
	s_mul_hi_u32 s9, s3, s4
	s_mul_i32 s4, s3, s4
	s_wait_alu 0xfffe
	s_add_nc_u64 s[36:37], s[38:39], s[36:37]
	s_mul_hi_u32 s17, s3, s5
	s_wait_alu 0xfffe
	s_add_co_u32 s4, s36, s4
	s_add_co_ci_u32 s4, s37, s9
	s_add_co_ci_u32 s37, s17, 0
	s_mul_i32 s36, s3, s5
	s_mov_b32 s5, s8
	s_wait_alu 0xfffe
	s_add_nc_u64 s[4:5], s[4:5], s[36:37]
	s_mov_b32 s37, s8
	s_wait_alu 0xfffe
	s_add_co_u32 s9, s2, s4
	s_cselect_b32 s2, -1, 0
	s_wait_alu 0xfffe
	s_cmp_lg_u32 s2, 0
	s_add_co_ci_u32 s17, s3, s5
	s_ashr_i32 s2, s1, 31
	s_wait_alu 0xfffe
	s_mov_b32 s3, s2
	s_wait_alu 0xfffe
	s_add_nc_u64 s[4:5], s[0:1], s[2:3]
	s_wait_alu 0xfffe
	s_xor_b64 s[4:5], s[4:5], s[2:3]
	s_wait_alu 0xfffe
	s_mul_hi_u32 s39, s4, s17
	s_mul_i32 s38, s4, s17
	s_mul_hi_u32 s36, s4, s9
	s_mul_i32 s21, s5, s9
	s_wait_alu 0xfffe
	s_add_nc_u64 s[36:37], s[36:37], s[38:39]
	s_mul_hi_u32 s9, s5, s9
	s_mul_hi_u32 s1, s5, s17
	s_wait_alu 0xfffe
	s_add_co_u32 s21, s36, s21
	s_add_co_ci_u32 s36, s37, s9
	s_add_co_ci_u32 s39, s1, 0
	s_mul_i32 s38, s5, s17
	s_mov_b32 s37, s8
	s_wait_alu 0xfffe
	s_add_nc_u64 s[36:37], s[36:37], s[38:39]
	s_wait_alu 0xfffe
	s_mul_u64 s[38:39], s[6:7], s[36:37]
	s_add_nc_u64 s[40:41], s[36:37], 1
	s_sub_co_u32 s1, s4, s38
	s_cselect_b32 s4, -1, 0
	s_sub_co_i32 s9, s5, s39
	s_wait_alu 0xfffe
	s_cmp_lg_u32 s4, 0
	s_add_nc_u64 s[42:43], s[36:37], 2
	s_sub_co_ci_u32 s9, s9, s7
	s_sub_co_u32 s17, s1, s6
	s_cselect_b32 s21, -1, 0
	s_delay_alu instid0(SALU_CYCLE_1)
	s_cmp_lg_u32 s21, 0
	s_wait_alu 0xfffe
	s_sub_co_ci_u32 s9, s9, 0
	s_wait_alu 0xfffe
	s_cmp_ge_u32 s9, s7
	s_cselect_b32 s21, -1, 0
	s_cmp_ge_u32 s17, s6
	s_cselect_b32 s17, -1, 0
	s_cmp_eq_u32 s9, s7
	s_wait_alu 0xfffe
	s_cselect_b32 s9, s17, s21
	s_wait_alu 0xfffe
	s_cmp_lg_u32 s9, 0
	s_cselect_b32 s9, s42, s40
	s_cselect_b32 s17, s43, s41
	s_cmp_lg_u32 s4, 0
	s_sub_co_ci_u32 s4, s5, s39
	s_wait_alu 0xfffe
	s_cmp_ge_u32 s4, s7
	s_cselect_b32 s5, -1, 0
	s_cmp_ge_u32 s1, s6
	s_cselect_b32 s1, -1, 0
	s_cmp_eq_u32 s4, s7
	s_wait_alu 0xfffe
	s_cselect_b32 s1, s1, s5
	s_wait_alu 0xfffe
	s_cmp_lg_u32 s1, 0
	s_cselect_b32 s5, s17, s37
	s_cselect_b32 s4, s9, s36
	s_xor_b64 s[2:3], s[2:3], 0
	s_wait_alu 0xfffe
	s_xor_b64 s[4:5], s[4:5], s[2:3]
	s_wait_alu 0xfffe
	s_sub_nc_u64 s[38:39], s[4:5], s[2:3]
	s_mov_b32 s2, 0
.LBB16_11:                              ;   in Loop: Header=BB16_9 Depth=1
	s_wait_alu 0xfffe
	s_and_not1_b32 vcc_lo, exec_lo, s2
	s_wait_alu 0xfffe
	s_cbranch_vccnz .LBB16_13
; %bb.12:                               ;   in Loop: Header=BB16_9 Depth=1
	v_readfirstlane_b32 s1, v4
	s_sub_co_i32 s2, 0, s16
	s_wait_alu 0xfffe
	s_mul_i32 s2, s2, s1
	s_wait_alu 0xfffe
	s_mul_hi_u32 s2, s1, s2
	s_wait_alu 0xfffe
	s_add_co_i32 s1, s1, s2
	s_wait_alu 0xfffe
	s_mul_hi_u32 s1, s0, s1
	s_wait_alu 0xfffe
	s_mul_i32 s2, s1, s16
	s_wait_alu 0xfffe
	s_sub_co_i32 s0, s0, s2
	s_add_co_i32 s2, s1, 1
	s_wait_alu 0xfffe
	s_sub_co_i32 s3, s0, s16
	s_cmp_ge_u32 s0, s16
	s_cselect_b32 s1, s2, s1
	s_wait_alu 0xfffe
	s_cselect_b32 s0, s3, s0
	s_add_co_i32 s2, s1, 1
	s_wait_alu 0xfffe
	s_cmp_ge_u32 s0, s16
	s_cselect_b32 s38, s2, s1
.LBB16_13:                              ;   in Loop: Header=BB16_9 Depth=1
	v_readfirstlane_b32 s9, v0
	s_cmp_lg_u32 s20, s38
	s_mov_b32 s0, -1
                                        ; implicit-def: $sgpr21
                                        ; implicit-def: $vgpr6
                                        ; implicit-def: $vgpr7
                                        ; implicit-def: $sgpr17
                                        ; implicit-def: $sgpr27
	s_cbranch_scc1 .LBB16_16
; %bb.14:                               ;   in Loop: Header=BB16_9 Depth=1
	s_wait_alu 0xfffe
	s_and_not1_b32 vcc_lo, exec_lo, s0
	s_wait_alu 0xfffe
	s_cbranch_vccz .LBB16_19
.LBB16_15:                              ;   in Loop: Header=BB16_9 Depth=1
	s_and_not1_b32 vcc_lo, exec_lo, s21
	s_wait_alu 0xfffe
	s_cbranch_vccnz .LBB16_20
	s_branch .LBB16_23
.LBB16_16:                              ;   in Loop: Header=BB16_9 Depth=1
	s_add_co_i32 s0, s34, s16
	s_mov_b32 s1, s8
	s_wait_alu 0xfffe
	s_lshl_b32 s0, s0, 5
	v_max_num_f32_e64 v6, s26, s26
	s_wait_alu 0xfffe
	s_add_co_i32 s0, s0, s15
	s_mov_b32 s39, s8
	s_wait_alu 0xfffe
	s_lshl_b64 s[0:1], s[0:1], 3
	s_mul_u64 s[40:41], s[38:39], s[22:23]
	s_wait_alu 0xfffe
	s_add_nc_u64 s[0:1], s[10:11], s[0:1]
	s_mov_b32 s27, s20
	s_load_b64 s[36:37], s[0:1], 0x0
	v_readfirstlane_b32 s0, v6
	s_wait_kmcnt 0x0
	v_max_num_f32_e64 v7, s36, s36
	s_delay_alu instid0(VALU_DEP_1) | instskip(SKIP_2) | instid1(SALU_CYCLE_2)
	v_readfirstlane_b32 s1, v7
	s_max_num_f32 s9, s0, s1
	s_wait_alu 0xfffe
	s_sub_f32 s33, s26, s9
	s_sub_f32 s35, s36, s9
	s_wait_alu 0xfffe
	s_delay_alu instid0(SALU_CYCLE_1)
	s_cmp_nlt_f32 s33, 0xc2ce8ed0
	s_cselect_b32 s0, -1, 0
	s_cmp_ngt_f32 s33, 0x42b17218
	s_cselect_b32 s1, -1, 0
	s_cmp_ge_f32 s33, 0xc1a00000
	s_cselect_b32 s2, -1, 0
	s_cmp_nlt_f32 s35, 0xc2ce8ed0
	s_cselect_b32 s3, -1, 0
	s_cmp_ngt_f32 s35, 0x42b17218
	s_cselect_b32 s4, -1, 0
	s_cmp_ge_f32 s35, 0xc1a00000
	s_cselect_b32 s5, -1, 0
	s_add_co_i32 s17, s41, s38
	s_wait_alu 0xfffe
	s_lshr_b32 s17, s17, s13
	s_wait_alu 0xfffe
	s_mul_i32 s21, s17, s14
	s_delay_alu instid0(SALU_CYCLE_1)
	s_cmp_eq_u32 s21, s38
	s_cselect_b32 s21, -1, 0
	s_cmp_lt_u32 s17, s12
	s_cselect_b32 s17, -1, 0
	s_wait_alu 0xfffe
	s_or_b32 s17, s17, s21
	s_mov_b32 s21, -1
	s_wait_alu 0xfffe
	s_and_b32 vcc_lo, exec_lo, s17
	s_mov_b32 s17, s34
	s_wait_alu 0xfffe
	s_cbranch_vccnz .LBB16_18
; %bb.17:                               ;   in Loop: Header=BB16_9 Depth=1
	s_add_co_i32 s17, s34, -1
	s_mov_b32 s21, 0
	s_mov_b32 s27, s38
.LBB16_18:                              ;   in Loop: Header=BB16_9 Depth=1
	v_lshl_add_u32 v6, s34, 13, v0
	s_mul_f32 s36, s35, 0x3fb8aa3b
	s_mul_f32 s38, s33, 0x3fb8aa3b
	s_wait_alu 0xfffe
	s_delay_alu instid0(SALU_CYCLE_1)
	s_xor_b32 s39, s36, 0x80000000
	v_ashrrev_i32_e32 v7, 31, v6
	s_rndne_f32 s40, s36
	s_fmamk_f32 s39, s35, 0x3fb8aa3b, s39
	s_xor_b32 s41, s38, 0x80000000
	s_rndne_f32 s42, s38
	v_lshlrev_b64_e32 v[6:7], 2, v[6:7]
	s_sub_f32 s36, s36, s40
	s_fmamk_f32 s35, s35, 0x32a5705f, s39
	s_fmamk_f32 s39, s33, 0x3fb8aa3b, s41
	s_sub_f32 s38, s38, s42
	s_delay_alu instid0(VALU_DEP_1)
	v_add_co_u32 v6, vcc_lo, s24, v6
	s_wait_alu 0xfffd
	v_add_co_ci_u32_e64 v7, null, s25, v7, vcc_lo
	s_wait_alu 0xfffe
	s_add_f32 s35, s36, s35
	s_fmamk_f32 s33, s33, 0x32a5705f, s39
	s_cvt_i32_f32 s36, s40
	global_load_b32 v6, v[6:7], off
	s_wait_alu 0xfffe
	v_s_exp_f32 s35, s35
	s_add_f32 s33, s38, s33
	s_wait_alu 0xfffe
	s_delay_alu instid0(SALU_CYCLE_2) | instskip(NEXT) | instid1(TRANS32_DEP_2)
	v_s_exp_f32 s33, s33
	v_ldexp_f32 v7, s35, s36
	s_cvt_i32_f32 s35, s42
	s_wait_alu 0xf1fe
	s_delay_alu instid0(TRANS32_DEP_1) | instid1(SALU_CYCLE_2)
	v_ldexp_f32 v8, s33, s35
	s_delay_alu instid0(VALU_DEP_2) | instskip(NEXT) | instid1(VALU_DEP_2)
	v_cndmask_b32_e64 v7, 0, v7, s3
	v_cndmask_b32_e64 v8, 0, v8, s0
	s_delay_alu instid0(VALU_DEP_2) | instskip(NEXT) | instid1(VALU_DEP_2)
	v_cndmask_b32_e64 v7, 0x7f800000, v7, s4
	v_cndmask_b32_e64 v8, 0x7f800000, v8, s1
	;; [unrolled: 3-line block ×3, first 2 shown]
	s_wait_loadcnt 0x0
	s_delay_alu instid0(VALU_DEP_2) | instskip(SKIP_1) | instid1(VALU_DEP_1)
	v_mul_f32_e32 v6, v6, v7
	v_mul_f32_e32 v7, s37, v7
	v_fmac_f32_e32 v7, v5, v8
	s_delay_alu instid0(VALU_DEP_3)
	v_fmac_f32_e32 v6, v3, v8
	s_cbranch_execnz .LBB16_15
.LBB16_19:                              ;   in Loop: Header=BB16_9 Depth=1
	s_wait_loadcnt 0x0
	v_dual_mov_b32 v7, v5 :: v_dual_mov_b32 v6, v3
	s_add_co_i32 s17, s34, -1
	s_mov_b32 s27, s20
	s_mov_b32 s9, s26
	s_cbranch_execz .LBB16_23
.LBB16_20:                              ;   in Loop: Header=BB16_9 Depth=1
	v_mov_b32_e32 v5, v7
	s_wait_loadcnt 0x0
	v_mov_b32_e32 v3, v6
	s_wait_alu 0xfffe
	s_mov_b32 s20, s27
	s_mov_b32 s34, s17
	;; [unrolled: 1-line block ×3, first 2 shown]
	s_branch .LBB16_9
.LBB16_21:
                                        ; implicit-def: $sgpr20_sgpr21
	s_branch .LBB16_2
.LBB16_22:
                                        ; implicit-def: $sgpr10_sgpr11
	s_load_b96 s[12:14], s[0:1], 0x44
	s_branch .LBB16_5
.LBB16_23:
	v_div_scale_f32 v0, null, v7, v7, v6
	s_wait_loadcnt 0x0
	s_delay_alu instid0(VALU_DEP_1) | instskip(NEXT) | instid1(TRANS32_DEP_1)
	v_rcp_f32_e32 v3, v0
	v_fma_f32 v4, -v0, v3, 1.0
	s_delay_alu instid0(VALU_DEP_1) | instskip(SKIP_1) | instid1(VALU_DEP_1)
	v_fmac_f32_e32 v3, v4, v3
	v_div_scale_f32 v4, vcc_lo, v6, v7, v6
	v_mul_f32_e32 v5, v4, v3
	s_delay_alu instid0(VALU_DEP_1) | instskip(NEXT) | instid1(VALU_DEP_1)
	v_fma_f32 v8, -v0, v5, v4
	v_fmac_f32_e32 v5, v8, v3
	s_delay_alu instid0(VALU_DEP_1) | instskip(SKIP_1) | instid1(VALU_DEP_1)
	v_fma_f32 v0, -v0, v5, v4
	s_wait_alu 0xfffd
	v_div_fmas_f32 v0, v0, v3, v5
	s_delay_alu instid0(VALU_DEP_1)
	v_div_fixup_f32 v0, v0, v7, v6
	global_store_b32 v[1:2], v0, off
.LBB16_24:
	s_endpgm
	.section	.rodata,"a",@progbits
	.p2align	6, 0x0
	.amdhsa_kernel _ZL33flash_attn_stream_k_fixup_generalILi256ELi8ELi4EEvPfPK15HIP_vector_typeIfLj2EEiiiiS1_IjLj3EES5_S5_S5_
		.amdhsa_group_segment_fixed_size 0
		.amdhsa_private_segment_fixed_size 0
		.amdhsa_kernarg_size 336
		.amdhsa_user_sgpr_count 2
		.amdhsa_user_sgpr_dispatch_ptr 0
		.amdhsa_user_sgpr_queue_ptr 0
		.amdhsa_user_sgpr_kernarg_segment_ptr 1
		.amdhsa_user_sgpr_dispatch_id 0
		.amdhsa_user_sgpr_private_segment_size 0
		.amdhsa_wavefront_size32 1
		.amdhsa_uses_dynamic_stack 0
		.amdhsa_enable_private_segment 0
		.amdhsa_system_sgpr_workgroup_id_x 1
		.amdhsa_system_sgpr_workgroup_id_y 1
		.amdhsa_system_sgpr_workgroup_id_z 1
		.amdhsa_system_sgpr_workgroup_info 0
		.amdhsa_system_vgpr_workitem_id 0
		.amdhsa_next_free_vgpr 9
		.amdhsa_next_free_sgpr 44
		.amdhsa_reserve_vcc 1
		.amdhsa_float_round_mode_32 0
		.amdhsa_float_round_mode_16_64 0
		.amdhsa_float_denorm_mode_32 3
		.amdhsa_float_denorm_mode_16_64 3
		.amdhsa_fp16_overflow 0
		.amdhsa_workgroup_processor_mode 1
		.amdhsa_memory_ordered 1
		.amdhsa_forward_progress 1
		.amdhsa_inst_pref_size 28
		.amdhsa_round_robin_scheduling 0
		.amdhsa_exception_fp_ieee_invalid_op 0
		.amdhsa_exception_fp_denorm_src 0
		.amdhsa_exception_fp_ieee_div_zero 0
		.amdhsa_exception_fp_ieee_overflow 0
		.amdhsa_exception_fp_ieee_underflow 0
		.amdhsa_exception_fp_ieee_inexact 0
		.amdhsa_exception_int_div_zero 0
	.end_amdhsa_kernel
	.section	.text._ZL33flash_attn_stream_k_fixup_generalILi256ELi8ELi4EEvPfPK15HIP_vector_typeIfLj2EEiiiiS1_IjLj3EES5_S5_S5_,"axG",@progbits,_ZL33flash_attn_stream_k_fixup_generalILi256ELi8ELi4EEvPfPK15HIP_vector_typeIfLj2EEiiiiS1_IjLj3EES5_S5_S5_,comdat
.Lfunc_end16:
	.size	_ZL33flash_attn_stream_k_fixup_generalILi256ELi8ELi4EEvPfPK15HIP_vector_typeIfLj2EEiiiiS1_IjLj3EES5_S5_S5_, .Lfunc_end16-_ZL33flash_attn_stream_k_fixup_generalILi256ELi8ELi4EEvPfPK15HIP_vector_typeIfLj2EEiiiiS1_IjLj3EES5_S5_S5_
                                        ; -- End function
	.set _ZL33flash_attn_stream_k_fixup_generalILi256ELi8ELi4EEvPfPK15HIP_vector_typeIfLj2EEiiiiS1_IjLj3EES5_S5_S5_.num_vgpr, 9
	.set _ZL33flash_attn_stream_k_fixup_generalILi256ELi8ELi4EEvPfPK15HIP_vector_typeIfLj2EEiiiiS1_IjLj3EES5_S5_S5_.num_agpr, 0
	.set _ZL33flash_attn_stream_k_fixup_generalILi256ELi8ELi4EEvPfPK15HIP_vector_typeIfLj2EEiiiiS1_IjLj3EES5_S5_S5_.numbered_sgpr, 44
	.set _ZL33flash_attn_stream_k_fixup_generalILi256ELi8ELi4EEvPfPK15HIP_vector_typeIfLj2EEiiiiS1_IjLj3EES5_S5_S5_.num_named_barrier, 0
	.set _ZL33flash_attn_stream_k_fixup_generalILi256ELi8ELi4EEvPfPK15HIP_vector_typeIfLj2EEiiiiS1_IjLj3EES5_S5_S5_.private_seg_size, 0
	.set _ZL33flash_attn_stream_k_fixup_generalILi256ELi8ELi4EEvPfPK15HIP_vector_typeIfLj2EEiiiiS1_IjLj3EES5_S5_S5_.uses_vcc, 1
	.set _ZL33flash_attn_stream_k_fixup_generalILi256ELi8ELi4EEvPfPK15HIP_vector_typeIfLj2EEiiiiS1_IjLj3EES5_S5_S5_.uses_flat_scratch, 0
	.set _ZL33flash_attn_stream_k_fixup_generalILi256ELi8ELi4EEvPfPK15HIP_vector_typeIfLj2EEiiiiS1_IjLj3EES5_S5_S5_.has_dyn_sized_stack, 0
	.set _ZL33flash_attn_stream_k_fixup_generalILi256ELi8ELi4EEvPfPK15HIP_vector_typeIfLj2EEiiiiS1_IjLj3EES5_S5_S5_.has_recursion, 0
	.set _ZL33flash_attn_stream_k_fixup_generalILi256ELi8ELi4EEvPfPK15HIP_vector_typeIfLj2EEiiiiS1_IjLj3EES5_S5_S5_.has_indirect_call, 0
	.section	.AMDGPU.csdata,"",@progbits
; Kernel info:
; codeLenInByte = 3548
; TotalNumSgprs: 46
; NumVgprs: 9
; ScratchSize: 0
; MemoryBound: 0
; FloatMode: 240
; IeeeMode: 1
; LDSByteSize: 0 bytes/workgroup (compile time only)
; SGPRBlocks: 0
; VGPRBlocks: 1
; NumSGPRsForWavesPerEU: 46
; NumVGPRsForWavesPerEU: 9
; Occupancy: 16
; WaveLimiterHint : 0
; COMPUTE_PGM_RSRC2:SCRATCH_EN: 0
; COMPUTE_PGM_RSRC2:USER_SGPR: 2
; COMPUTE_PGM_RSRC2:TRAP_HANDLER: 0
; COMPUTE_PGM_RSRC2:TGID_X_EN: 1
; COMPUTE_PGM_RSRC2:TGID_Y_EN: 1
; COMPUTE_PGM_RSRC2:TGID_Z_EN: 1
; COMPUTE_PGM_RSRC2:TIDIG_COMP_CNT: 0
	.section	.text._ZL15flash_attn_tileILi256ELi256ELi4ELi4ELb0EEvPKcS1_S1_S1_S1_PKiPfP15HIP_vector_typeIfLj2EEffffjfiS5_IjLj3EEiiiiiiiiiiiliiliiiiil,"axG",@progbits,_ZL15flash_attn_tileILi256ELi256ELi4ELi4ELb0EEvPKcS1_S1_S1_S1_PKiPfP15HIP_vector_typeIfLj2EEffffjfiS5_IjLj3EEiiiiiiiiiiiliiliiiiil,comdat
	.globl	_ZL15flash_attn_tileILi256ELi256ELi4ELi4ELb0EEvPKcS1_S1_S1_S1_PKiPfP15HIP_vector_typeIfLj2EEffffjfiS5_IjLj3EEiiiiiiiiiiiliiliiiiil ; -- Begin function _ZL15flash_attn_tileILi256ELi256ELi4ELi4ELb0EEvPKcS1_S1_S1_S1_PKiPfP15HIP_vector_typeIfLj2EEffffjfiS5_IjLj3EEiiiiiiiiiiiliiliiiiil
	.p2align	8
	.type	_ZL15flash_attn_tileILi256ELi256ELi4ELi4ELb0EEvPKcS1_S1_S1_S1_PKiPfP15HIP_vector_typeIfLj2EEffffjfiS5_IjLj3EEiiiiiiiiiiiliiliiiiil,@function
_ZL15flash_attn_tileILi256ELi256ELi4ELi4ELb0EEvPKcS1_S1_S1_S1_PKiPfP15HIP_vector_typeIfLj2EEffffjfiS5_IjLj3EEiiiiiiiiiiiliiliiiiil: ; @_ZL15flash_attn_tileILi256ELi256ELi4ELi4ELb0EEvPKcS1_S1_S1_S1_PKiPfP15HIP_vector_typeIfLj2EEffffjfiS5_IjLj3EEiiiiiiiiiiiliiliiiiil
; %bb.0:
	s_clause 0x1
	s_load_b128 s[20:23], s[0:1], 0x5c
	s_load_b64 s[30:31], s[0:1], 0x80
	s_lshr_b32 s5, ttmp7, 16
	s_load_b64 s[36:37], s[0:1], 0xb8
	s_mov_b64 s[34:35], 0
	s_wait_kmcnt 0x0
	s_ashr_i32 s2, s23, 31
	s_delay_alu instid0(SALU_CYCLE_1) | instskip(NEXT) | instid1(SALU_CYCLE_1)
	s_lshr_b32 s2, s2, 30
	s_add_co_i32 s2, s23, s2
	s_delay_alu instid0(SALU_CYCLE_1) | instskip(NEXT) | instid1(SALU_CYCLE_1)
	s_ashr_i32 s2, s2, 2
	s_cvt_f32_u32 s3, s2
	s_sub_co_i32 s4, 0, s2
	s_delay_alu instid0(SALU_CYCLE_2) | instskip(NEXT) | instid1(TRANS32_DEP_1)
	v_rcp_iflag_f32_e32 v1, s3
	v_readfirstlane_b32 s3, v1
	s_mul_f32 s3, s3, 0x4f7ffffe
	s_wait_alu 0xfffe
	s_delay_alu instid0(SALU_CYCLE_2) | instskip(SKIP_1) | instid1(SALU_CYCLE_2)
	s_cvt_u32_f32 s3, s3
	s_wait_alu 0xfffe
	s_mul_i32 s4, s4, s3
	s_delay_alu instid0(SALU_CYCLE_1) | instskip(NEXT) | instid1(SALU_CYCLE_1)
	s_mul_hi_u32 s4, s3, s4
	s_add_co_i32 s3, s3, s4
	s_wait_alu 0xfffe
	s_mul_hi_u32 s3, s5, s3
	s_wait_alu 0xfffe
	s_mul_i32 s4, s3, s2
	s_add_co_i32 s6, s3, 1
	s_sub_co_i32 s4, s5, s4
	s_delay_alu instid0(SALU_CYCLE_1)
	s_sub_co_i32 s7, s4, s2
	s_cmp_ge_u32 s4, s2
	s_cselect_b32 s3, s6, s3
	s_cselect_b32 s4, s7, s4
	s_wait_alu 0xfffe
	s_add_co_i32 s6, s3, 1
	s_cmp_ge_u32 s4, s2
	s_cselect_b32 s28, s6, s3
	s_abs_i32 s2, s31
	s_abs_i32 s7, s23
	s_wait_alu 0xfffe
	s_cvt_f32_u32 s3, s2
	s_sub_co_i32 s4, 0, s2
	s_lshl_b32 s5, s5, 2
	s_mul_i32 s6, s28, s23
	s_wait_alu 0xfffe
	v_rcp_iflag_f32_e32 v1, s3
	s_sub_co_i32 s33, s5, s6
	s_delay_alu instid0(TRANS32_DEP_1) | instskip(SKIP_2) | instid1(SALU_CYCLE_2)
	v_readfirstlane_b32 s3, v1
	s_mul_f32 s3, s3, 0x4f7ffffe
	s_wait_alu 0xfffe
	s_cvt_u32_f32 s3, s3
	s_wait_alu 0xfffe
	s_delay_alu instid0(SALU_CYCLE_2) | instskip(NEXT) | instid1(SALU_CYCLE_1)
	s_mul_i32 s4, s4, s3
	s_mul_hi_u32 s4, s3, s4
	s_delay_alu instid0(SALU_CYCLE_1)
	s_add_co_i32 s3, s3, s4
	s_xor_b32 s4, s23, s31
	s_wait_alu 0xfffe
	s_mul_hi_u32 s3, s7, s3
	s_ashr_i32 s24, s4, 31
	s_wait_alu 0xfffe
	s_mul_i32 s5, s3, s2
	s_delay_alu instid0(SALU_CYCLE_1)
	s_sub_co_i32 s4, s7, s5
	s_add_co_i32 s5, s3, 1
	s_sub_co_i32 s6, s4, s2
	s_cmp_ge_u32 s4, s2
	s_cselect_b32 s3, s5, s3
	s_cselect_b32 s4, s6, s4
	s_wait_alu 0xfffe
	s_add_co_i32 s5, s3, 1
	s_cmp_ge_u32 s4, s2
	s_cselect_b32 s2, s5, s3
	s_load_b512 s[4:19], s[0:1], 0x0
	s_xor_b32 s2, s2, s24
	s_mov_b32 s3, 0
	s_wait_alu 0xfffe
	s_sub_co_i32 s38, s2, s24
	s_delay_alu instid0(SALU_CYCLE_1) | instskip(NEXT) | instid1(SALU_CYCLE_1)
	s_abs_i32 s31, s38
	s_cvt_f32_u32 s2, s31
	s_wait_alu 0xfffe
	s_delay_alu instid0(SALU_CYCLE_2) | instskip(SKIP_2) | instid1(TRANS32_DEP_1)
	v_rcp_iflag_f32_e32 v1, s2
	s_wait_kmcnt 0x0
	s_cmp_eq_u64 s[10:11], 0
	v_readfirstlane_b32 s2, v1
	s_cbranch_scc1 .LBB17_2
; %bb.1:
	s_abs_i32 s26, s36
	s_delay_alu instid0(SALU_CYCLE_1) | instskip(NEXT) | instid1(SALU_CYCLE_3)
	s_cvt_f32_u32 s24, s26
	v_rcp_iflag_f32_e32 v1, s24
	s_delay_alu instid0(TRANS32_DEP_1) | instskip(SKIP_2) | instid1(SALU_CYCLE_2)
	v_readfirstlane_b32 s24, v1
	s_mul_f32 s24, s24, 0x4f7ffffe
	s_wait_alu 0xfffe
	s_cvt_u32_f32 s27, s24
	s_sub_co_i32 s24, 0, s26
	s_wait_alu 0xfffe
	s_delay_alu instid0(SALU_CYCLE_1) | instskip(SKIP_4) | instid1(SALU_CYCLE_1)
	s_mul_i32 s24, s24, s27
	s_wait_alu 0xfffe
	s_mul_hi_u32 s29, s27, s24
	s_load_b64 s[24:25], s[0:1], 0xc8
	s_add_co_i32 s27, s27, s29
	s_mul_hi_u32 s27, s28, s27
	s_delay_alu instid0(SALU_CYCLE_1) | instskip(NEXT) | instid1(SALU_CYCLE_1)
	s_mul_i32 s27, s27, s26
	s_sub_co_i32 s27, s28, s27
	s_delay_alu instid0(SALU_CYCLE_1) | instskip(SKIP_2) | instid1(SALU_CYCLE_1)
	s_sub_co_i32 s29, s27, s26
	s_cmp_ge_u32 s27, s26
	s_cselect_b32 s27, s29, s27
	s_sub_co_i32 s29, s27, s26
	s_cmp_ge_u32 s27, s26
	s_cselect_b32 s26, s29, s27
	s_delay_alu instid0(SALU_CYCLE_1)
	s_ashr_i32 s27, s26, 31
	s_wait_kmcnt 0x0
	s_mul_u64 s[24:25], s[24:25], s[26:27]
	s_wait_alu 0xfffe
	s_add_nc_u64 s[34:35], s[10:11], s[24:25]
.LBB17_2:
	v_lshrrev_b32_e32 v1, 10, v0
	s_load_b96 s[24:26], s[0:1], 0x70
	v_and_b32_e32 v17, 0x3ff, v0
	s_delay_alu instid0(VALU_DEP_2) | instskip(NEXT) | instid1(VALU_DEP_2)
	v_bfe_u32 v1, v1, 1, 9
	v_lshlrev_b32_e32 v11, 4, v17
	s_delay_alu instid0(VALU_DEP_2) | instskip(NEXT) | instid1(VALU_DEP_1)
	v_lshl_add_u32 v16, ttmp9, 2, v1
	v_mul_hi_u32 v1, s20, v16
	s_wait_kmcnt 0x0
	s_mul_i32 s10, s33, s25
	s_mov_b32 s20, s25
	s_delay_alu instid0(VALU_DEP_1) | instskip(NEXT) | instid1(VALU_DEP_1)
	v_add_nc_u32_e32 v1, v16, v1
	v_lshrrev_b32_e32 v1, s21, v1
	s_ashr_i32 s21, s25, 31
	s_ashr_i32 s25, s24, 31
	s_wait_alu 0xfffe
	s_lshr_b64 s[40:41], s[24:25], 2
	v_mul_lo_u32 v2, v1, s22
	v_bfe_u32 v1, v0, 10, 10
	s_lshr_b32 s11, s25, 2
	s_mul_i32 s24, s28, s26
	s_lshr_b64 s[26:27], s[20:21], 2
	s_lshr_b32 s20, s21, 2
	s_wait_alu 0xfffe
	s_ashr_i32 s25, s24, 31
	s_wait_alu 0xfffe
	s_add_nc_u64 s[4:5], s[4:5], s[24:25]
	v_sub_nc_u32_e32 v2, v16, v2
	s_delay_alu instid0(VALU_DEP_1) | instskip(NEXT) | instid1(VALU_DEP_1)
	v_mad_co_u64_u32 v[3:4], null, s40, v2, 0
	v_dual_mov_b32 v0, v4 :: v_dual_lshlrev_b32 v5, 1, v1
	s_delay_alu instid0(VALU_DEP_1) | instskip(SKIP_1) | instid1(VALU_DEP_3)
	v_or_b32_e32 v15, 1, v5
	v_and_b32_e32 v37, 2, v5
	v_mad_co_u64_u32 v[4:5], null, s11, v2, v[0:1]
	s_delay_alu instid0(VALU_DEP_3) | instskip(NEXT) | instid1(VALU_DEP_3)
	v_and_b32_e32 v9, 3, v15
	v_mul_lo_u32 v10, s20, v37
	v_mad_co_u64_u32 v[7:8], null, s26, v37, 0
	s_ashr_i32 s11, s10, 31
	v_mad_co_u64_u32 v[5:6], null, s26, v9, 0
	v_lshlrev_b64_e32 v[3:4], 2, v[3:4]
	s_wait_alu 0xfffe
	s_add_nc_u64 s[4:5], s[4:5], s[10:11]
	s_cmp_eq_u64 s[14:15], 0
	v_or_b32_e32 v8, v8, v10
	s_delay_alu instid0(VALU_DEP_3) | instskip(NEXT) | instid1(VALU_DEP_1)
	v_mov_b32_e32 v0, v6
	v_mad_co_u64_u32 v[9:10], null, s20, v9, v[0:1]
	v_add_co_u32 v0, vcc_lo, s4, v3
	s_delay_alu instid0(VALU_DEP_1) | instskip(SKIP_1) | instid1(VALU_DEP_3)
	v_add_co_ci_u32_e64 v6, null, s5, v4, vcc_lo
	v_lshlrev_b64_e32 v[3:4], 2, v[7:8]
	v_add_co_u32 v0, vcc_lo, v0, v11
	s_wait_alu 0xfffd
	s_delay_alu instid0(VALU_DEP_3) | instskip(SKIP_1) | instid1(VALU_DEP_3)
	v_add_co_ci_u32_e64 v11, null, 0, v6, vcc_lo
	v_mov_b32_e32 v6, v9
	v_add_co_u32 v7, vcc_lo, v0, v3
	s_wait_alu 0xfffd
	s_delay_alu instid0(VALU_DEP_3) | instskip(NEXT) | instid1(VALU_DEP_3)
	v_add_co_ci_u32_e64 v8, null, v11, v4, vcc_lo
	v_lshlrev_b64_e32 v[9:10], 2, v[5:6]
	s_load_b32 s4, s[0:1], 0x40
	v_lshlrev_b32_e32 v39, 3, v17
	global_load_b128 v[3:6], v[7:8], off
	v_add_co_u32 v18, vcc_lo, v0, v9
	s_wait_alu 0xfffd
	v_add_co_ci_u32_e64 v19, null, v11, v10, vcc_lo
	s_clause 0x2
	global_load_b128 v[7:10], v[7:8], off offset:512
	global_load_b128 v[11:14], v[18:19], off
	global_load_b128 v[18:21], v[18:19], off offset:512
	v_lshlrev_b32_e32 v0, 10, v1
	v_add_nc_u32_e32 v22, 0x4200, v39
	s_delay_alu instid0(VALU_DEP_1)
	v_add_nc_u32_e32 v23, v22, v0
	v_lshl_add_u32 v15, v15, 9, v22
	s_wait_loadcnt 0x3
	s_wait_kmcnt 0x0
	v_fma_mixlo_f16 v3, s4, v3, 0
	v_fma_mixlo_f16 v4, s4, v4, 0
	;; [unrolled: 1-line block ×4, first 2 shown]
	s_delay_alu instid0(VALU_DEP_4) | instskip(NEXT) | instid1(VALU_DEP_4)
	v_and_b32_e32 v3, 0xffff, v3
	v_lshlrev_b32_e32 v4, 16, v4
	s_wait_loadcnt 0x2
	v_fma_mixlo_f16 v7, s4, v7, 0
	v_fma_mixlo_f16 v8, s4, v8, 0
	;; [unrolled: 1-line block ×4, first 2 shown]
	s_wait_loadcnt 0x1
	v_fma_mixlo_f16 v11, s4, v11, 0
	v_fma_mixlo_f16 v12, s4, v12, 0
	s_wait_loadcnt 0x0
	v_fma_mixlo_f16 v18, s4, v18, 0
	v_fma_mixlo_f16 v19, s4, v19, 0
	v_lshlrev_b32_e32 v6, 16, v6
	v_and_b32_e32 v5, 0xffff, v5
	v_lshlrev_b32_e32 v8, 16, v8
	v_and_b32_e32 v7, 0xffff, v7
	v_fma_mixlo_f16 v13, s4, v13, 0
	v_fma_mixlo_f16 v14, s4, v14, 0
	;; [unrolled: 1-line block ×4, first 2 shown]
	v_lshlrev_b32_e32 v10, 16, v10
	v_and_b32_e32 v9, 0xffff, v9
	v_lshlrev_b32_e32 v12, 16, v12
	v_and_b32_e32 v11, 0xffff, v11
	;; [unrolled: 2-line block ×3, first 2 shown]
	v_or_b32_e32 v3, v4, v3
	v_or3_b32 v4, v6, v5, 0
	v_or_b32_e32 v5, v8, v7
	v_lshlrev_b32_e32 v14, 16, v14
	v_and_b32_e32 v13, 0xffff, v13
	v_lshlrev_b32_e32 v21, 16, v21
	v_and_b32_e32 v20, 0xffff, v20
	v_or3_b32 v6, v10, v9, 0
	v_or_b32_e32 v7, v12, v11
	v_or_b32_e32 v9, v19, v18
	v_or3_b32 v3, 0, 0, v3
	v_or3_b32 v5, 0, 0, v5
	;; [unrolled: 1-line block ×6, first 2 shown]
	ds_store_2addr_b64 v23, v[3:4], v[5:6] offset1:32
	ds_store_2addr_b64 v15, v[7:8], v[9:10] offset1:32
	s_wait_dscnt 0x0
	s_barrier_signal -1
	s_barrier_wait -1
	global_inv scope:SCOPE_SE
	s_cbranch_scc1 .LBB17_4
; %bb.3:
	s_load_b32 s4, s[0:1], 0xd0
	s_mov_b32 s5, 0
	s_wait_kmcnt 0x0
	s_mul_i32 s4, s4, s28
	s_wait_alu 0xfffe
	s_add_co_i32 s4, s4, ttmp9
	s_wait_alu 0xfffe
	s_lshl_b64 s[4:5], s[4:5], 2
	s_wait_alu 0xfffe
	s_add_nc_u64 s[4:5], s[14:15], s[4:5]
	s_load_b32 s30, s[4:5], 0x0
.LBB17_4:
	s_and_b32 s10, ttmp7, 0xffff
	v_lshlrev_b32_e32 v38, 2, v17
	v_mbcnt_lo_u32_b32 v40, -1, 0
	s_wait_alu 0xfffe
	s_lshl_b32 s14, s10, 5
	s_wait_kmcnt 0x0
	s_cmp_lt_i32 s14, s30
	s_cbranch_scc1 .LBB17_7
; %bb.5:
	v_mbcnt_lo_u32_b32 v3, -1, 0
	v_mov_b32_e32 v41, 32
	s_delay_alu instid0(VALU_DEP_2)
	v_xor_b32_e32 v46, 16, v3
	v_xor_b32_e32 v45, 8, v3
	;; [unrolled: 1-line block ×5, first 2 shown]
	s_mov_b32 s29, 0
	s_cbranch_execz .LBB17_8
; %bb.6:
	v_dual_mov_b32 v12, 0 :: v_dual_mov_b32 v67, 0
	v_dual_mov_b32 v36, 0xfeffffff :: v_dual_mov_b32 v35, 0xfeffffff
	;; [unrolled: 1-line block ×6, first 2 shown]
	s_branch .LBB17_11
.LBB17_7:
                                        ; implicit-def: $vgpr3
                                        ; implicit-def: $vgpr41
                                        ; implicit-def: $vgpr46
                                        ; implicit-def: $vgpr45
                                        ; implicit-def: $vgpr44
                                        ; implicit-def: $vgpr43
                                        ; implicit-def: $vgpr42
	s_mov_b32 s29, 0
.LBB17_8:
	s_clause 0x1
	s_load_b128 s[24:27], s[0:1], 0x98
	s_load_b64 s[4:5], s[0:1], 0x8c
	s_mul_f32 s2, s2, 0x4f7ffffe
	s_load_b64 s[40:41], s[0:1], 0xa8
	s_mov_b32 s21, s3
	v_add_nc_u32_e32 v53, 0x4200, v0
	s_cvt_u32_f32 s11, s2
	s_sub_co_i32 s2, 0, s31
	v_dual_mov_b32 v68, 0 :: v_dual_lshlrev_b32 v47, 2, v38
	s_wait_alu 0xfffe
	s_mul_i32 s15, s2, s11
	s_abs_i32 s2, s33
	s_mul_hi_u32 s15, s11, s15
	v_mad_u32_u24 v48, 0x210, v1, v47
	s_add_co_i32 s20, s11, s15
	s_ashr_i32 s11, s33, 31
	s_wait_alu 0xfffe
	s_mul_u64 s[20:21], s[2:3], s[20:21]
	s_ashr_i32 s3, s38, 31
	s_ashr_i32 s15, s37, 1
	s_wait_alu 0xfffe
	s_xor_b32 s11, s11, s3
	s_mul_i32 s3, s21, s31
	s_wait_kmcnt 0x0
	s_ashr_i32 s20, s26, 2
	s_ashr_i32 s26, s4, 2
	s_wait_alu 0xfffe
	s_sub_co_i32 s4, s2, s3
	s_add_co_i32 s36, s21, 1
	s_wait_alu 0xfffe
	s_sub_co_i32 s37, s4, s31
	s_cmp_ge_u32 s4, s31
	s_mul_u64 s[2:3], s[24:25], s[28:29]
	s_cselect_b32 s21, s36, s21
	s_cselect_b32 s4, s37, s4
	s_mul_u64 s[24:25], s[40:41], s[28:29]
	s_wait_alu 0xfffe
	s_add_co_i32 s29, s21, 1
	s_cmp_ge_u32 s4, s31
	v_mul_lo_u32 v3, s26, v1
	s_cselect_b32 s4, s29, s21
	s_add_nc_u64 s[2:3], s[6:7], s[2:3]
	s_wait_alu 0xfffe
	s_xor_b32 s4, s4, s11
	s_add_nc_u64 s[6:7], s[8:9], s[24:25]
	s_wait_alu 0xfffe
	s_sub_co_i32 s8, s4, s11
	v_mul_lo_u32 v11, s20, v1
	s_lshl_b32 s11, s26, 3
	s_mul_i32 s4, s8, s5
	s_wait_alu 0xfffe
	v_dual_mov_b32 v8, 0 :: v_dual_add_nc_u32 v5, s11, v3
	s_ashr_i32 s5, s4, 31
	v_mov_b32_e32 v36, 0xfeffffff
	s_wait_alu 0xfffe
	s_add_nc_u64 s[24:25], s[2:3], s[4:5]
	s_lshl_b32 s2, s20, 3
	v_add_nc_u32_e32 v9, s11, v5
	s_wait_alu 0xfffe
	v_add_nc_u32_e32 v29, s2, v11
	v_ashrrev_i32_e32 v12, 31, v11
	v_mov_b32_e32 v35, 0xfeffffff
	v_ashrrev_i32_e32 v4, 31, v3
	v_ashrrev_i32_e32 v10, 31, v9
	v_add_nc_u32_e32 v0, s2, v29
	v_ashrrev_i32_e32 v6, 31, v5
	v_lshl_add_u32 v54, v1, 9, v47
	v_lshl_add_u32 v55, v1, 7, 0x6200
	v_lshlrev_b64_e32 v[23:24], 2, v[9:10]
	v_dual_mov_b32 v10, 0 :: v_dual_add_nc_u32 v33, s2, v0
	v_add_nc_u32_e32 v13, s11, v9
	v_ashrrev_i32_e32 v30, 31, v29
	v_ashrrev_i32_e32 v1, 31, v0
	s_delay_alu instid0(VALU_DEP_4)
	v_ashrrev_i32_e32 v34, 31, v33
	v_lshlrev_b64_e32 v[27:28], 2, v[11:12]
	v_mov_b32_e32 v12, 0
	v_ashrrev_i32_e32 v14, 31, v13
	v_mad_co_u64_u32 v[18:19], null, v2, s15, v[17:18]
	s_mul_i32 s8, s8, s27
	v_lshlrev_b64_e32 v[19:20], 2, v[3:4]
	v_lshlrev_b64_e32 v[21:22], 2, v[5:6]
	;; [unrolled: 1-line block ×6, first 2 shown]
	v_dual_mov_b32 v14, 0 :: v_dual_add_nc_u32 v49, 0x1080, v48
	v_dual_mov_b32 v41, 32 :: v_dual_add_nc_u32 v50, 0x2100, v48
	v_add_nc_u32_e32 v51, 0x3180, v48
	v_mul_u32_u24_e32 v52, 0x210, v17
	v_dual_mov_b32 v11, 0 :: v_dual_add_nc_u32 v56, 0x1000, v54
	v_add_nc_u32_e32 v57, 0x2000, v54
	v_dual_mov_b32 v9, 0 :: v_dual_add_nc_u32 v58, 0x3000, v54
	v_xor_b32_e32 v46, 16, v40
	v_xor_b32_e32 v45, 8, v40
	;; [unrolled: 1-line block ×5, first 2 shown]
	v_add_nc_u32_e32 v59, v55, v38
	v_dual_mov_b32 v13, 0 :: v_dual_add_nc_u32 v60, 0x800, v39
	v_add_nc_u32_e32 v61, 0x1000, v39
	v_dual_mov_b32 v15, 0 :: v_dual_add_nc_u32 v62, 0x1800, v39
	;; [unrolled: 2-line block ×3, first 2 shown]
	v_add_nc_u32_e32 v65, 0x3000, v39
	v_add_nc_u32_e32 v66, 0x3800, v39
	s_ashr_i32 s9, s8, 31
	s_ashr_i32 s27, s26, 31
	s_add_nc_u64 s[36:37], s[6:7], s[8:9]
	s_ashr_i32 s21, s20, 31
	s_add_nc_u64 s[38:39], s[0:1], 0xd0
.LBB17_9:                               ; =>This Inner Loop Header: Depth=1
	v_cmp_gt_i32_e32 vcc_lo, 32, v46
	v_cmp_gt_i32_e64 s2, 32, v45
	v_cmp_gt_i32_e64 s3, 32, v44
	s_ashr_i32 s15, s14, 31
	v_cmp_gt_i32_e64 s4, 32, v43
	v_cmp_gt_i32_e64 s5, 32, v42
	s_wait_alu 0xfffe
	s_mul_u64 s[6:7], s[14:15], s[26:27]
	v_dual_mov_b32 v0, v68 :: v_dual_mov_b32 v1, v36
	v_dual_mov_b32 v2, v35 :: v_dual_mov_b32 v3, 0
	s_wait_alu 0xfffd
	v_dual_cndmask_b32 v35, v40, v46 :: v_dual_mov_b32 v4, 0
	v_mov_b32_e32 v5, v67
	s_mul_u64 s[8:9], s[14:15], s[20:21]
	v_cndmask_b32_e64 v36, v40, v45, s2
	v_cndmask_b32_e64 v67, v40, v44, s3
	s_wait_alu 0xfffe
	s_lshl_b64 s[2:3], s[6:7], 2
	v_cndmask_b32_e64 v68, v40, v43, s4
	v_cndmask_b32_e64 v69, v40, v42, s5
	s_lshl_b64 s[4:5], s[8:9], 2
	s_wait_alu 0xfffe
	s_add_nc_u64 s[8:9], s[24:25], s[2:3]
	v_dual_max_num_f32 v92, v1, v1 :: v_dual_lshlrev_b32 v93, 2, v35
	s_wait_alu 0xfffe
	v_add_co_u32 v35, vcc_lo, s8, v19
	v_dual_max_num_f32 v91, v2, v2 :: v_dual_lshlrev_b32 v94, 2, v36
	s_add_nc_u64 s[40:41], s[36:37], s[4:5]
	v_add_co_u32 v36, s2, s8, v21
	v_lshlrev_b32_e32 v95, 2, v67
	v_add_co_u32 v67, s3, s8, v23
	s_wait_alu 0xfffd
	v_add_co_ci_u32_e64 v74, null, s9, v20, vcc_lo
	v_lshlrev_b32_e32 v96, 2, v68
	v_add_co_u32 v68, s4, s8, v25
	s_wait_alu 0xfffe
	v_add_co_u32 v72, s7, s40, v31
	s_wait_alu 0xf1ff
	v_add_co_ci_u32_e64 v76, null, s9, v22, s2
	v_add_co_ci_u32_e64 v77, null, s9, v24, s3
	v_lshlrev_b32_e32 v97, 2, v69
	v_add_co_u32 v69, s5, s40, v27
	v_add_co_u32 v70, s6, s40, v29
	v_add_co_ci_u32_e64 v78, null, s9, v26, s4
	v_add_co_u32 v35, vcc_lo, v35, v47
	v_add_co_u32 v73, s8, s40, v33
	v_add_co_u32 v71, s2, v36, v47
	s_wait_alu 0xf1ff
	v_add_co_ci_u32_e64 v81, null, s41, v28, s5
	v_add_co_ci_u32_e64 v82, null, s41, v30, s6
	v_add_co_u32 v75, s3, v67, v47
	s_wait_alu 0xfffd
	v_add_co_ci_u32_e64 v36, null, 0, v74, vcc_lo
	v_add_co_ci_u32_e64 v90, null, s41, v34, s8
	v_add_co_u32 v79, s4, v68, v47
	v_add_co_u32 v87, s8, v72, v47
	v_add_co_ci_u32_e64 v72, null, 0, v76, s2
	s_wait_alu 0xf1ff
	v_add_co_ci_u32_e64 v76, null, 0, v77, s3
	v_add_co_ci_u32_e64 v88, null, s41, v32, s7
	v_add_co_u32 v83, s6, v69, v47
	v_add_co_u32 v85, s7, v70, v47
	v_add_co_ci_u32_e64 v80, null, 0, v78, s4
	v_add_co_u32 v89, s9, v73, v47
	s_wait_alu 0xf1ff
	v_add_co_ci_u32_e64 v84, null, 0, v81, s6
	v_add_co_ci_u32_e64 v86, null, 0, v82, s7
	s_clause 0x3
	global_load_b128 v[67:70], v[35:36], off
	global_load_b128 v[71:74], v[71:72], off
	;; [unrolled: 1-line block ×4, first 2 shown]
	v_add_nc_u32_e32 v6, s14, v18
	v_add_co_ci_u32_e64 v88, null, 0, v88, s8
	v_add_co_ci_u32_e64 v90, null, 0, v90, s9
	s_delay_alu instid0(VALU_DEP_3)
	v_ashrrev_i32_e32 v7, 31, v6
	s_wait_loadcnt 0x3
	ds_store_b128 v48, v[67:70]
	s_wait_loadcnt 0x2
	ds_store_b128 v49, v[71:74]
	;; [unrolled: 2-line block ×4, first 2 shown]
	s_wait_dscnt 0x0
	s_barrier_signal -1
	s_barrier_wait -1
	global_inv scope:SCOPE_SE
	ds_load_b128 v[67:70], v52
	ds_load_b128 v[71:74], v53
	ds_load_b128 v[75:78], v53 offset:512
	s_wait_dscnt 0x1
	;;#ASMSTART
	v_dot2_f32_f16 v3, v67, v71, v3
	;;#ASMEND
	;;#ASMSTART
	v_dot2_f32_f16 v3, v68, v72, v3
	;;#ASMEND
	;;#ASMSTART
	v_dot2_f32_f16 v3, v69, v73, v3
	;;#ASMEND
	;;#ASMSTART
	v_dot2_f32_f16 v3, v70, v74, v3
	;;#ASMEND
	s_wait_dscnt 0x0
	;;#ASMSTART
	v_dot2_f32_f16 v4, v67, v75, v4
	;;#ASMEND
	;;#ASMSTART
	v_dot2_f32_f16 v4, v68, v76, v4
	;;#ASMEND
	;;#ASMSTART
	v_dot2_f32_f16 v4, v69, v77, v4
	;;#ASMEND
	;;#ASMSTART
	v_dot2_f32_f16 v4, v70, v78, v4
	;;#ASMEND
	ds_load_b128 v[67:70], v52 offset:16
	ds_load_b128 v[71:74], v53 offset:16
	ds_load_b128 v[75:78], v53 offset:528
	s_wait_dscnt 0x1
	;;#ASMSTART
	v_dot2_f32_f16 v3, v67, v71, v3
	;;#ASMEND
	;;#ASMSTART
	v_dot2_f32_f16 v3, v68, v72, v3
	;;#ASMEND
	;;#ASMSTART
	v_dot2_f32_f16 v3, v69, v73, v3
	;;#ASMEND
	;;#ASMSTART
	v_dot2_f32_f16 v3, v70, v74, v3
	;;#ASMEND
	s_wait_dscnt 0x0
	;;#ASMSTART
	v_dot2_f32_f16 v4, v67, v75, v4
	;;#ASMEND
	;;#ASMSTART
	v_dot2_f32_f16 v4, v68, v76, v4
	;;#ASMEND
	;;#ASMSTART
	v_dot2_f32_f16 v4, v69, v77, v4
	;;#ASMEND
	;;#ASMSTART
	v_dot2_f32_f16 v4, v70, v78, v4
	;;#ASMEND
	ds_load_b128 v[67:70], v52 offset:32
	ds_load_b128 v[71:74], v53 offset:32
	;; [unrolled: 29-line block ×31, first 2 shown]
	ds_load_b128 v[75:78], v53 offset:1008
	v_lshlrev_b64_e32 v[6:7], 1, v[6:7]
	s_wait_dscnt 0x1
	;;#ASMSTART
	v_dot2_f32_f16 v3, v67, v71, v3
	;;#ASMEND
	s_delay_alu instid0(VALU_DEP_1) | instskip(SKIP_1) | instid1(VALU_DEP_2)
	v_add_co_u32 v6, s5, s34, v6
	s_wait_alu 0xf1ff
	v_add_co_ci_u32_e64 v7, null, s35, v7, s5
	;;#ASMSTART
	v_dot2_f32_f16 v3, v68, v72, v3
	;;#ASMEND
	;;#ASMSTART
	v_dot2_f32_f16 v3, v69, v73, v3
	;;#ASMEND
	;; [unrolled: 3-line block ×3, first 2 shown]
	s_wait_dscnt 0x0
	;;#ASMSTART
	v_dot2_f32_f16 v4, v67, v75, v4
	;;#ASMEND
	;;#ASMSTART
	v_dot2_f32_f16 v4, v68, v76, v4
	;;#ASMEND
	;; [unrolled: 3-line block ×4, first 2 shown]
	global_load_u16 v6, v[6:7], off
	s_wait_loadcnt 0x0
	s_barrier_signal -1
	s_barrier_wait -1
	global_inv scope:SCOPE_SE
	s_clause 0x3
	global_load_b128 v[69:72], v[83:84], off
	global_load_b128 v[73:76], v[85:86], off
	;; [unrolled: 1-line block ×4, first 2 shown]
	v_cvt_f32_f16_e32 v6, v6
	s_delay_alu instid0(VALU_DEP_1) | instskip(SKIP_1) | instid1(VALU_DEP_1)
	v_add_f32_e32 v3, v3, v6
	v_add_f32_e32 v4, v4, v6
	v_dual_add_f32 v6, 0x40051340, v3 :: v_dual_add_f32 v7, 0x40051340, v4
	s_delay_alu instid0(VALU_DEP_1) | instskip(SKIP_3) | instid1(VALU_DEP_1)
	v_max_num_f32_e32 v6, v91, v6
	ds_bpermute_b32 v35, v93, v6
	s_wait_dscnt 0x0
	v_max_num_f32_e32 v35, v35, v35
	v_max_num_f32_e32 v6, v6, v35
	ds_bpermute_b32 v35, v94, v6
	s_wait_dscnt 0x0
	v_max_num_f32_e32 v35, v35, v35
	s_delay_alu instid0(VALU_DEP_1) | instskip(SKIP_3) | instid1(VALU_DEP_1)
	v_max_num_f32_e32 v6, v6, v35
	ds_bpermute_b32 v35, v95, v6
	s_wait_dscnt 0x0
	v_max_num_f32_e32 v35, v35, v35
	v_max_num_f32_e32 v6, v6, v35
	ds_bpermute_b32 v35, v96, v6
	s_wait_dscnt 0x0
	v_max_num_f32_e32 v35, v35, v35
	s_delay_alu instid0(VALU_DEP_1) | instskip(SKIP_3) | instid1(VALU_DEP_1)
	v_max_num_f32_e32 v6, v6, v35
	ds_bpermute_b32 v35, v97, v6
	s_wait_dscnt 0x0
	v_max_num_f32_e32 v35, v35, v35
	v_max_num_f32_e32 v35, v6, v35
	s_delay_alu instid0(VALU_DEP_1) | instskip(NEXT) | instid1(VALU_DEP_1)
	v_sub_f32_e32 v2, v2, v35
	v_dual_max_num_f32 v7, v92, v7 :: v_dual_mul_f32 v6, 0x3fb8aa3b, v2
	ds_bpermute_b32 v36, v93, v7
	v_rndne_f32_e32 v86, v6
	s_wait_dscnt 0x0
	v_max_num_f32_e32 v36, v36, v36
	s_delay_alu instid0(VALU_DEP_1) | instskip(SKIP_3) | instid1(VALU_DEP_1)
	v_max_num_f32_e32 v7, v7, v36
	ds_bpermute_b32 v36, v94, v7
	s_wait_dscnt 0x0
	v_max_num_f32_e32 v36, v36, v36
	v_max_num_f32_e32 v7, v7, v36
	ds_bpermute_b32 v36, v95, v7
	s_wait_dscnt 0x0
	v_max_num_f32_e32 v36, v36, v36
	s_delay_alu instid0(VALU_DEP_1) | instskip(SKIP_3) | instid1(VALU_DEP_1)
	v_max_num_f32_e32 v7, v7, v36
	ds_bpermute_b32 v36, v96, v7
	s_wait_dscnt 0x0
	v_max_num_f32_e32 v36, v36, v36
	v_max_num_f32_e32 v7, v7, v36
	ds_bpermute_b32 v36, v97, v7
	s_wait_dscnt 0x0
	v_max_num_f32_e32 v36, v36, v36
	s_delay_alu instid0(VALU_DEP_1) | instskip(NEXT) | instid1(VALU_DEP_1)
	v_max_num_f32_e32 v36, v7, v36
	v_dual_sub_f32 v3, v3, v35 :: v_dual_sub_f32 v4, v4, v36
	s_delay_alu instid0(VALU_DEP_1)
	v_mul_f32_e32 v7, 0x3fb8aa3b, v3
	v_sub_f32_e32 v1, v1, v36
	v_fma_f32 v85, 0x3fb8aa3b, v2, -v6
	v_cmp_ngt_f32_e32 vcc_lo, 0xc2ce8ed0, v3
	v_mul_f32_e32 v68, 0x3fb8aa3b, v4
	v_fma_f32 v87, 0x3fb8aa3b, v3, -v7
	v_rndne_f32_e32 v88, v7
	v_mul_f32_e32 v67, 0x3fb8aa3b, v1
	v_cmp_ngt_f32_e64 s3, 0xc2ce8ed0, v4
	v_fma_f32 v91, 0x3fb8aa3b, v4, -v68
	v_rndne_f32_e32 v92, v68
	v_cmp_ngt_f32_e64 s4, 0xc2ce8ed0, v2
	v_cmp_nlt_f32_e64 s5, 0x42b17218, v2
	v_cmp_nlt_f32_e64 s7, 0x42b17218, v4
	;; [unrolled: 1-line block ×3, first 2 shown]
	v_fmac_f32_e32 v85, 0x32a5705f, v2
	v_dual_sub_f32 v2, v6, v86 :: v_dual_fmac_f32 v91, 0x32a5705f, v4
	v_dual_sub_f32 v4, v68, v92 :: v_dual_fmac_f32 v87, 0x32a5705f, v3
	s_delay_alu instid0(VALU_DEP_2) | instskip(SKIP_1) | instid1(VALU_DEP_3)
	v_dual_sub_f32 v3, v7, v88 :: v_dual_add_f32 v2, v2, v85
	v_cvt_i32_f32_e32 v6, v86
	v_add_f32_e32 v4, v4, v91
	v_cvt_i32_f32_e32 v7, v88
	s_delay_alu instid0(VALU_DEP_4)
	v_add_f32_e32 v3, v3, v87
	v_exp_f32_e32 v2, v2
	v_fma_f32 v89, 0x3fb8aa3b, v1, -v67
	v_exp_f32_e32 v4, v4
	v_rndne_f32_e32 v90, v67
	v_exp_f32_e32 v3, v3
	v_cvt_i32_f32_e32 v68, v92
	v_cmp_ngt_f32_e64 s2, 0xc2ce8ed0, v1
	v_cmp_nlt_f32_e64 s6, 0x42b17218, v1
	s_delay_alu instid0(TRANS32_DEP_3)
	v_ldexp_f32 v2, v2, v6
	s_delay_alu instid0(TRANS32_DEP_2) | instid1(VALU_DEP_4)
	v_ldexp_f32 v4, v4, v68
	s_delay_alu instid0(TRANS32_DEP_1) | instskip(SKIP_1) | instid1(VALU_DEP_3)
	v_ldexp_f32 v3, v3, v7
	s_wait_alu 0xf1ff
	v_cndmask_b32_e64 v2, 0, v2, s4
	s_delay_alu instid0(VALU_DEP_3) | instskip(SKIP_2) | instid1(VALU_DEP_3)
	v_cndmask_b32_e64 v4, 0, v4, s3
	s_wait_alu 0xfffd
	v_cndmask_b32_e32 v3, 0, v3, vcc_lo
	v_cndmask_b32_e64 v2, 0x7f800000, v2, s5
	s_delay_alu instid0(VALU_DEP_2) | instskip(SKIP_3) | instid1(VALU_DEP_4)
	v_cndmask_b32_e64 v68, 0x7f800000, v3, s8
	v_fmac_f32_e32 v89, 0x32a5705f, v1
	v_sub_f32_e32 v1, v67, v90
	v_cvt_i32_f32_e32 v67, v90
	v_cvt_f16_f32_e32 v3, v68
	s_delay_alu instid0(VALU_DEP_3) | instskip(NEXT) | instid1(VALU_DEP_1)
	v_dual_fmac_f32 v68, v0, v2 :: v_dual_add_f32 v1, v1, v89
	v_exp_f32_e32 v1, v1
	s_delay_alu instid0(TRANS32_DEP_1) | instskip(SKIP_2) | instid1(VALU_DEP_3)
	v_ldexp_f32 v1, v1, v67
	v_cndmask_b32_e64 v67, 0x7f800000, v4, s7
	v_cvt_f16_f32_e32 v4, v2
	v_cndmask_b32_e64 v1, 0, v1, s2
	s_delay_alu instid0(VALU_DEP_3) | instskip(NEXT) | instid1(VALU_DEP_3)
	v_cvt_f16_f32_e32 v7, v67
	v_and_b32_e32 v0, 0xffff, v4
	s_delay_alu instid0(VALU_DEP_3) | instskip(NEXT) | instid1(VALU_DEP_3)
	v_cndmask_b32_e64 v1, 0x7f800000, v1, s6
	v_pack_b32_f16 v3, v3, v7
	s_delay_alu instid0(VALU_DEP_3)
	v_mul_u32_u24_e32 v133, 0x10001, v0
	ds_store_b32 v59, v3
	s_wait_loadcnt 0x3
	ds_store_b128 v54, v[69:72]
	s_wait_loadcnt 0x2
	ds_store_b128 v56, v[73:76]
	;; [unrolled: 2-line block ×4, first 2 shown]
	v_cvt_f16_f32_e32 v6, v1
	v_fmac_f32_e32 v67, v5, v1
	s_wait_dscnt 0x0
	s_barrier_signal -1
	s_barrier_wait -1
	v_and_b32_e32 v2, 0xffff, v6
	global_inv scope:SCOPE_SE
	v_pk_mul_f16 v15, v15, v133
	v_pk_mul_f16 v13, v13, v133
	;; [unrolled: 1-line block ×3, first 2 shown]
	v_mul_u32_u24_e32 v134, 0x10001, v2
	ds_load_2addr_b64 v[69:72], v39 offset1:32
	ds_load_b128 v[73:76], v55
	ds_load_b128 v[77:80], v55 offset:16
	ds_load_b128 v[4:7], v55 offset:32
	;; [unrolled: 1-line block ×3, first 2 shown]
	ds_load_2addr_b64 v[81:84], v39 offset0:64 offset1:96
	ds_load_2addr_b64 v[85:88], v39 offset0:128 offset1:160
	ds_load_2addr_b64 v[89:92], v39 offset0:192 offset1:224
	ds_load_2addr_b64 v[93:96], v60 offset1:32
	ds_load_2addr_b64 v[97:100], v60 offset0:64 offset1:96
	ds_load_2addr_b64 v[101:104], v60 offset0:128 offset1:160
	ds_load_2addr_b64 v[105:108], v60 offset0:192 offset1:224
	ds_load_2addr_b64 v[109:112], v61 offset1:32
	;; [unrolled: 4-line block ×3, first 2 shown]
	ds_load_2addr_b64 v[129:132], v62 offset0:64 offset1:96
	s_wait_dscnt 0x10
	v_and_b32_e32 v135, 0xffff, v73
	v_lshrrev_b32_e32 v73, 16, v73
	v_pk_mul_f16 v11, v11, v134
	v_pk_mul_f16 v10, v10, v134
	;; [unrolled: 1-line block ×3, first 2 shown]
	v_mul_u32_u24_e32 v135, 0x10001, v135
	v_mul_u32_u24_e32 v73, 0x10001, v73
	v_and_b32_e32 v136, 0xffff, v76
	s_wait_dscnt 0xf
	v_and_b32_e32 v137, 0xffff, v80
	v_pk_fma_f16 v15, v70, v135, v15
	v_pk_fma_f16 v13, v71, v135, v13
	;; [unrolled: 1-line block ×3, first 2 shown]
	v_pk_mul_f16 v135, v69, v135
	v_pk_fma_f16 v11, v70, v73, v11
	v_pk_fma_f16 v10, v71, v73, v10
	;; [unrolled: 1-line block ×3, first 2 shown]
	v_pk_mul_f16 v73, v69, v73
	v_pk_fma_f16 v12, v12, v133, v135
	v_and_b32_e32 v133, 0xffff, v74
	v_lshrrev_b32_e32 v74, 16, v74
	v_lshrrev_b32_e32 v135, 16, v76
	v_pk_fma_f16 v9, v9, v134, v73
	v_lshrrev_b32_e32 v134, 16, v75
	v_mul_u32_u24_e32 v133, 0x10001, v133
	v_mul_u32_u24_e32 v74, 0x10001, v74
	ds_load_2addr_b64 v[69:72], v62 offset0:128 offset1:160
	v_mul_u32_u24_e32 v134, 0x10001, v134
	s_wait_dscnt 0xd
	v_pk_fma_f16 v15, v82, v133, v15
	v_pk_fma_f16 v13, v83, v133, v13
	;; [unrolled: 1-line block ×4, first 2 shown]
	v_and_b32_e32 v133, 0xffff, v75
	v_pk_fma_f16 v11, v82, v74, v11
	v_pk_fma_f16 v10, v83, v74, v10
	;; [unrolled: 1-line block ×4, first 2 shown]
	v_mul_u32_u24_e32 v133, 0x10001, v133
	s_wait_dscnt 0xc
	v_pk_fma_f16 v11, v86, v134, v11
	v_pk_fma_f16 v10, v87, v134, v10
	;; [unrolled: 1-line block ×8, first 2 shown]
	v_mul_u32_u24_e32 v133, 0x10001, v136
	v_mul_u32_u24_e32 v134, 0x10001, v135
	v_lshrrev_b32_e32 v136, 16, v80
	ds_load_b128 v[85:88], v55 offset:64
	ds_load_2addr_b64 v[81:84], v62 offset0:192 offset1:224
	s_wait_dscnt 0xd
	v_pk_fma_f16 v15, v90, v133, v15
	v_pk_fma_f16 v13, v91, v133, v13
	;; [unrolled: 1-line block ×4, first 2 shown]
	v_and_b32_e32 v133, 0xffff, v77
	v_lshrrev_b32_e32 v77, 16, v77
	v_pk_fma_f16 v11, v90, v134, v11
	v_pk_fma_f16 v10, v91, v134, v10
	;; [unrolled: 1-line block ×4, first 2 shown]
	v_mul_u32_u24_e32 v77, 0x10001, v77
	v_mul_u32_u24_e32 v133, 0x10001, v133
	ds_load_2addr_b64 v[73:76], v63 offset1:32
	ds_load_2addr_b64 v[89:92], v63 offset0:64 offset1:96
	s_wait_dscnt 0xe
	v_pk_fma_f16 v11, v94, v77, v11
	v_pk_fma_f16 v10, v95, v77, v10
	;; [unrolled: 1-line block ×4, first 2 shown]
	v_and_b32_e32 v77, 0xffff, v78
	v_lshrrev_b32_e32 v78, 16, v78
	v_pk_fma_f16 v134, v94, v133, v15
	v_pk_fma_f16 v94, v95, v133, v13
	;; [unrolled: 1-line block ×4, first 2 shown]
	v_mul_u32_u24_e32 v77, 0x10001, v77
	v_mul_u32_u24_e32 v78, 0x10001, v78
	ds_load_2addr_b64 v[12:15], v63 offset0:128 offset1:160
	s_wait_dscnt 0xe
	v_pk_fma_f16 v133, v98, v77, v134
	v_pk_fma_f16 v98, v98, v78, v11
	;; [unrolled: 1-line block ×8, first 2 shown]
	v_and_b32_e32 v97, 0xffff, v79
	v_lshrrev_b32_e32 v79, 16, v79
	ds_load_2addr_b64 v[93:96], v63 offset0:192 offset1:224
	ds_load_2addr_b64 v[8:11], v64 offset1:32
	v_mul_u32_u24_e32 v80, 0x10001, v97
	v_mul_u32_u24_e32 v79, 0x10001, v79
	s_wait_dscnt 0xf
	s_delay_alu instid0(VALU_DEP_2)
	v_pk_fma_f16 v97, v102, v80, v133
	v_pk_fma_f16 v133, v103, v80, v134
	;; [unrolled: 1-line block ×6, first 2 shown]
	v_mul_u32_u24_e32 v103, 0x10001, v137
	v_pk_fma_f16 v100, v104, v79, v100
	v_pk_fma_f16 v101, v101, v79, v78
	v_mul_u32_u24_e32 v104, 0x10001, v136
	v_and_b32_e32 v136, 0xffff, v7
	s_wait_dscnt 0xe
	v_pk_fma_f16 v135, v106, v103, v97
	v_pk_fma_f16 v133, v107, v103, v133
	v_pk_fma_f16 v134, v108, v103, v134
	v_pk_fma_f16 v102, v105, v103, v102
	v_and_b32_e32 v103, 0xffff, v4
	v_lshrrev_b32_e32 v4, 16, v4
	v_pk_fma_f16 v106, v106, v104, v98
	v_pk_fma_f16 v107, v107, v104, v99
	;; [unrolled: 1-line block ×4, first 2 shown]
	v_mul_u32_u24_e32 v103, 0x10001, v103
	v_mul_u32_u24_e32 v4, 0x10001, v4
	ds_load_b128 v[77:80], v55 offset:80
	ds_load_2addr_b64 v[97:100], v64 offset0:64 offset1:96
	s_wait_dscnt 0xf
	v_pk_fma_f16 v105, v110, v103, v135
	v_pk_fma_f16 v106, v110, v4, v106
	v_pk_fma_f16 v107, v111, v4, v107
	v_pk_fma_f16 v108, v112, v4, v108
	v_pk_fma_f16 v110, v109, v103, v102
	v_pk_fma_f16 v4, v109, v4, v101
	v_and_b32_e32 v109, 0xffff, v5
	v_lshrrev_b32_e32 v5, 16, v5
	v_pk_fma_f16 v133, v111, v103, v133
	v_pk_fma_f16 v134, v112, v103, v134
	v_lshrrev_b32_e32 v135, 16, v7
	v_mul_u32_u24_e32 v109, 0x10001, v109
	v_mul_u32_u24_e32 v5, 0x10001, v5
	ds_load_2addr_b64 v[101:104], v64 offset0:128 offset1:160
	s_wait_dscnt 0xf
	v_pk_fma_f16 v111, v114, v109, v105
	v_pk_fma_f16 v112, v115, v109, v133
	;; [unrolled: 1-line block ×5, first 2 shown]
	v_and_b32_e32 v113, 0xffff, v6
	v_lshrrev_b32_e32 v134, 16, v6
	v_pk_fma_f16 v114, v114, v5, v106
	v_pk_fma_f16 v115, v115, v5, v107
	;; [unrolled: 1-line block ×3, first 2 shown]
	v_mul_u32_u24_e32 v113, 0x10001, v113
	v_mul_u32_u24_e32 v134, 0x10001, v134
	ds_load_2addr_b64 v[105:108], v64 offset0:192 offset1:224
	ds_load_2addr_b64 v[4:7], v65 offset1:32
	s_wait_dscnt 0x10
	v_pk_fma_f16 v137, v118, v113, v111
	v_pk_fma_f16 v138, v119, v113, v112
	;; [unrolled: 1-line block ×6, first 2 shown]
	v_lshrrev_b32_e32 v118, 16, v0
	v_and_b32_e32 v119, 0xffff, v0
	v_mul_u32_u24_e32 v0, 0x10001, v136
	v_pk_fma_f16 v116, v120, v134, v116
	v_pk_fma_f16 v117, v117, v134, v110
	v_mul_u32_u24_e32 v118, 0x10001, v118
	v_mul_u32_u24_e32 v119, 0x10001, v119
	s_wait_dscnt 0xf
	v_pk_fma_f16 v120, v122, v0, v137
	v_pk_fma_f16 v134, v123, v0, v138
	;; [unrolled: 1-line block ×4, first 2 shown]
	v_mul_u32_u24_e32 v0, 0x10001, v135
	v_lshrrev_b32_e32 v136, 16, v1
	s_wait_dscnt 0xe
	v_pk_fma_f16 v120, v126, v119, v120
	v_pk_fma_f16 v134, v127, v119, v134
	;; [unrolled: 1-line block ×7, first 2 shown]
	v_and_b32_e32 v121, 0xffff, v1
	v_pk_fma_f16 v126, v126, v118, v114
	v_pk_fma_f16 v127, v127, v118, v115
	;; [unrolled: 1-line block ×5, first 2 shown]
	s_wait_dscnt 0xb
	v_lshrrev_b32_e32 v118, 16, v85
	v_and_b32_e32 v125, 0xffff, v85
	v_mul_u32_u24_e32 v85, 0x10001, v121
	v_lshrrev_b32_e32 v122, 16, v2
	v_and_b32_e32 v123, 0xffff, v2
	v_and_b32_e32 v135, 0xffff, v3
	v_lshrrev_b32_e32 v124, 16, v3
	v_pk_fma_f16 v120, v130, v85, v120
	v_pk_fma_f16 v121, v131, v85, v134
	;; [unrolled: 1-line block ×4, first 2 shown]
	v_mul_u32_u24_e32 v85, 0x10001, v136
	v_mul_u32_u24_e32 v123, 0x10001, v123
	;; [unrolled: 1-line block ×4, first 2 shown]
	v_lshrrev_b32_e32 v134, 16, v86
	v_pk_fma_f16 v126, v130, v85, v126
	v_pk_fma_f16 v127, v131, v85, v127
	;; [unrolled: 1-line block ×12, first 2 shown]
	s_wait_dscnt 0x4
	v_lshrrev_b32_e32 v122, 16, v77
	v_and_b32_e32 v123, 0xffff, v77
	v_mul_u32_u24_e32 v77, 0x10001, v135
	v_and_b32_e32 v129, 0xffff, v86
	v_mul_u32_u24_e32 v118, 0x10001, v118
	v_lshrrev_b32_e32 v130, 16, v87
	v_and_b32_e32 v131, 0xffff, v87
	v_pk_fma_f16 v120, v82, v77, v120
	v_pk_fma_f16 v121, v83, v77, v121
	v_pk_fma_f16 v133, v84, v77, v133
	v_pk_fma_f16 v119, v81, v77, v119
	v_mul_u32_u24_e32 v77, 0x10001, v124
	v_pk_fma_f16 v120, v74, v125, v120
	v_pk_fma_f16 v121, v75, v125, v121
	;; [unrolled: 1-line block ×8, first 2 shown]
	v_mul_u32_u24_e32 v125, 0x10001, v129
	v_pk_fma_f16 v82, v74, v118, v82
	v_pk_fma_f16 v83, v75, v118, v83
	v_pk_fma_f16 v84, v76, v118, v84
	v_pk_fma_f16 v81, v73, v118, v81
	v_pk_fma_f16 v129, v92, v125, v133
	v_mul_u32_u24_e32 v133, 0x10001, v134
	v_lshrrev_b32_e32 v132, 16, v88
	v_and_b32_e32 v136, 0xffff, v88
	v_pk_fma_f16 v120, v90, v125, v120
	v_pk_fma_f16 v121, v91, v125, v121
	v_pk_fma_f16 v119, v89, v125, v119
	v_pk_fma_f16 v90, v90, v133, v82
	v_pk_fma_f16 v91, v91, v133, v83
	v_pk_fma_f16 v92, v92, v133, v84
	v_pk_fma_f16 v89, v89, v133, v81
	v_mul_u32_u24_e32 v131, 0x10001, v131
	v_mul_u32_u24_e32 v130, 0x10001, v130
	ds_load_b128 v[109:112], v55 offset:96
	v_mul_u32_u24_e32 v132, 0x10001, v132
	v_lshrrev_b32_e32 v135, 16, v78
	v_pk_fma_f16 v120, v13, v131, v120
	v_pk_fma_f16 v121, v14, v131, v121
	;; [unrolled: 1-line block ×8, first 2 shown]
	v_mul_u32_u24_e32 v131, 0x10001, v136
	v_and_b32_e32 v117, 0xffff, v78
	v_pk_fma_f16 v13, v94, v132, v13
	v_pk_fma_f16 v14, v95, v132, v14
	;; [unrolled: 1-line block ×8, first 2 shown]
	v_mul_u32_u24_e32 v95, 0x10001, v123
	v_mul_u32_u24_e32 v96, 0x10001, v122
	v_lshrrev_b32_e32 v124, 16, v79
	v_and_b32_e32 v126, 0xffff, v79
	v_mul_u32_u24_e32 v117, 0x10001, v117
	v_mul_u32_u24_e32 v122, 0x10001, v135
	v_pk_fma_f16 v120, v9, v95, v120
	v_pk_fma_f16 v9, v9, v96, v13
	;; [unrolled: 1-line block ×8, first 2 shown]
	ds_load_2addr_b64 v[0:3], v65 offset0:64 offset1:96
	v_lshrrev_b32_e32 v127, 16, v80
	v_and_b32_e32 v128, 0xffff, v80
	v_mul_u32_u24_e32 v123, 0x10001, v126
	v_mul_u32_u24_e32 v124, 0x10001, v124
	s_wait_dscnt 0x5
	v_pk_fma_f16 v12, v98, v117, v120
	v_pk_fma_f16 v9, v98, v122, v9
	;; [unrolled: 1-line block ×8, first 2 shown]
	ds_load_2addr_b64 v[113:116], v65 offset0:128 offset1:160
	ds_load_b128 v[77:80], v55 offset:112
	s_wait_dscnt 0x3
	v_lshrrev_b32_e32 v118, 16, v109
	v_and_b32_e32 v109, 0xffff, v109
	v_mul_u32_u24_e32 v126, 0x10001, v128
	v_mul_u32_u24_e32 v127, 0x10001, v127
	v_pk_fma_f16 v12, v102, v123, v12
	v_pk_fma_f16 v9, v102, v124, v9
	;; [unrolled: 1-line block ×8, first 2 shown]
	ds_load_2addr_b64 v[85:88], v65 offset0:192 offset1:224
	v_lshrrev_b32_e32 v125, 16, v110
	v_and_b32_e32 v110, 0xffff, v110
	v_mul_u32_u24_e32 v109, 0x10001, v109
	v_mul_u32_u24_e32 v118, 0x10001, v118
	v_pk_fma_f16 v12, v106, v126, v12
	v_pk_fma_f16 v9, v106, v127, v9
	;; [unrolled: 1-line block ×8, first 2 shown]
	ds_load_2addr_b64 v[69:72], v66 offset1:32
	v_lshrrev_b32_e32 v133, 16, v111
	v_and_b32_e32 v111, 0xffff, v111
	v_mul_u32_u24_e32 v110, 0x10001, v110
	v_mul_u32_u24_e32 v125, 0x10001, v125
	v_pk_fma_f16 v12, v5, v109, v12
	v_pk_fma_f16 v5, v5, v118, v9
	;; [unrolled: 1-line block ×8, first 2 shown]
	ds_load_2addr_b64 v[73:76], v66 offset0:64 offset1:96
	v_lshrrev_b32_e32 v134, 16, v112
	v_and_b32_e32 v112, 0xffff, v112
	v_mul_u32_u24_e32 v111, 0x10001, v111
	v_mul_u32_u24_e32 v128, 0x10001, v133
	s_wait_dscnt 0x5
	v_pk_fma_f16 v8, v1, v110, v12
	v_pk_fma_f16 v1, v1, v125, v5
	;; [unrolled: 1-line block ×8, first 2 shown]
	ds_load_2addr_b64 v[81:84], v66 offset0:128 offset1:160
	s_wait_dscnt 0x4
	v_lshrrev_b32_e32 v130, 16, v77
	v_and_b32_e32 v77, 0xffff, v77
	v_mul_u32_u24_e32 v112, 0x10001, v112
	v_mul_u32_u24_e32 v132, 0x10001, v134
	v_pk_fma_f16 v4, v114, v111, v8
	v_pk_fma_f16 v1, v114, v128, v1
	;; [unrolled: 1-line block ×8, first 2 shown]
	ds_load_2addr_b64 v[89:92], v66 offset0:192 offset1:224
	s_wait_loadcnt_dscnt 0x0
	s_barrier_signal -1
	s_barrier_wait -1
	global_inv scope:SCOPE_SE
	s_load_b32 s2, s[38:39], 0x4
	v_lshrrev_b32_e32 v131, 16, v78
	v_and_b32_e32 v78, 0xffff, v78
	v_mul_u32_u24_e32 v77, 0x10001, v77
	v_mul_u32_u24_e32 v130, 0x10001, v130
	v_pk_fma_f16 v4, v86, v112, v4
	v_pk_fma_f16 v1, v86, v132, v1
	v_pk_fma_f16 v5, v87, v112, v5
	v_pk_fma_f16 v2, v87, v132, v2
	v_pk_fma_f16 v6, v88, v112, v6
	v_pk_fma_f16 v3, v88, v132, v3
	v_pk_fma_f16 v7, v85, v112, v7
	v_pk_fma_f16 v0, v85, v132, v0
	v_lshrrev_b32_e32 v93, 16, v79
	v_and_b32_e32 v79, 0xffff, v79
	v_mul_u32_u24_e32 v78, 0x10001, v78
	v_mul_u32_u24_e32 v131, 0x10001, v131
	v_pk_fma_f16 v4, v70, v77, v4
	v_pk_fma_f16 v1, v70, v130, v1
	v_pk_fma_f16 v5, v71, v77, v5
	v_pk_fma_f16 v2, v71, v130, v2
	v_pk_fma_f16 v6, v72, v77, v6
	v_pk_fma_f16 v3, v72, v130, v3
	v_pk_fma_f16 v7, v69, v77, v7
	v_pk_fma_f16 v0, v69, v130, v0
	;; [unrolled: 12-line block ×3, first 2 shown]
	v_mul_u32_u24_e32 v80, 0x10001, v80
	v_mul_u32_u24_e32 v94, 0x10001, v94
	v_pk_fma_f16 v4, v82, v79, v4
	v_pk_fma_f16 v1, v82, v93, v1
	;; [unrolled: 1-line block ×8, first 2 shown]
	s_wait_kmcnt 0x0
	s_lshl_b32 s2, s2, 5
	v_pk_fma_f16 v15, v90, v80, v4
	v_pk_fma_f16 v11, v90, v94, v1
	;; [unrolled: 1-line block ×8, first 2 shown]
	s_wait_alu 0xfffe
	s_add_co_i32 s14, s2, s14
	s_wait_alu 0xfffe
	s_cmp_ge_i32 s14, s30
	s_cbranch_scc0 .LBB17_9
; %bb.10:
	v_mov_b32_e32 v3, v40
.LBB17_11:
	v_cmp_lt_i32_e32 vcc_lo, v46, v41
	s_cmp_lg_u64 s[12:13], 0
	s_cselect_b32 s2, -1, 0
	s_cmp_eq_u32 s10, 0
	s_wait_alu 0xfffd
	v_cndmask_b32_e32 v0, v3, v46, vcc_lo
	v_cmp_lt_i32_e32 vcc_lo, v45, v41
	s_cselect_b32 s3, -1, 0
	s_wait_alu 0xfffe
	s_and_b32 s2, s3, s2
	s_wait_alu 0xfffd
	v_cndmask_b32_e32 v2, v3, v45, vcc_lo
	v_cmp_lt_i32_e32 vcc_lo, v44, v41
	s_wait_alu 0xfffd
	s_delay_alu instid0(VALU_DEP_2) | instskip(SKIP_2) | instid1(VALU_DEP_3)
	v_dual_cndmask_b32 v5, v3, v44 :: v_dual_lshlrev_b32 v2, 2, v2
	v_cmp_lt_i32_e32 vcc_lo, v43, v41
	v_lshlrev_b32_e32 v0, 2, v0
	v_lshlrev_b32_e32 v5, 2, v5
	ds_bpermute_b32 v1, v0, v68
	ds_bpermute_b32 v0, v0, v67
	s_wait_dscnt 0x0
	v_dual_add_f32 v1, v68, v1 :: v_dual_add_f32 v0, v67, v0
	ds_bpermute_b32 v4, v2, v1
	ds_bpermute_b32 v2, v2, v0
	s_wait_dscnt 0x0
	v_dual_add_f32 v1, v1, v4 :: v_dual_add_f32 v0, v0, v2
	ds_bpermute_b32 v2, v5, v1
	ds_bpermute_b32 v4, v5, v0
	s_wait_alu 0xfffd
	v_cndmask_b32_e32 v5, v3, v43, vcc_lo
	v_cmp_lt_i32_e32 vcc_lo, v42, v41
	s_delay_alu instid0(VALU_DEP_2)
	v_lshlrev_b32_e32 v5, 2, v5
	s_wait_dscnt 0x0
	v_dual_add_f32 v1, v1, v2 :: v_dual_add_f32 v0, v0, v4
	ds_bpermute_b32 v2, v5, v1
	ds_bpermute_b32 v4, v5, v0
	s_wait_alu 0xfffd
	v_cndmask_b32_e32 v3, v3, v42, vcc_lo
	s_wait_alu 0xfffe
	s_and_b32 vcc_lo, exec_lo, s2
	s_wait_dscnt 0x0
	v_dual_add_f32 v1, v1, v2 :: v_dual_add_f32 v2, v0, v4
	v_lshlrev_b32_e32 v3, 2, v3
	ds_bpermute_b32 v0, v3, v1
	s_wait_dscnt 0x0
	v_add_f32_e32 v0, v1, v0
	ds_bpermute_b32 v3, v3, v2
	s_wait_dscnt 0x0
	v_add_f32_e32 v1, v2, v3
	s_wait_alu 0xfffe
	s_cbranch_vccz .LBB17_14
; %bb.12:
	v_add_nc_u32_e32 v2, s33, v37
	s_delay_alu instid0(VALU_DEP_1) | instskip(NEXT) | instid1(VALU_DEP_1)
	v_ashrrev_i32_e32 v3, 31, v2
	v_lshlrev_b64_e32 v[2:3], 2, v[2:3]
	s_delay_alu instid0(VALU_DEP_1) | instskip(SKIP_1) | instid1(VALU_DEP_2)
	v_add_co_u32 v2, vcc_lo, s12, v2
	s_wait_alu 0xfffd
	v_add_co_ci_u32_e64 v3, null, s13, v3, vcc_lo
	global_load_b64 v[2:3], v[2:3], off
	v_max_num_f32_e32 v4, v35, v35
	s_wait_loadcnt 0x0
	v_dual_max_num_f32 v6, v36, v36 :: v_dual_max_num_f32 v5, v2, v2
	s_delay_alu instid0(VALU_DEP_1) | instskip(NEXT) | instid1(VALU_DEP_1)
	v_dual_max_num_f32 v7, v3, v3 :: v_dual_max_num_f32 v4, v4, v5
	v_dual_max_num_f32 v5, v6, v7 :: v_dual_sub_f32 v6, v35, v4
	s_delay_alu instid0(VALU_DEP_1) | instskip(SKIP_2) | instid1(VALU_DEP_4)
	v_sub_f32_e32 v7, v36, v5
	v_dual_sub_f32 v3, v3, v5 :: v_dual_sub_f32 v2, v2, v4
	v_mov_b32_e32 v36, v5
	v_cmp_ngt_f32_e32 vcc_lo, 0xc2ce8ed0, v6
	s_delay_alu instid0(VALU_DEP_4) | instskip(NEXT) | instid1(VALU_DEP_4)
	v_mul_f32_e32 v20, 0x3fb8aa3b, v7
	v_mul_f32_e32 v21, 0x3fb8aa3b, v3
	v_mul_f32_e32 v19, 0x3fb8aa3b, v2
	v_mov_b32_e32 v35, v4
	s_delay_alu instid0(VALU_DEP_4) | instskip(NEXT) | instid1(VALU_DEP_4)
	v_fma_f32 v26, 0x3fb8aa3b, v7, -v20
	v_fma_f32 v28, 0x3fb8aa3b, v3, -v21
	s_delay_alu instid0(VALU_DEP_4) | instskip(SKIP_3) | instid1(VALU_DEP_4)
	v_rndne_f32_e32 v25, v19
	v_mul_f32_e32 v18, 0x3fb8aa3b, v6
	v_fma_f32 v24, 0x3fb8aa3b, v2, -v19
	v_rndne_f32_e32 v29, v21
	v_dual_fmac_f32 v28, 0x32a5705f, v3 :: v_dual_sub_f32 v19, v19, v25
	s_delay_alu instid0(VALU_DEP_4) | instskip(SKIP_1) | instid1(VALU_DEP_4)
	v_fma_f32 v22, 0x3fb8aa3b, v6, -v18
	v_rndne_f32_e32 v23, v18
	v_sub_f32_e32 v21, v21, v29
	v_rndne_f32_e32 v27, v20
	v_fmac_f32_e32 v24, 0x32a5705f, v2
	v_fmac_f32_e32 v22, 0x32a5705f, v6
	s_delay_alu instid0(VALU_DEP_4) | instskip(NEXT) | instid1(VALU_DEP_3)
	v_dual_fmac_f32 v26, 0x32a5705f, v7 :: v_dual_add_f32 v21, v21, v28
	v_dual_sub_f32 v18, v18, v23 :: v_dual_add_f32 v19, v19, v24
	v_sub_f32_e32 v20, v20, v27
	v_cvt_i32_f32_e32 v24, v27
	s_delay_alu instid0(VALU_DEP_4) | instskip(NEXT) | instid1(VALU_DEP_3)
	v_exp_f32_e32 v21, v21
	v_add_f32_e32 v18, v18, v22
	v_cvt_i32_f32_e32 v22, v23
	v_add_f32_e32 v20, v20, v26
	v_exp_f32_e32 v19, v19
	v_cvt_i32_f32_e32 v23, v25
	v_exp_f32_e32 v18, v18
	s_delay_alu instid0(VALU_DEP_2)
	v_exp_f32_e32 v20, v20
	s_delay_alu instid0(TRANS32_DEP_3) | instid1(VALU_DEP_1)
	v_ldexp_f32 v19, v19, v23
	s_delay_alu instid0(TRANS32_DEP_2) | instskip(SKIP_1) | instid1(TRANS32_DEP_1)
	v_ldexp_f32 v18, v18, v22
	v_cvt_i32_f32_e32 v22, v29
	v_ldexp_f32 v20, v20, v24
	s_wait_alu 0xfffd
	s_delay_alu instid0(VALU_DEP_3)
	v_cndmask_b32_e32 v18, 0, v18, vcc_lo
	v_cmp_ngt_f32_e32 vcc_lo, 0xc2ce8ed0, v7
	v_ldexp_f32 v21, v21, v22
	s_wait_alu 0xfffd
	v_cndmask_b32_e32 v20, 0, v20, vcc_lo
	v_cmp_nlt_f32_e32 vcc_lo, 0x42b17218, v6
	s_wait_alu 0xfffd
	v_cndmask_b32_e32 v6, 0x7f800000, v18, vcc_lo
	v_cmp_ngt_f32_e32 vcc_lo, 0xc2ce8ed0, v2
	s_wait_alu 0xfffd
	v_cndmask_b32_e32 v18, 0, v19, vcc_lo
	v_cmp_nlt_f32_e32 vcc_lo, 0x42b17218, v7
	v_cvt_f16_f32_e32 v19, v6
	s_wait_alu 0xfffd
	v_cndmask_b32_e32 v7, 0x7f800000, v20, vcc_lo
	v_cmp_ngt_f32_e32 vcc_lo, 0xc2ce8ed0, v3
	s_wait_alu 0xfffd
	v_dual_cndmask_b32 v20, 0, v21 :: v_dual_and_b32 v19, 0xffff, v19
	v_cmp_nlt_f32_e32 vcc_lo, 0x42b17218, v2
	s_wait_alu 0xfffd
	v_cndmask_b32_e32 v2, 0x7f800000, v18, vcc_lo
	v_cvt_f16_f32_e32 v18, v7
	v_cmp_nlt_f32_e32 vcc_lo, 0x42b17218, v3
	s_delay_alu instid0(VALU_DEP_3) | instskip(NEXT) | instid1(VALU_DEP_3)
	v_fmac_f32_e32 v2, v0, v6
	v_and_b32_e32 v6, 0xffff, v18
	s_wait_alu 0xfffd
	v_cndmask_b32_e32 v3, 0x7f800000, v20, vcc_lo
	v_mul_u32_u24_e32 v18, 0x10001, v19
	s_delay_alu instid0(VALU_DEP_2) | instskip(SKIP_1) | instid1(VALU_DEP_3)
	v_dual_mov_b32 v0, v2 :: v_dual_fmac_f32 v3, v1, v7
	v_mul_u32_u24_e32 v1, 0x10001, v6
	v_pk_mul_f16 v12, v12, v18
	v_pk_mul_f16 v15, v15, v18
	;; [unrolled: 1-line block ×8, first 2 shown]
	v_mov_b32_e32 v1, v3
	s_mov_b32 s2, exec_lo
	v_cmpx_gt_i32_e64 s22, v16
	s_cbranch_execnz .LBB17_15
.LBB17_13:
	s_nop 0
	s_sendmsg sendmsg(MSG_DEALLOC_VGPRS)
	s_endpgm
.LBB17_14:
	s_delay_alu instid0(VALU_DEP_1)
	v_dual_mov_b32 v3, v1 :: v_dual_mov_b32 v2, v0
	s_mov_b32 s2, exec_lo
	v_cmpx_gt_i32_e64 s22, v16
	s_cbranch_execz .LBB17_13
.LBB17_15:
	s_load_b32 s1, s[0:1], 0xd4
	v_mov_b32_e32 v6, 1.0
	s_wait_kmcnt 0x0
	s_cmp_lg_u32 s1, 1
	s_cselect_b32 s3, -1, 0
	s_cmp_eq_u32 s1, 1
	s_cselect_b32 s2, -1, 0
	s_wait_alu 0xfffe
	s_and_b32 vcc_lo, exec_lo, s3
	s_wait_alu 0xfffe
	s_cbranch_vccnz .LBB17_17
; %bb.16:
	v_div_scale_f32 v4, null, v0, v0, 1.0
	s_delay_alu instid0(VALU_DEP_1) | instskip(NEXT) | instid1(TRANS32_DEP_1)
	v_rcp_f32_e32 v5, v4
	v_fma_f32 v6, -v4, v5, 1.0
	s_delay_alu instid0(VALU_DEP_1) | instskip(SKIP_1) | instid1(VALU_DEP_1)
	v_fmac_f32_e32 v5, v6, v5
	v_div_scale_f32 v6, vcc_lo, 1.0, v0, 1.0
	v_mul_f32_e32 v7, v6, v5
	s_delay_alu instid0(VALU_DEP_1) | instskip(NEXT) | instid1(VALU_DEP_1)
	v_fma_f32 v18, -v4, v7, v6
	v_fmac_f32_e32 v7, v18, v5
	s_delay_alu instid0(VALU_DEP_1) | instskip(SKIP_1) | instid1(VALU_DEP_1)
	v_fma_f32 v4, -v4, v7, v6
	s_wait_alu 0xfffd
	v_div_fmas_f32 v4, v4, v5, v7
	s_delay_alu instid0(VALU_DEP_1)
	v_div_fixup_f32 v6, v4, v0, 1.0
.LBB17_17:
	v_mad_co_u64_u32 v[4:5], null, s28, s22, v[16:17]
	v_cmp_eq_u32_e32 vcc_lo, 0, v17
	v_lshrrev_b32_e32 v7, 16, v15
	v_cvt_f32_f16_e32 v15, v15
	v_lshrrev_b32_e32 v16, 16, v12
	v_mov_b32_e32 v21, 0
	v_lshrrev_b32_e32 v17, 16, v14
	v_mul_lo_u32 v0, v4, s23
	v_cvt_f32_f16_e32 v12, v12
	v_cvt_f32_f16_e32 v7, v7
	;; [unrolled: 1-line block ×4, first 2 shown]
	s_delay_alu instid0(VALU_DEP_4) | instskip(SKIP_1) | instid1(VALU_DEP_1)
	v_mul_f32_e32 v12, v6, v12
	v_add3_u32 v0, s33, v37, v0
	v_mad_co_u64_u32 v[4:5], null, s1, v0, s[10:11]
	v_cvt_f32_f16_e32 v0, v14
	v_lshrrev_b32_e32 v5, 16, v13
	v_cvt_f32_f16_e32 v13, v13
	v_mul_f32_e32 v14, v6, v15
	v_mul_f32_e32 v15, v6, v7
	;; [unrolled: 1-line block ×3, first 2 shown]
	v_lshl_add_u32 v20, v4, 8, v38
	v_cvt_f32_f16_e32 v0, v5
	v_mul_f32_e32 v16, v6, v13
	v_mul_f32_e32 v13, v6, v19
	;; [unrolled: 1-line block ×3, first 2 shown]
	v_lshlrev_b64_e32 v[22:23], 2, v[20:21]
	v_add_nc_u32_e32 v20, 0x80, v20
	v_mul_f32_e32 v17, v6, v0
	s_delay_alu instid0(VALU_DEP_2) | instskip(NEXT) | instid1(VALU_DEP_4)
	v_lshlrev_b64_e32 v[5:6], 2, v[20:21]
	v_add_co_u32 v20, s0, s16, v22
	s_wait_alu 0xf1ff
	v_add_co_ci_u32_e64 v21, null, s17, v23, s0
	s_delay_alu instid0(VALU_DEP_3)
	v_add_co_u32 v5, s0, s16, v5
	s_wait_alu 0xf1ff
	v_add_co_ci_u32_e64 v6, null, s17, v6, s0
	s_and_b32 s0, vcc_lo, s3
	s_clause 0x1
	global_store_b128 v[20:21], v[12:15], off
	global_store_b128 v[5:6], v[16:19], off
	s_wait_alu 0xfffe
	s_and_saveexec_b32 s3, s0
	s_cbranch_execz .LBB17_19
; %bb.18:
	v_ashrrev_i32_e32 v5, 31, v4
	v_dual_mov_b32 v12, v35 :: v_dual_mov_b32 v13, v2
	s_delay_alu instid0(VALU_DEP_2) | instskip(NEXT) | instid1(VALU_DEP_1)
	v_lshlrev_b64_e32 v[5:6], 3, v[4:5]
	v_add_co_u32 v5, vcc_lo, s18, v5
	s_wait_alu 0xfffd
	s_delay_alu instid0(VALU_DEP_2)
	v_add_co_ci_u32_e64 v6, null, s19, v6, vcc_lo
	global_store_b64 v[5:6], v[12:13], off
.LBB17_19:
	s_wait_alu 0xfffe
	s_or_b32 exec_lo, exec_lo, s3
	v_mov_b32_e32 v2, 1.0
	s_and_not1_b32 vcc_lo, exec_lo, s2
	s_wait_alu 0xfffe
	s_cbranch_vccnz .LBB17_21
; %bb.20:
	v_div_scale_f32 v0, null, v1, v1, 1.0
	s_delay_alu instid0(VALU_DEP_1) | instskip(NEXT) | instid1(TRANS32_DEP_1)
	v_rcp_f32_e32 v2, v0
	v_fma_f32 v5, -v0, v2, 1.0
	s_delay_alu instid0(VALU_DEP_1) | instskip(SKIP_1) | instid1(VALU_DEP_1)
	v_fmac_f32_e32 v2, v5, v2
	v_div_scale_f32 v5, vcc_lo, 1.0, v1, 1.0
	v_mul_f32_e32 v6, v5, v2
	s_delay_alu instid0(VALU_DEP_1) | instskip(NEXT) | instid1(VALU_DEP_1)
	v_fma_f32 v7, -v0, v6, v5
	v_fmac_f32_e32 v6, v7, v2
	s_delay_alu instid0(VALU_DEP_1) | instskip(SKIP_1) | instid1(VALU_DEP_1)
	v_fma_f32 v0, -v0, v6, v5
	s_wait_alu 0xfffd
	v_div_fmas_f32 v0, v0, v2, v6
	s_delay_alu instid0(VALU_DEP_1)
	v_div_fixup_f32 v2, v0, v1, 1.0
.LBB17_21:
	v_lshrrev_b32_e32 v1, 16, v11
	v_cvt_f32_f16_e32 v5, v11
	v_cvt_f32_f16_e32 v17, v10
	s_delay_alu instid0(VALU_DEP_3) | instskip(SKIP_3) | instid1(VALU_DEP_4)
	v_cvt_f32_f16_e32 v1, v1
	v_add_nc_u32_e32 v0, s1, v4
	v_lshrrev_b32_e32 v4, 16, v9
	v_cvt_f32_f16_e32 v9, v9
	v_mul_f32_e32 v7, v2, v1
	s_delay_alu instid0(VALU_DEP_4) | instskip(NEXT) | instid1(VALU_DEP_4)
	v_lshl_add_u32 v11, v0, 8, v38
	v_cvt_f32_f16_e32 v4, v4
	v_mov_b32_e32 v12, 0
	v_mul_f32_e32 v6, v2, v5
	v_lshrrev_b32_e32 v1, 16, v8
	v_cvt_f32_f16_e32 v8, v8
	v_mul_f32_e32 v5, v2, v4
	v_lshlrev_b64_e32 v[13:14], 2, v[11:12]
	v_dual_mul_f32 v4, v2, v9 :: v_dual_add_nc_u32 v11, 0x80, v11
	v_lshrrev_b32_e32 v9, 16, v10
	v_cvt_f32_f16_e32 v1, v1
	v_mul_f32_e32 v10, v2, v8
	s_delay_alu instid0(VALU_DEP_4)
	v_lshlrev_b64_e32 v[15:16], 2, v[11:12]
	v_add_co_u32 v13, vcc_lo, s16, v13
	v_cvt_f32_f16_e32 v9, v9
	s_wait_alu 0xfffd
	v_add_co_ci_u32_e64 v14, null, s17, v14, vcc_lo
	v_mul_f32_e32 v11, v2, v1
	v_add_co_u32 v1, vcc_lo, s16, v15
	v_mul_f32_e32 v9, v2, v9
	v_mul_f32_e32 v8, v2, v17
	s_wait_alu 0xfffd
	v_add_co_ci_u32_e64 v2, null, s17, v16, vcc_lo
	s_clause 0x1
	global_store_b128 v[13:14], v[4:7], off
	global_store_b128 v[1:2], v[8:11], off
	s_and_b32 exec_lo, exec_lo, s0
	s_cbranch_execz .LBB17_13
; %bb.22:
	v_ashrrev_i32_e32 v1, 31, v0
	v_mov_b32_e32 v2, v36
	s_delay_alu instid0(VALU_DEP_2) | instskip(NEXT) | instid1(VALU_DEP_1)
	v_lshlrev_b64_e32 v[0:1], 3, v[0:1]
	v_add_co_u32 v0, vcc_lo, s18, v0
	s_wait_alu 0xfffd
	s_delay_alu instid0(VALU_DEP_2)
	v_add_co_ci_u32_e64 v1, null, s19, v1, vcc_lo
	global_store_b64 v[0:1], v[2:3], off
	s_nop 0
	s_sendmsg sendmsg(MSG_DEALLOC_VGPRS)
	s_endpgm
	.section	.rodata,"a",@progbits
	.p2align	6, 0x0
	.amdhsa_kernel _ZL15flash_attn_tileILi256ELi256ELi4ELi4ELb0EEvPKcS1_S1_S1_S1_PKiPfP15HIP_vector_typeIfLj2EEffffjfiS5_IjLj3EEiiiiiiiiiiiliiliiiiil
		.amdhsa_group_segment_fixed_size 26112
		.amdhsa_private_segment_fixed_size 0
		.amdhsa_kernarg_size 464
		.amdhsa_user_sgpr_count 2
		.amdhsa_user_sgpr_dispatch_ptr 0
		.amdhsa_user_sgpr_queue_ptr 0
		.amdhsa_user_sgpr_kernarg_segment_ptr 1
		.amdhsa_user_sgpr_dispatch_id 0
		.amdhsa_user_sgpr_private_segment_size 0
		.amdhsa_wavefront_size32 1
		.amdhsa_uses_dynamic_stack 0
		.amdhsa_enable_private_segment 0
		.amdhsa_system_sgpr_workgroup_id_x 1
		.amdhsa_system_sgpr_workgroup_id_y 1
		.amdhsa_system_sgpr_workgroup_id_z 1
		.amdhsa_system_sgpr_workgroup_info 0
		.amdhsa_system_vgpr_workitem_id 1
		.amdhsa_next_free_vgpr 139
		.amdhsa_next_free_sgpr 42
		.amdhsa_reserve_vcc 1
		.amdhsa_float_round_mode_32 0
		.amdhsa_float_round_mode_16_64 0
		.amdhsa_float_denorm_mode_32 3
		.amdhsa_float_denorm_mode_16_64 3
		.amdhsa_fp16_overflow 0
		.amdhsa_workgroup_processor_mode 1
		.amdhsa_memory_ordered 1
		.amdhsa_forward_progress 1
		.amdhsa_inst_pref_size 79
		.amdhsa_round_robin_scheduling 0
		.amdhsa_exception_fp_ieee_invalid_op 0
		.amdhsa_exception_fp_denorm_src 0
		.amdhsa_exception_fp_ieee_div_zero 0
		.amdhsa_exception_fp_ieee_overflow 0
		.amdhsa_exception_fp_ieee_underflow 0
		.amdhsa_exception_fp_ieee_inexact 0
		.amdhsa_exception_int_div_zero 0
	.end_amdhsa_kernel
	.section	.text._ZL15flash_attn_tileILi256ELi256ELi4ELi4ELb0EEvPKcS1_S1_S1_S1_PKiPfP15HIP_vector_typeIfLj2EEffffjfiS5_IjLj3EEiiiiiiiiiiiliiliiiiil,"axG",@progbits,_ZL15flash_attn_tileILi256ELi256ELi4ELi4ELb0EEvPKcS1_S1_S1_S1_PKiPfP15HIP_vector_typeIfLj2EEffffjfiS5_IjLj3EEiiiiiiiiiiiliiliiiiil,comdat
.Lfunc_end17:
	.size	_ZL15flash_attn_tileILi256ELi256ELi4ELi4ELb0EEvPKcS1_S1_S1_S1_PKiPfP15HIP_vector_typeIfLj2EEffffjfiS5_IjLj3EEiiiiiiiiiiiliiliiiiil, .Lfunc_end17-_ZL15flash_attn_tileILi256ELi256ELi4ELi4ELb0EEvPKcS1_S1_S1_S1_PKiPfP15HIP_vector_typeIfLj2EEffffjfiS5_IjLj3EEiiiiiiiiiiiliiliiiiil
                                        ; -- End function
	.set _ZL15flash_attn_tileILi256ELi256ELi4ELi4ELb0EEvPKcS1_S1_S1_S1_PKiPfP15HIP_vector_typeIfLj2EEffffjfiS5_IjLj3EEiiiiiiiiiiiliiliiiiil.num_vgpr, 139
	.set _ZL15flash_attn_tileILi256ELi256ELi4ELi4ELb0EEvPKcS1_S1_S1_S1_PKiPfP15HIP_vector_typeIfLj2EEffffjfiS5_IjLj3EEiiiiiiiiiiiliiliiiiil.num_agpr, 0
	.set _ZL15flash_attn_tileILi256ELi256ELi4ELi4ELb0EEvPKcS1_S1_S1_S1_PKiPfP15HIP_vector_typeIfLj2EEffffjfiS5_IjLj3EEiiiiiiiiiiiliiliiiiil.numbered_sgpr, 42
	.set _ZL15flash_attn_tileILi256ELi256ELi4ELi4ELb0EEvPKcS1_S1_S1_S1_PKiPfP15HIP_vector_typeIfLj2EEffffjfiS5_IjLj3EEiiiiiiiiiiiliiliiiiil.num_named_barrier, 0
	.set _ZL15flash_attn_tileILi256ELi256ELi4ELi4ELb0EEvPKcS1_S1_S1_S1_PKiPfP15HIP_vector_typeIfLj2EEffffjfiS5_IjLj3EEiiiiiiiiiiiliiliiiiil.private_seg_size, 0
	.set _ZL15flash_attn_tileILi256ELi256ELi4ELi4ELb0EEvPKcS1_S1_S1_S1_PKiPfP15HIP_vector_typeIfLj2EEffffjfiS5_IjLj3EEiiiiiiiiiiiliiliiiiil.uses_vcc, 1
	.set _ZL15flash_attn_tileILi256ELi256ELi4ELi4ELb0EEvPKcS1_S1_S1_S1_PKiPfP15HIP_vector_typeIfLj2EEffffjfiS5_IjLj3EEiiiiiiiiiiiliiliiiiil.uses_flat_scratch, 0
	.set _ZL15flash_attn_tileILi256ELi256ELi4ELi4ELb0EEvPKcS1_S1_S1_S1_PKiPfP15HIP_vector_typeIfLj2EEffffjfiS5_IjLj3EEiiiiiiiiiiiliiliiiiil.has_dyn_sized_stack, 0
	.set _ZL15flash_attn_tileILi256ELi256ELi4ELi4ELb0EEvPKcS1_S1_S1_S1_PKiPfP15HIP_vector_typeIfLj2EEffffjfiS5_IjLj3EEiiiiiiiiiiiliiliiiiil.has_recursion, 0
	.set _ZL15flash_attn_tileILi256ELi256ELi4ELi4ELb0EEvPKcS1_S1_S1_S1_PKiPfP15HIP_vector_typeIfLj2EEffffjfiS5_IjLj3EEiiiiiiiiiiiliiliiiiil.has_indirect_call, 0
	.section	.AMDGPU.csdata,"",@progbits
; Kernel info:
; codeLenInByte = 10060
; TotalNumSgprs: 44
; NumVgprs: 139
; ScratchSize: 0
; MemoryBound: 0
; FloatMode: 240
; IeeeMode: 1
; LDSByteSize: 26112 bytes/workgroup (compile time only)
; SGPRBlocks: 0
; VGPRBlocks: 17
; NumSGPRsForWavesPerEU: 44
; NumVGPRsForWavesPerEU: 139
; Occupancy: 10
; WaveLimiterHint : 1
; COMPUTE_PGM_RSRC2:SCRATCH_EN: 0
; COMPUTE_PGM_RSRC2:USER_SGPR: 2
; COMPUTE_PGM_RSRC2:TRAP_HANDLER: 0
; COMPUTE_PGM_RSRC2:TGID_X_EN: 1
; COMPUTE_PGM_RSRC2:TGID_Y_EN: 1
; COMPUTE_PGM_RSRC2:TGID_Z_EN: 1
; COMPUTE_PGM_RSRC2:TIDIG_COMP_CNT: 1
	.section	.text._ZL33flash_attn_stream_k_fixup_uniformILi256ELi4ELi4EEvPfPK15HIP_vector_typeIfLj2EEiiiiiiS1_IjLj3EES5_S5_,"axG",@progbits,_ZL33flash_attn_stream_k_fixup_uniformILi256ELi4ELi4EEvPfPK15HIP_vector_typeIfLj2EEiiiiiiS1_IjLj3EES5_S5_,comdat
	.globl	_ZL33flash_attn_stream_k_fixup_uniformILi256ELi4ELi4EEvPfPK15HIP_vector_typeIfLj2EEiiiiiiS1_IjLj3EES5_S5_ ; -- Begin function _ZL33flash_attn_stream_k_fixup_uniformILi256ELi4ELi4EEvPfPK15HIP_vector_typeIfLj2EEiiiiiiS1_IjLj3EES5_S5_
	.p2align	8
	.type	_ZL33flash_attn_stream_k_fixup_uniformILi256ELi4ELi4EEvPfPK15HIP_vector_typeIfLj2EEiiiiiiS1_IjLj3EES5_S5_,@function
_ZL33flash_attn_stream_k_fixup_uniformILi256ELi4ELi4EEvPfPK15HIP_vector_typeIfLj2EEiiiiiiS1_IjLj3EES5_S5_: ; @_ZL33flash_attn_stream_k_fixup_uniformILi256ELi4ELi4EEvPfPK15HIP_vector_typeIfLj2EEiiiiiiS1_IjLj3EES5_S5_
; %bb.0:
	s_clause 0x1
	s_load_b256 s[4:11], s[0:1], 0x1c
	s_load_b128 s[12:15], s[0:1], 0x3c
	s_wait_kmcnt 0x0
	s_mul_hi_u32 s2, s7, ttmp9
	s_delay_alu instid0(SALU_CYCLE_1) | instskip(NEXT) | instid1(SALU_CYCLE_1)
	s_add_co_i32 s2, ttmp9, s2
	s_lshr_b32 s2, s2, s8
	s_delay_alu instid0(SALU_CYCLE_1) | instskip(SKIP_2) | instid1(SALU_CYCLE_1)
	s_mul_i32 s3, s2, s9
	s_load_b64 s[8:9], s[0:1], 0x10
	s_sub_co_i32 s7, ttmp9, s3
	s_mul_hi_u32 s3, s7, s10
	s_delay_alu instid0(SALU_CYCLE_1) | instskip(NEXT) | instid1(SALU_CYCLE_1)
	s_add_co_i32 s3, s7, s3
	s_lshr_b32 s3, s3, s11
	s_delay_alu instid0(SALU_CYCLE_1) | instskip(NEXT) | instid1(SALU_CYCLE_1)
	s_mul_i32 s10, s3, s12
	s_sub_co_i32 s7, s7, s10
	s_delay_alu instid0(SALU_CYCLE_1) | instskip(NEXT) | instid1(SALU_CYCLE_1)
	s_mul_hi_u32 s10, s7, s13
	s_add_co_i32 s10, s7, s10
	s_delay_alu instid0(SALU_CYCLE_1) | instskip(NEXT) | instid1(SALU_CYCLE_1)
	s_lshr_b32 s12, s10, s14
	s_mul_i32 s10, s12, s15
	s_lshl_b32 s12, s12, 2
	s_sub_co_i32 s11, s7, s10
	s_and_b32 s7, ttmp7, 0xffff
	s_lshl_b32 s13, s11, 2
	s_lshr_b32 s10, ttmp7, 16
	s_add_co_i32 s13, s13, s7
	s_wait_kmcnt 0x0
	s_cmp_lt_i32 s13, s8
	s_cselect_b32 s13, -1, 0
	s_add_co_i32 s14, s12, s10
	s_delay_alu instid0(SALU_CYCLE_1) | instskip(SKIP_1) | instid1(SALU_CYCLE_1)
	s_cmp_lt_i32 s14, s5
	s_cselect_b32 s14, -1, 0
	s_and_b32 s13, s13, s14
	s_delay_alu instid0(SALU_CYCLE_1)
	s_and_not1_b32 vcc_lo, exec_lo, s13
	s_cbranch_vccnz .LBB18_6
; %bb.1:
	s_mul_i32 s2, s2, s8
	s_mul_i32 s5, s3, s5
	s_add_co_i32 s2, s2, s7
	s_delay_alu instid0(SALU_CYCLE_1) | instskip(NEXT) | instid1(SALU_CYCLE_1)
	s_mul_i32 s2, s2, s9
	s_add_co_i32 s8, s2, s10
	s_load_b128 s[0:3], s[0:1], 0x0
	s_add_co_i32 s5, s8, s5
	s_mul_i32 s8, s9, s11
	s_add_co_i32 s5, s5, s12
	s_lshl_b32 s8, s8, 10
	s_lshl_b32 s5, s5, 8
	s_delay_alu instid0(SALU_CYCLE_1)
	s_add_co_i32 s8, s8, s5
	s_lshl_b32 s5, s7, 2
	v_or_b32_e32 v1, s8, v0
	s_mul_i32 s8, s6, ttmp9
	s_wait_alu 0xfffe
	s_add_co_i32 s9, s8, s6
	s_wait_alu 0xfffe
	s_add_co_i32 s12, s9, -2
	v_ashrrev_i32_e32 v2, 31, v1
	s_delay_alu instid0(VALU_DEP_1) | instskip(SKIP_1) | instid1(VALU_DEP_1)
	v_lshlrev_b64_e32 v[1:2], 2, v[1:2]
	s_wait_kmcnt 0x0
	v_add_co_u32 v1, vcc_lo, s0, v1
	s_delay_alu instid0(VALU_DEP_1)
	v_add_co_ci_u32_e64 v2, null, s1, v2, vcc_lo
	s_add_co_i32 s0, s5, s10
	s_lshl_b32 s1, s9, 4
	global_load_b32 v5, v[1:2], off
	s_wait_alu 0xfffe
	s_add_co_i32 s0, s0, s1
	s_wait_alu 0xfffe
	s_add_co_i32 s0, s0, -16
	s_wait_alu 0xfffe
	s_ashr_i32 s1, s0, 31
	s_wait_alu 0xfffe
	s_lshl_b64 s[0:1], s[0:1], 3
	s_cmp_lt_i32 s12, s8
	s_wait_alu 0xfffe
	s_add_nc_u64 s[0:1], s[2:3], s[0:1]
	s_load_b32 s11, s[0:1], 0x4
	s_cbranch_scc1 .LBB18_4
; %bb.2:
	s_load_b32 s0, s[0:1], 0x0
	s_add_co_i32 s13, ttmp9, 1
	s_lshl_b32 s12, s4, 6
	s_mul_i32 s1, s6, s13
	s_lshl_b32 s6, s7, 10
	s_lshl_b32 s7, s10, 8
	s_wait_alu 0xfffe
	s_lshl_b32 s14, s1, 12
	s_add_co_i32 s6, s7, s6
	s_lshl_b32 s1, s1, 4
	s_add_co_i32 s14, s6, s14
	s_wait_alu 0xfffe
	s_add_co_i32 s1, s10, s1
	v_or_b32_e32 v0, s14, v0
	s_lshl_b32 s4, s4, 4
	s_ashr_i32 s13, s12, 31
	s_wait_alu 0xfffe
	s_add_co_i32 s1, s1, s4
	s_wait_kmcnt 0x0
	v_dual_mov_b32 v6, s11 :: v_dual_add_nc_u32 v3, 0xffffe000, v0
	s_lshl_b64 s[6:7], s[12:13], 2
	s_wait_alu 0xfffe
	s_add_co_i32 s4, s1, s5
	s_add_nc_u64 s[6:7], s[2:3], s[6:7]
	s_add_co_i32 s1, s9, -1
	s_sub_co_i32 s4, s4, 32
.LBB18_3:                               ; =>This Inner Loop Header: Depth=1
	v_ashrrev_i32_e32 v4, 31, v3
	s_ashr_i32 s5, s4, 31
	v_mov_b32_e32 v10, v6
	s_lshl_b64 s[10:11], s[4:5], 3
	s_wait_loadcnt 0x0
	v_mov_b32_e32 v9, v5
	v_lshlrev_b64_e32 v[7:8], 2, v[3:4]
	s_wait_alu 0xfffe
	s_add_nc_u64 s[10:11], s[2:3], s[10:11]
	v_max_num_f32_e64 v4, s0, s0
	s_load_b64 s[10:11], s[10:11], 0x0
	v_add_nc_u32_e32 v3, 0xfffff000, v3
	v_add_co_u32 v7, vcc_lo, s6, v7
	s_wait_alu 0xfffd
	v_add_co_ci_u32_e64 v8, null, s7, v8, vcc_lo
	v_readfirstlane_b32 s5, v4
	global_load_b32 v0, v[7:8], off
	s_wait_kmcnt 0x0
	v_max_num_f32_e64 v4, s10, s10
	s_delay_alu instid0(VALU_DEP_1) | instskip(SKIP_1) | instid1(SALU_CYCLE_3)
	v_readfirstlane_b32 s9, v4
	s_max_num_f32 s5, s5, s9
	s_sub_f32 s0, s0, s5
	s_sub_f32 s9, s10, s5
	s_wait_alu 0xfffe
	s_delay_alu instid0(SALU_CYCLE_1) | instskip(NEXT) | instid1(SALU_CYCLE_1)
	s_mul_f32 s10, s0, 0x3fb8aa3b
	s_mul_f32 s12, s9, 0x3fb8aa3b
	s_wait_alu 0xfffe
	s_delay_alu instid0(SALU_CYCLE_1)
	s_xor_b32 s13, s10, 0x80000000
	s_rndne_f32 s14, s10
	s_fmamk_f32 s13, s0, 0x3fb8aa3b, s13
	s_cmp_nlt_f32 s0, 0xc2ce8ed0
	s_rndne_f32 s15, s12
	s_wait_alu 0xfffe
	s_sub_f32 s10, s10, s14
	s_fmamk_f32 s13, s0, 0x32a5705f, s13
	s_cvt_i32_f32 s14, s14
	s_cselect_b32 vcc_lo, -1, 0
	s_cmp_ngt_f32 s0, 0x42b17218
	s_wait_alu 0xfffe
	s_add_f32 s10, s10, s13
	s_sub_f32 s13, s12, s15
	s_wait_alu 0xfffe
	s_delay_alu instid0(SALU_CYCLE_1) | instskip(SKIP_1) | instid1(TRANS32_DEP_1)
	v_s_exp_f32 s10, s10
	s_wait_alu 0xf1ff
	v_ldexp_f32 v4, s10, s14
	s_cvt_i32_f32 s10, s15
	s_delay_alu instid0(VALU_DEP_1) | instskip(SKIP_3) | instid1(VALU_DEP_1)
	v_cndmask_b32_e32 v4, 0, v4, vcc_lo
	s_cselect_b32 vcc_lo, -1, 0
	s_cmp_ge_f32 s0, 0xc1a00000
	s_wait_alu 0xfffe
	v_cndmask_b32_e32 v4, 0x7f800000, v4, vcc_lo
	s_cselect_b32 vcc_lo, -1, 0
	s_xor_b32 s0, s12, 0x80000000
	s_cmp_nlt_f32 s9, 0xc2ce8ed0
	s_wait_alu 0xfffe
	s_fmamk_f32 s0, s9, 0x3fb8aa3b, s0
	s_wait_alu 0xfffe
	s_delay_alu instid0(SALU_CYCLE_2) | instskip(SKIP_1) | instid1(SALU_CYCLE_2)
	s_fmamk_f32 s0, s9, 0x32a5705f, s0
	s_wait_alu 0xfffe
	s_add_f32 s0, s13, s0
	s_wait_alu 0xfffe
	s_delay_alu instid0(SALU_CYCLE_2) | instskip(SKIP_1) | instid1(TRANS32_DEP_1)
	v_s_exp_f32 s0, s0
	s_wait_alu 0xf1ff
	v_ldexp_f32 v7, s0, s10
	s_cselect_b32 s0, -1, 0
	s_cmp_ngt_f32 s9, 0x42b17218
	s_wait_alu 0xfffe
	s_delay_alu instid0(VALU_DEP_1) | instskip(SKIP_3) | instid1(VALU_DEP_1)
	v_cndmask_b32_e64 v7, 0, v7, s0
	s_cselect_b32 s0, -1, 0
	s_cmp_ge_f32 s9, 0xc1a00000
	s_wait_alu 0xfffe
	v_cndmask_b32_e64 v7, 0x7f800000, v7, s0
	s_cselect_b32 s0, -1, 0
	s_add_co_i32 s1, s1, -1
	s_add_co_i32 s4, s4, -16
	s_wait_alu 0xfffe
	s_cmp_le_i32 s1, s8
	v_cndmask_b32_e64 v7, 0, v7, s0
	s_mov_b32 s0, s5
	s_wait_loadcnt 0x0
	s_delay_alu instid0(VALU_DEP_1) | instskip(NEXT) | instid1(VALU_DEP_1)
	v_dual_mul_f32 v5, v0, v7 :: v_dual_cndmask_b32 v4, 0, v4
	v_dual_mul_f32 v8, s11, v7 :: v_dual_fmac_f32 v5, v9, v4
	s_delay_alu instid0(VALU_DEP_1) | instskip(NEXT) | instid1(VALU_DEP_1)
	v_mov_b32_e32 v6, v8
	v_fmac_f32_e32 v6, v10, v4
	s_cbranch_scc0 .LBB18_3
	s_branch .LBB18_5
.LBB18_4:
	s_wait_kmcnt 0x0
	v_mov_b32_e32 v6, s11
.LBB18_5:
	s_wait_loadcnt 0x0
	s_delay_alu instid0(VALU_DEP_1) | instskip(NEXT) | instid1(VALU_DEP_1)
	v_div_scale_f32 v0, null, v6, v6, v5
	v_rcp_f32_e32 v3, v0
	s_delay_alu instid0(TRANS32_DEP_1) | instskip(NEXT) | instid1(VALU_DEP_1)
	v_fma_f32 v4, -v0, v3, 1.0
	v_fmac_f32_e32 v3, v4, v3
	v_div_scale_f32 v4, vcc_lo, v5, v6, v5
	s_delay_alu instid0(VALU_DEP_1) | instskip(NEXT) | instid1(VALU_DEP_1)
	v_mul_f32_e32 v7, v4, v3
	v_fma_f32 v8, -v0, v7, v4
	s_delay_alu instid0(VALU_DEP_1) | instskip(NEXT) | instid1(VALU_DEP_1)
	v_fmac_f32_e32 v7, v8, v3
	v_fma_f32 v0, -v0, v7, v4
	s_wait_alu 0xfffd
	s_delay_alu instid0(VALU_DEP_1) | instskip(NEXT) | instid1(VALU_DEP_1)
	v_div_fmas_f32 v0, v0, v3, v7
	v_div_fixup_f32 v0, v0, v6, v5
	global_store_b32 v[1:2], v0, off
.LBB18_6:
	s_endpgm
	.section	.rodata,"a",@progbits
	.p2align	6, 0x0
	.amdhsa_kernel _ZL33flash_attn_stream_k_fixup_uniformILi256ELi4ELi4EEvPfPK15HIP_vector_typeIfLj2EEiiiiiiS1_IjLj3EES5_S5_
		.amdhsa_group_segment_fixed_size 0
		.amdhsa_private_segment_fixed_size 0
		.amdhsa_kernarg_size 76
		.amdhsa_user_sgpr_count 2
		.amdhsa_user_sgpr_dispatch_ptr 0
		.amdhsa_user_sgpr_queue_ptr 0
		.amdhsa_user_sgpr_kernarg_segment_ptr 1
		.amdhsa_user_sgpr_dispatch_id 0
		.amdhsa_user_sgpr_private_segment_size 0
		.amdhsa_wavefront_size32 1
		.amdhsa_uses_dynamic_stack 0
		.amdhsa_enable_private_segment 0
		.amdhsa_system_sgpr_workgroup_id_x 1
		.amdhsa_system_sgpr_workgroup_id_y 1
		.amdhsa_system_sgpr_workgroup_id_z 1
		.amdhsa_system_sgpr_workgroup_info 0
		.amdhsa_system_vgpr_workitem_id 0
		.amdhsa_next_free_vgpr 11
		.amdhsa_next_free_sgpr 16
		.amdhsa_reserve_vcc 1
		.amdhsa_float_round_mode_32 0
		.amdhsa_float_round_mode_16_64 0
		.amdhsa_float_denorm_mode_32 3
		.amdhsa_float_denorm_mode_16_64 3
		.amdhsa_fp16_overflow 0
		.amdhsa_workgroup_processor_mode 1
		.amdhsa_memory_ordered 1
		.amdhsa_forward_progress 1
		.amdhsa_inst_pref_size 9
		.amdhsa_round_robin_scheduling 0
		.amdhsa_exception_fp_ieee_invalid_op 0
		.amdhsa_exception_fp_denorm_src 0
		.amdhsa_exception_fp_ieee_div_zero 0
		.amdhsa_exception_fp_ieee_overflow 0
		.amdhsa_exception_fp_ieee_underflow 0
		.amdhsa_exception_fp_ieee_inexact 0
		.amdhsa_exception_int_div_zero 0
	.end_amdhsa_kernel
	.section	.text._ZL33flash_attn_stream_k_fixup_uniformILi256ELi4ELi4EEvPfPK15HIP_vector_typeIfLj2EEiiiiiiS1_IjLj3EES5_S5_,"axG",@progbits,_ZL33flash_attn_stream_k_fixup_uniformILi256ELi4ELi4EEvPfPK15HIP_vector_typeIfLj2EEiiiiiiS1_IjLj3EES5_S5_,comdat
.Lfunc_end18:
	.size	_ZL33flash_attn_stream_k_fixup_uniformILi256ELi4ELi4EEvPfPK15HIP_vector_typeIfLj2EEiiiiiiS1_IjLj3EES5_S5_, .Lfunc_end18-_ZL33flash_attn_stream_k_fixup_uniformILi256ELi4ELi4EEvPfPK15HIP_vector_typeIfLj2EEiiiiiiS1_IjLj3EES5_S5_
                                        ; -- End function
	.set _ZL33flash_attn_stream_k_fixup_uniformILi256ELi4ELi4EEvPfPK15HIP_vector_typeIfLj2EEiiiiiiS1_IjLj3EES5_S5_.num_vgpr, 11
	.set _ZL33flash_attn_stream_k_fixup_uniformILi256ELi4ELi4EEvPfPK15HIP_vector_typeIfLj2EEiiiiiiS1_IjLj3EES5_S5_.num_agpr, 0
	.set _ZL33flash_attn_stream_k_fixup_uniformILi256ELi4ELi4EEvPfPK15HIP_vector_typeIfLj2EEiiiiiiS1_IjLj3EES5_S5_.numbered_sgpr, 16
	.set _ZL33flash_attn_stream_k_fixup_uniformILi256ELi4ELi4EEvPfPK15HIP_vector_typeIfLj2EEiiiiiiS1_IjLj3EES5_S5_.num_named_barrier, 0
	.set _ZL33flash_attn_stream_k_fixup_uniformILi256ELi4ELi4EEvPfPK15HIP_vector_typeIfLj2EEiiiiiiS1_IjLj3EES5_S5_.private_seg_size, 0
	.set _ZL33flash_attn_stream_k_fixup_uniformILi256ELi4ELi4EEvPfPK15HIP_vector_typeIfLj2EEiiiiiiS1_IjLj3EES5_S5_.uses_vcc, 1
	.set _ZL33flash_attn_stream_k_fixup_uniformILi256ELi4ELi4EEvPfPK15HIP_vector_typeIfLj2EEiiiiiiS1_IjLj3EES5_S5_.uses_flat_scratch, 0
	.set _ZL33flash_attn_stream_k_fixup_uniformILi256ELi4ELi4EEvPfPK15HIP_vector_typeIfLj2EEiiiiiiS1_IjLj3EES5_S5_.has_dyn_sized_stack, 0
	.set _ZL33flash_attn_stream_k_fixup_uniformILi256ELi4ELi4EEvPfPK15HIP_vector_typeIfLj2EEiiiiiiS1_IjLj3EES5_S5_.has_recursion, 0
	.set _ZL33flash_attn_stream_k_fixup_uniformILi256ELi4ELi4EEvPfPK15HIP_vector_typeIfLj2EEiiiiiiS1_IjLj3EES5_S5_.has_indirect_call, 0
	.section	.AMDGPU.csdata,"",@progbits
; Kernel info:
; codeLenInByte = 1140
; TotalNumSgprs: 18
; NumVgprs: 11
; ScratchSize: 0
; MemoryBound: 0
; FloatMode: 240
; IeeeMode: 1
; LDSByteSize: 0 bytes/workgroup (compile time only)
; SGPRBlocks: 0
; VGPRBlocks: 1
; NumSGPRsForWavesPerEU: 18
; NumVGPRsForWavesPerEU: 11
; Occupancy: 16
; WaveLimiterHint : 0
; COMPUTE_PGM_RSRC2:SCRATCH_EN: 0
; COMPUTE_PGM_RSRC2:USER_SGPR: 2
; COMPUTE_PGM_RSRC2:TRAP_HANDLER: 0
; COMPUTE_PGM_RSRC2:TGID_X_EN: 1
; COMPUTE_PGM_RSRC2:TGID_Y_EN: 1
; COMPUTE_PGM_RSRC2:TGID_Z_EN: 1
; COMPUTE_PGM_RSRC2:TIDIG_COMP_CNT: 0
	.section	.text._ZL33flash_attn_stream_k_fixup_generalILi256ELi4ELi4EEvPfPK15HIP_vector_typeIfLj2EEiiiiS1_IjLj3EES5_S5_S5_,"axG",@progbits,_ZL33flash_attn_stream_k_fixup_generalILi256ELi4ELi4EEvPfPK15HIP_vector_typeIfLj2EEiiiiS1_IjLj3EES5_S5_S5_,comdat
	.globl	_ZL33flash_attn_stream_k_fixup_generalILi256ELi4ELi4EEvPfPK15HIP_vector_typeIfLj2EEiiiiS1_IjLj3EES5_S5_S5_ ; -- Begin function _ZL33flash_attn_stream_k_fixup_generalILi256ELi4ELi4EEvPfPK15HIP_vector_typeIfLj2EEiiiiS1_IjLj3EES5_S5_S5_
	.p2align	8
	.type	_ZL33flash_attn_stream_k_fixup_generalILi256ELi4ELi4EEvPfPK15HIP_vector_typeIfLj2EEiiiiS1_IjLj3EES5_S5_S5_,@function
_ZL33flash_attn_stream_k_fixup_generalILi256ELi4ELi4EEvPfPK15HIP_vector_typeIfLj2EEiiiiS1_IjLj3EES5_S5_S5_: ; @_ZL33flash_attn_stream_k_fixup_generalILi256ELi4ELi4EEvPfPK15HIP_vector_typeIfLj2EEiiiiS1_IjLj3EES5_S5_S5_
; %bb.0:
	s_clause 0x1
	s_load_b128 s[4:7], s[0:1], 0x10
	s_load_b32 s16, s[0:1], 0x50
	s_mov_b32 s2, ttmp9
	s_ashr_i32 s3, ttmp9, 31
	s_mov_b32 s17, 0
	s_delay_alu instid0(SALU_CYCLE_1) | instskip(SKIP_3) | instid1(SALU_CYCLE_1)
	s_mov_b32 s8, s17
	s_wait_kmcnt 0x0
	s_ashr_i32 s19, s7, 31
	s_mov_b32 s18, s7
	s_mul_u64 s[2:3], s[18:19], s[2:3]
	s_delay_alu instid0(SALU_CYCLE_1) | instskip(NEXT) | instid1(SALU_CYCLE_1)
	s_mov_b32 s9, s3
	s_cmp_lg_u64 s[8:9], 0
	s_cbranch_scc0 .LBB19_21
; %bb.1:
	s_add_nc_u64 s[8:9], s[16:17], 0
	s_mov_b32 s15, s17
	s_xor_b64 s[8:9], s[8:9], 0
	s_mov_b32 s23, s17
	s_cvt_f32_u32 s7, s8
	s_cvt_f32_u32 s10, s9
	s_sub_nc_u64 s[12:13], 0, s[8:9]
	s_delay_alu instid0(SALU_CYCLE_2) | instskip(NEXT) | instid1(SALU_CYCLE_3)
	s_fmamk_f32 s7, s10, 0x4f800000, s7
	v_s_rcp_f32 s7, s7
	s_delay_alu instid0(TRANS32_DEP_1) | instskip(SKIP_1) | instid1(SALU_CYCLE_2)
	s_mul_f32 s7, s7, 0x5f7ffffc
	s_wait_alu 0xfffe
	s_mul_f32 s10, s7, 0x2f800000
	s_delay_alu instid0(SALU_CYCLE_3) | instskip(NEXT) | instid1(SALU_CYCLE_3)
	s_trunc_f32 s10, s10
	s_fmamk_f32 s7, s10, 0xcf800000, s7
	s_cvt_u32_f32 s11, s10
	s_wait_alu 0xfffe
	s_delay_alu instid0(SALU_CYCLE_1) | instskip(NEXT) | instid1(SALU_CYCLE_3)
	s_cvt_u32_f32 s10, s7
	s_mul_u64 s[20:21], s[12:13], s[10:11]
	s_delay_alu instid0(SALU_CYCLE_1)
	s_mul_hi_u32 s25, s10, s21
	s_mul_i32 s24, s10, s21
	s_mul_hi_u32 s14, s10, s20
	s_mul_i32 s22, s11, s20
	s_add_nc_u64 s[14:15], s[14:15], s[24:25]
	s_mul_hi_u32 s7, s11, s20
	s_mul_hi_u32 s26, s11, s21
	s_add_co_u32 s14, s14, s22
	s_wait_alu 0xfffe
	s_add_co_ci_u32 s22, s15, s7
	s_mul_i32 s20, s11, s21
	s_add_co_ci_u32 s21, s26, 0
	s_delay_alu instid0(SALU_CYCLE_1)
	s_add_nc_u64 s[14:15], s[22:23], s[20:21]
	s_mov_b32 s21, s17
	s_add_co_u32 s10, s10, s14
	s_cselect_b32 s7, -1, 0
	s_wait_alu 0xfffe
	s_cmp_lg_u32 s7, 0
	s_add_co_ci_u32 s11, s11, s15
	s_mov_b32 s15, s17
	s_mul_u64 s[12:13], s[12:13], s[10:11]
	s_delay_alu instid0(SALU_CYCLE_1)
	s_mul_hi_u32 s23, s10, s13
	s_mul_i32 s22, s10, s13
	s_mul_hi_u32 s14, s10, s12
	s_mul_i32 s20, s11, s12
	s_add_nc_u64 s[14:15], s[14:15], s[22:23]
	s_mul_hi_u32 s7, s11, s12
	s_mul_hi_u32 s24, s11, s13
	s_mul_i32 s12, s11, s13
	s_add_co_u32 s13, s14, s20
	s_wait_alu 0xfffe
	s_add_co_ci_u32 s20, s15, s7
	s_add_co_ci_u32 s13, s24, 0
	s_mov_b32 s15, s17
	s_add_nc_u64 s[12:13], s[20:21], s[12:13]
	s_delay_alu instid0(SALU_CYCLE_1) | instskip(SKIP_1) | instid1(SALU_CYCLE_1)
	s_add_co_u32 s7, s10, s12
	s_cselect_b32 s10, -1, 0
	s_cmp_lg_u32 s10, 0
	s_add_co_ci_u32 s20, s11, s13
	s_ashr_i32 s10, s3, 31
	s_delay_alu instid0(SALU_CYCLE_1) | instskip(NEXT) | instid1(SALU_CYCLE_1)
	s_mov_b32 s11, s10
	s_add_nc_u64 s[12:13], s[2:3], s[10:11]
	s_delay_alu instid0(SALU_CYCLE_1) | instskip(NEXT) | instid1(SALU_CYCLE_1)
	s_xor_b64 s[12:13], s[12:13], s[10:11]
	s_mul_hi_u32 s23, s12, s20
	s_mul_i32 s22, s12, s20
	s_wait_alu 0xfffe
	s_mul_hi_u32 s14, s12, s7
	s_mul_hi_u32 s24, s13, s7
	s_mul_i32 s7, s13, s7
	s_add_nc_u64 s[14:15], s[14:15], s[22:23]
	s_mul_hi_u32 s3, s13, s20
	s_wait_alu 0xfffe
	s_add_co_u32 s7, s14, s7
	s_mul_i32 s22, s13, s20
	s_add_co_ci_u32 s20, s15, s24
	s_add_co_ci_u32 s23, s3, 0
	s_delay_alu instid0(SALU_CYCLE_1) | instskip(NEXT) | instid1(SALU_CYCLE_1)
	s_add_nc_u64 s[14:15], s[20:21], s[22:23]
	s_mul_u64 s[20:21], s[8:9], s[14:15]
	s_delay_alu instid0(SALU_CYCLE_1)
	s_sub_co_u32 s3, s12, s20
	s_cselect_b32 s7, -1, 0
	s_sub_co_i32 s12, s13, s21
	s_wait_alu 0xfffe
	s_cmp_lg_u32 s7, 0
	s_sub_co_ci_u32 s12, s12, s9
	s_sub_co_u32 s20, s3, s8
	s_cselect_b32 s22, -1, 0
	s_delay_alu instid0(SALU_CYCLE_1) | instskip(SKIP_2) | instid1(SALU_CYCLE_1)
	s_cmp_lg_u32 s22, 0
	s_add_nc_u64 s[22:23], s[14:15], 1
	s_sub_co_ci_u32 s12, s12, 0
	s_cmp_ge_u32 s12, s9
	s_cselect_b32 s24, -1, 0
	s_cmp_ge_u32 s20, s8
	s_cselect_b32 s20, -1, 0
	s_cmp_eq_u32 s12, s9
	s_cselect_b32 s12, s20, s24
	s_add_nc_u64 s[24:25], s[14:15], 2
	s_cmp_lg_u32 s12, 0
	s_cselect_b32 s12, s24, s22
	s_cselect_b32 s20, s25, s23
	s_cmp_lg_u32 s7, 0
	s_sub_co_ci_u32 s7, s13, s21
	s_wait_alu 0xfffe
	s_cmp_ge_u32 s7, s9
	s_cselect_b32 s13, -1, 0
	s_cmp_ge_u32 s3, s8
	s_cselect_b32 s3, -1, 0
	s_cmp_eq_u32 s7, s9
	s_cselect_b32 s3, s3, s13
	s_delay_alu instid0(SALU_CYCLE_1) | instskip(SKIP_4) | instid1(SALU_CYCLE_1)
	s_cmp_lg_u32 s3, 0
	s_mov_b32 s3, s17
	s_cselect_b32 s9, s20, s15
	s_cselect_b32 s8, s12, s14
	s_xor_b64 s[10:11], s[10:11], 0
	s_xor_b64 s[8:9], s[8:9], s[10:11]
	s_delay_alu instid0(SALU_CYCLE_1)
	s_sub_nc_u64 s[20:21], s[8:9], s[10:11]
	s_and_not1_b32 vcc_lo, exec_lo, s3
	s_cbranch_vccnz .LBB19_3
.LBB19_2:
	v_cvt_f32_u32_e32 v1, s16
	s_sub_co_i32 s7, 0, s16
	s_delay_alu instid0(VALU_DEP_1) | instskip(NEXT) | instid1(TRANS32_DEP_1)
	v_rcp_iflag_f32_e32 v1, v1
	v_mul_f32_e32 v1, 0x4f7ffffe, v1
	s_delay_alu instid0(VALU_DEP_1) | instskip(NEXT) | instid1(VALU_DEP_1)
	v_cvt_u32_f32_e32 v1, v1
	v_readfirstlane_b32 s3, v1
	s_wait_alu 0xfffe
	s_mul_i32 s7, s7, s3
	s_wait_alu 0xfffe
	s_mul_hi_u32 s7, s3, s7
	s_wait_alu 0xfffe
	s_add_co_i32 s3, s3, s7
	s_delay_alu instid0(SALU_CYCLE_1) | instskip(NEXT) | instid1(SALU_CYCLE_1)
	s_mul_hi_u32 s3, s2, s3
	s_mul_i32 s7, s3, s16
	s_wait_alu 0xfffe
	s_sub_co_i32 s2, s2, s7
	s_add_co_i32 s7, s3, 1
	s_sub_co_i32 s8, s2, s16
	s_cmp_ge_u32 s2, s16
	s_wait_alu 0xfffe
	s_cselect_b32 s3, s7, s3
	s_cselect_b32 s2, s8, s2
	s_add_co_i32 s7, s3, 1
	s_cmp_ge_u32 s2, s16
	s_wait_alu 0xfffe
	s_cselect_b32 s20, s7, s3
.LBB19_3:
	s_add_co_i32 s2, ttmp9, 1
	s_mov_b32 s8, 0
	s_ashr_i32 s3, s2, 31
	s_delay_alu instid0(SALU_CYCLE_1) | instskip(NEXT) | instid1(SALU_CYCLE_1)
	s_mul_u64 s[2:3], s[18:19], s[2:3]
	s_mov_b32 s9, s3
	s_delay_alu instid0(SALU_CYCLE_1)
	s_cmp_lg_u64 s[8:9], 0
	s_cbranch_scc0 .LBB19_22
; %bb.4:
	s_add_nc_u64 s[10:11], s[16:17], 0
	s_mov_b32 s23, s8
	s_xor_b64 s[10:11], s[10:11], 0
	s_mov_b32 s27, s8
	s_cvt_f32_u32 s7, s10
	s_cvt_f32_u32 s9, s11
	s_sub_nc_u64 s[14:15], 0, s[10:11]
	s_wait_alu 0xfffe
	s_delay_alu instid0(SALU_CYCLE_1) | instskip(SKIP_1) | instid1(SALU_CYCLE_2)
	s_fmamk_f32 s7, s9, 0x4f800000, s7
	s_wait_alu 0xfffe
	v_s_rcp_f32 s7, s7
	s_delay_alu instid0(TRANS32_DEP_1) | instskip(SKIP_1) | instid1(SALU_CYCLE_2)
	s_mul_f32 s7, s7, 0x5f7ffffc
	s_wait_alu 0xfffe
	s_mul_f32 s9, s7, 0x2f800000
	s_delay_alu instid0(SALU_CYCLE_3) | instskip(NEXT) | instid1(SALU_CYCLE_3)
	s_trunc_f32 s9, s9
	s_fmamk_f32 s7, s9, 0xcf800000, s7
	s_cvt_u32_f32 s13, s9
	s_wait_alu 0xfffe
	s_delay_alu instid0(SALU_CYCLE_1) | instskip(NEXT) | instid1(SALU_CYCLE_3)
	s_cvt_u32_f32 s12, s7
	s_mul_u64 s[24:25], s[14:15], s[12:13]
	s_delay_alu instid0(SALU_CYCLE_1)
	s_mul_hi_u32 s29, s12, s25
	s_mul_i32 s28, s12, s25
	s_mul_hi_u32 s22, s12, s24
	s_mul_i32 s9, s13, s24
	s_add_nc_u64 s[22:23], s[22:23], s[28:29]
	s_mul_hi_u32 s7, s13, s24
	s_mul_hi_u32 s21, s13, s25
	s_add_co_u32 s9, s22, s9
	s_wait_alu 0xfffe
	s_add_co_ci_u32 s26, s23, s7
	s_mul_i32 s24, s13, s25
	s_add_co_ci_u32 s25, s21, 0
	s_delay_alu instid0(SALU_CYCLE_1)
	s_add_nc_u64 s[22:23], s[26:27], s[24:25]
	s_mov_b32 s25, s8
	s_add_co_u32 s12, s12, s22
	s_cselect_b32 s7, -1, 0
	s_wait_alu 0xfffe
	s_cmp_lg_u32 s7, 0
	s_add_co_ci_u32 s13, s13, s23
	s_mov_b32 s23, s8
	s_mul_u64 s[14:15], s[14:15], s[12:13]
	s_delay_alu instid0(SALU_CYCLE_1)
	s_mul_hi_u32 s27, s12, s15
	s_mul_i32 s26, s12, s15
	s_mul_hi_u32 s22, s12, s14
	s_mul_i32 s9, s13, s14
	s_add_nc_u64 s[22:23], s[22:23], s[26:27]
	s_mul_hi_u32 s7, s13, s14
	s_mul_hi_u32 s21, s13, s15
	s_add_co_u32 s9, s22, s9
	s_wait_alu 0xfffe
	s_add_co_ci_u32 s24, s23, s7
	s_mul_i32 s14, s13, s15
	s_add_co_ci_u32 s15, s21, 0
	s_mov_b32 s23, s8
	s_add_nc_u64 s[14:15], s[24:25], s[14:15]
	s_delay_alu instid0(SALU_CYCLE_1) | instskip(SKIP_1) | instid1(SALU_CYCLE_1)
	s_add_co_u32 s7, s12, s14
	s_cselect_b32 s9, -1, 0
	s_cmp_lg_u32 s9, 0
	s_add_co_ci_u32 s9, s13, s15
	s_ashr_i32 s12, s3, 31
	s_delay_alu instid0(SALU_CYCLE_1) | instskip(NEXT) | instid1(SALU_CYCLE_1)
	s_mov_b32 s13, s12
	s_add_nc_u64 s[14:15], s[2:3], s[12:13]
	s_delay_alu instid0(SALU_CYCLE_1) | instskip(NEXT) | instid1(SALU_CYCLE_1)
	s_xor_b64 s[14:15], s[14:15], s[12:13]
	s_mul_hi_u32 s27, s14, s9
	s_mul_i32 s26, s14, s9
	s_wait_alu 0xfffe
	s_mul_hi_u32 s22, s14, s7
	s_mul_hi_u32 s21, s15, s7
	s_mul_i32 s7, s15, s7
	s_add_nc_u64 s[22:23], s[22:23], s[26:27]
	s_mul_hi_u32 s3, s15, s9
	s_wait_alu 0xfffe
	s_add_co_u32 s7, s22, s7
	s_add_co_ci_u32 s24, s23, s21
	s_mul_i32 s26, s15, s9
	s_add_co_ci_u32 s27, s3, 0
	s_delay_alu instid0(SALU_CYCLE_1) | instskip(NEXT) | instid1(SALU_CYCLE_1)
	s_add_nc_u64 s[22:23], s[24:25], s[26:27]
	s_mul_u64 s[24:25], s[10:11], s[22:23]
	s_add_nc_u64 s[26:27], s[22:23], 1
	s_sub_co_u32 s3, s14, s24
	s_cselect_b32 s7, -1, 0
	s_sub_co_i32 s9, s15, s25
	s_wait_alu 0xfffe
	s_cmp_lg_u32 s7, 0
	s_add_nc_u64 s[28:29], s[22:23], 2
	s_sub_co_ci_u32 s9, s9, s11
	s_sub_co_u32 s14, s3, s10
	s_cselect_b32 s21, -1, 0
	s_delay_alu instid0(SALU_CYCLE_1) | instskip(SKIP_1) | instid1(SALU_CYCLE_1)
	s_cmp_lg_u32 s21, 0
	s_sub_co_ci_u32 s9, s9, 0
	s_cmp_ge_u32 s9, s11
	s_cselect_b32 s21, -1, 0
	s_cmp_ge_u32 s14, s10
	s_cselect_b32 s14, -1, 0
	s_cmp_eq_u32 s9, s11
	s_cselect_b32 s9, s14, s21
	s_delay_alu instid0(SALU_CYCLE_1)
	s_cmp_lg_u32 s9, 0
	s_cselect_b32 s9, s28, s26
	s_cselect_b32 s14, s29, s27
	s_cmp_lg_u32 s7, 0
	s_sub_co_ci_u32 s7, s15, s25
	s_wait_alu 0xfffe
	s_cmp_ge_u32 s7, s11
	s_cselect_b32 s15, -1, 0
	s_cmp_ge_u32 s3, s10
	s_cselect_b32 s3, -1, 0
	s_cmp_eq_u32 s7, s11
	s_cselect_b32 s3, s3, s15
	s_delay_alu instid0(SALU_CYCLE_1) | instskip(SKIP_3) | instid1(SALU_CYCLE_1)
	s_cmp_lg_u32 s3, 0
	s_cselect_b32 s11, s14, s23
	s_cselect_b32 s10, s9, s22
	s_xor_b64 s[12:13], s[12:13], 0
	s_xor_b64 s[10:11], s[10:11], s[12:13]
	s_delay_alu instid0(SALU_CYCLE_1)
	s_sub_nc_u64 s[10:11], s[10:11], s[12:13]
	s_load_b96 s[12:14], s[0:1], 0x44
	s_and_not1_b32 vcc_lo, exec_lo, s8
	s_cbranch_vccnz .LBB19_6
.LBB19_5:
	v_cvt_f32_u32_e32 v1, s16
	s_sub_co_i32 s7, 0, s16
	s_delay_alu instid0(VALU_DEP_1) | instskip(NEXT) | instid1(TRANS32_DEP_1)
	v_rcp_iflag_f32_e32 v1, v1
	v_mul_f32_e32 v1, 0x4f7ffffe, v1
	s_delay_alu instid0(VALU_DEP_1) | instskip(NEXT) | instid1(VALU_DEP_1)
	v_cvt_u32_f32_e32 v1, v1
	v_readfirstlane_b32 s3, v1
	s_wait_alu 0xfffe
	s_mul_i32 s7, s7, s3
	s_wait_alu 0xfffe
	s_mul_hi_u32 s7, s3, s7
	s_wait_alu 0xfffe
	s_add_co_i32 s3, s3, s7
	s_delay_alu instid0(SALU_CYCLE_1) | instskip(NEXT) | instid1(SALU_CYCLE_1)
	s_mul_hi_u32 s3, s2, s3
	s_mul_i32 s7, s3, s16
	s_wait_alu 0xfffe
	s_sub_co_i32 s2, s2, s7
	s_add_co_i32 s7, s3, 1
	s_sub_co_i32 s8, s2, s16
	s_cmp_ge_u32 s2, s16
	s_wait_alu 0xfffe
	s_cselect_b32 s3, s7, s3
	s_cselect_b32 s2, s8, s2
	s_add_co_i32 s7, s3, 1
	s_cmp_ge_u32 s2, s16
	s_wait_alu 0xfffe
	s_cselect_b32 s10, s7, s3
.LBB19_6:
	s_mov_b32 s21, 0
	s_wait_kmcnt 0x0
	s_mov_b32 s22, s12
	s_mov_b32 s23, s21
	s_cmp_eq_u32 s20, s10
	s_mul_u64 s[2:3], s[20:21], s[22:23]
	s_cselect_b32 s7, -1, 0
	s_add_co_i32 s2, s3, s20
	s_mov_b32 s11, s21
	s_lshr_b32 s12, s2, s13
	s_mul_u64 s[2:3], s[10:11], s[22:23]
	s_mul_i32 s2, s12, s14
	s_delay_alu instid0(SALU_CYCLE_1) | instskip(SKIP_2) | instid1(SALU_CYCLE_1)
	s_cmp_eq_u32 s2, s20
	s_cselect_b32 s2, -1, 0
	s_add_co_i32 s3, s3, s10
	s_lshr_b32 s3, s3, s13
	s_delay_alu instid0(SALU_CYCLE_1)
	s_cmp_eq_u32 s12, s3
	s_mul_i32 s3, s3, s14
	s_cselect_b32 s8, -1, 0
	s_cmp_lg_u32 s3, s10
	s_cselect_b32 s3, -1, 0
	s_wait_alu 0xfffe
	s_or_b32 s2, s7, s2
	s_and_b32 s3, s8, s3
	s_delay_alu instid0(SALU_CYCLE_1) | instskip(NEXT) | instid1(SALU_CYCLE_1)
	s_or_b32 s2, s2, s3
	s_and_b32 vcc_lo, exec_lo, s2
	s_cbranch_vccnz .LBB19_24
; %bb.7:
	s_load_b256 s[24:31], s[0:1], 0x20
	s_mov_b32 s3, s21
	s_wait_kmcnt 0x0
	s_mov_b32 s2, s24
	s_delay_alu instid0(SALU_CYCLE_1) | instskip(NEXT) | instid1(SALU_CYCLE_1)
	s_mul_u64 s[2:3], s[20:21], s[2:3]
	s_add_co_i32 s2, s3, s20
	s_delay_alu instid0(SALU_CYCLE_1) | instskip(SKIP_2) | instid1(SALU_CYCLE_1)
	s_lshr_b32 s7, s2, s25
	s_load_b32 s2, s[0:1], 0x40
	s_mul_i32 s3, s7, s26
	s_sub_co_i32 s3, s20, s3
	s_delay_alu instid0(SALU_CYCLE_1) | instskip(NEXT) | instid1(SALU_CYCLE_1)
	s_mul_hi_u32 s8, s3, s27
	s_add_co_i32 s8, s3, s8
	s_delay_alu instid0(SALU_CYCLE_1) | instskip(NEXT) | instid1(SALU_CYCLE_1)
	s_lshr_b32 s8, s8, s28
	s_mul_i32 s9, s8, s29
	s_delay_alu instid0(SALU_CYCLE_1) | instskip(NEXT) | instid1(SALU_CYCLE_1)
	s_sub_co_i32 s9, s3, s9
	s_mul_hi_u32 s3, s9, s30
	s_delay_alu instid0(SALU_CYCLE_1) | instskip(NEXT) | instid1(SALU_CYCLE_1)
	s_add_co_i32 s3, s9, s3
	s_lshr_b32 s24, s3, s31
	s_mov_b32 s3, s21
	s_wait_kmcnt 0x0
	s_mul_i32 s2, s24, s2
	s_lshl_b32 s21, s24, 2
	s_sub_co_i32 s2, s9, s2
	s_delay_alu instid0(SALU_CYCLE_1) | instskip(SKIP_2) | instid1(SALU_CYCLE_1)
	s_mul_u64 s[10:11], s[2:3], s[22:23]
	s_lshr_b32 s3, ttmp7, 16
	s_add_co_i32 s2, s2, s11
	s_lshr_b32 s15, s2, s13
	s_and_b32 s2, ttmp7, 0xffff
	s_lshl_b32 s9, s15, 2
	s_delay_alu instid0(SALU_CYCLE_1) | instskip(NEXT) | instid1(SALU_CYCLE_1)
	s_add_co_i32 s9, s9, s2
	s_cmp_lt_i32 s9, s4
	s_cselect_b32 s9, -1, 0
	s_add_co_i32 s10, s21, s3
	s_delay_alu instid0(SALU_CYCLE_1) | instskip(SKIP_1) | instid1(SALU_CYCLE_1)
	s_cmp_lt_i32 s10, s6
	s_cselect_b32 s10, -1, 0
	s_and_b32 s9, s9, s10
	s_delay_alu instid0(SALU_CYCLE_1)
	s_and_not1_b32 vcc_lo, exec_lo, s9
	s_cbranch_vccnz .LBB19_24
; %bb.8:
	s_mul_i32 s4, s7, s4
	s_mul_i32 s6, s8, s6
	s_add_co_i32 s4, s4, s2
	s_load_b128 s[8:11], s[0:1], 0x0
	s_mul_i32 s4, s4, s5
	s_mul_i32 s1, s5, s15
	s_add_co_i32 s4, s4, s3
	s_lshl_b32 s1, s1, 10
	s_add_co_i32 s0, s4, s6
	s_lshl_b32 s15, s2, 2
	s_add_co_i32 s0, s0, s21
	s_add_co_i32 s15, s15, s3
	s_lshl_b32 s0, s0, 8
	v_cvt_f32_u32_e32 v4, s16
	s_add_co_i32 s1, s1, s0
	s_add_co_i32 s34, ttmp9, -1
	v_or_b32_e32 v1, s1, v0
	s_add_nc_u64 s[0:1], s[16:17], 0
	v_rcp_iflag_f32_e32 v4, v4
	s_wait_alu 0xfffe
	s_xor_b64 s[6:7], s[0:1], 0
	s_lshl_b32 s0, ttmp9, 4
	v_ashrrev_i32_e32 v2, 31, v1
	s_wait_alu 0xfffe
	s_cvt_f32_u32 s1, s6
	s_cvt_f32_u32 s2, s7
	s_add_co_i32 s0, s15, s0
	v_lshl_or_b32 v0, s15, 8, v0
	v_lshlrev_b64_e32 v[1:2], 2, v[1:2]
	s_wait_alu 0xfffe
	s_fmamk_f32 s2, s2, 0x4f800000, s1
	s_ashr_i32 s1, s0, 31
	s_sub_nc_u64 s[30:31], 0, s[6:7]
	s_wait_alu 0xfffe
	s_lshl_b64 s[0:1], s[0:1], 3
	v_s_rcp_f32 s2, s2
	s_wait_kmcnt 0x0
	v_add_co_u32 v1, vcc_lo, s8, v1
	s_delay_alu instid0(VALU_DEP_1)
	v_add_co_ci_u32_e64 v2, null, s9, v2, vcc_lo
	s_wait_alu 0xfffe
	s_add_nc_u64 s[0:1], s[10:11], s[0:1]
	s_mov_b32 s8, 0
	s_load_b64 s[26:27], s[0:1], 0x0
	global_load_b32 v3, v[1:2], off
	s_mul_f32 s2, s2, 0x5f7ffffc
	v_mul_f32_e32 v4, 0x4f7ffffe, v4
	s_lshl_b32 s0, s16, 6
	s_wait_alu 0xfffe
	s_mul_f32 s1, s2, 0x2f800000
	s_wait_alu 0xfffe
	s_delay_alu instid0(SALU_CYCLE_2)
	s_trunc_f32 s3, s1
	s_mov_b32 s1, s8
	s_wait_alu 0xfffe
	s_lshl_b64 s[0:1], s[0:1], 2
	s_fmamk_f32 s2, s3, 0xcf800000, s2
	s_cvt_u32_f32 s29, s3
	s_wait_alu 0xfffe
	s_add_nc_u64 s[24:25], s[10:11], s[0:1]
	s_cvt_u32_f32 s28, s2
	s_wait_kmcnt 0x0
	v_mov_b32_e32 v5, s27
	v_cvt_u32_f32_e32 v4, v4
.LBB19_9:                               ; =>This Inner Loop Header: Depth=1
	s_wait_alu 0xfffe
	s_ashr_i32 s35, s34, 31
	s_mov_b32 s2, -1
	s_wait_alu 0xfffe
	s_mul_u64 s[0:1], s[34:35], s[18:19]
                                        ; implicit-def: $sgpr38_sgpr39
	s_wait_alu 0xfffe
	s_mov_b32 s9, s1
	s_wait_alu 0xfffe
	s_cmp_lg_u64 s[8:9], 0
	s_cbranch_scc0 .LBB19_11
; %bb.10:                               ;   in Loop: Header=BB19_9 Depth=1
	s_mul_u64 s[2:3], s[30:31], s[28:29]
	s_mov_b32 s37, s8
	s_wait_alu 0xfffe
	s_mul_hi_u32 s5, s28, s3
	s_mul_i32 s4, s28, s3
	s_mul_hi_u32 s36, s28, s2
	s_mul_hi_u32 s9, s29, s2
	s_wait_alu 0xfffe
	s_add_nc_u64 s[4:5], s[36:37], s[4:5]
	s_mul_i32 s2, s29, s2
	s_mul_hi_u32 s17, s29, s3
	s_wait_alu 0xfffe
	s_add_co_u32 s2, s4, s2
	s_add_co_ci_u32 s2, s5, s9
	s_add_co_ci_u32 s5, s17, 0
	s_mul_i32 s4, s29, s3
	s_mov_b32 s3, s8
	s_mov_b32 s39, s8
	s_wait_alu 0xfffe
	s_add_nc_u64 s[2:3], s[2:3], s[4:5]
	s_wait_alu 0xfffe
	s_add_co_u32 s2, s28, s2
	s_cselect_b32 s4, -1, 0
	s_wait_alu 0xfffe
	s_cmp_lg_u32 s4, 0
	s_add_co_ci_u32 s3, s29, s3
	s_wait_alu 0xfffe
	s_mul_u64 s[4:5], s[30:31], s[2:3]
	s_wait_alu 0xfffe
	s_mul_hi_u32 s37, s2, s5
	s_mul_i32 s36, s2, s5
	s_mul_hi_u32 s38, s2, s4
	s_mul_hi_u32 s9, s3, s4
	s_mul_i32 s4, s3, s4
	s_wait_alu 0xfffe
	s_add_nc_u64 s[36:37], s[38:39], s[36:37]
	s_mul_hi_u32 s17, s3, s5
	s_wait_alu 0xfffe
	s_add_co_u32 s4, s36, s4
	s_add_co_ci_u32 s4, s37, s9
	s_add_co_ci_u32 s37, s17, 0
	s_mul_i32 s36, s3, s5
	s_mov_b32 s5, s8
	s_wait_alu 0xfffe
	s_add_nc_u64 s[4:5], s[4:5], s[36:37]
	s_mov_b32 s37, s8
	s_wait_alu 0xfffe
	s_add_co_u32 s9, s2, s4
	s_cselect_b32 s2, -1, 0
	s_wait_alu 0xfffe
	s_cmp_lg_u32 s2, 0
	s_add_co_ci_u32 s17, s3, s5
	s_ashr_i32 s2, s1, 31
	s_wait_alu 0xfffe
	s_mov_b32 s3, s2
	s_wait_alu 0xfffe
	s_add_nc_u64 s[4:5], s[0:1], s[2:3]
	s_wait_alu 0xfffe
	s_xor_b64 s[4:5], s[4:5], s[2:3]
	s_wait_alu 0xfffe
	s_mul_hi_u32 s39, s4, s17
	s_mul_i32 s38, s4, s17
	s_mul_hi_u32 s36, s4, s9
	s_mul_i32 s21, s5, s9
	s_wait_alu 0xfffe
	s_add_nc_u64 s[36:37], s[36:37], s[38:39]
	s_mul_hi_u32 s9, s5, s9
	s_mul_hi_u32 s1, s5, s17
	s_wait_alu 0xfffe
	s_add_co_u32 s21, s36, s21
	s_add_co_ci_u32 s36, s37, s9
	s_add_co_ci_u32 s39, s1, 0
	s_mul_i32 s38, s5, s17
	s_mov_b32 s37, s8
	s_wait_alu 0xfffe
	s_add_nc_u64 s[36:37], s[36:37], s[38:39]
	s_wait_alu 0xfffe
	s_mul_u64 s[38:39], s[6:7], s[36:37]
	s_add_nc_u64 s[40:41], s[36:37], 1
	s_sub_co_u32 s1, s4, s38
	s_cselect_b32 s4, -1, 0
	s_sub_co_i32 s9, s5, s39
	s_wait_alu 0xfffe
	s_cmp_lg_u32 s4, 0
	s_add_nc_u64 s[42:43], s[36:37], 2
	s_sub_co_ci_u32 s9, s9, s7
	s_sub_co_u32 s17, s1, s6
	s_cselect_b32 s21, -1, 0
	s_delay_alu instid0(SALU_CYCLE_1)
	s_cmp_lg_u32 s21, 0
	s_wait_alu 0xfffe
	s_sub_co_ci_u32 s9, s9, 0
	s_wait_alu 0xfffe
	s_cmp_ge_u32 s9, s7
	s_cselect_b32 s21, -1, 0
	s_cmp_ge_u32 s17, s6
	s_cselect_b32 s17, -1, 0
	s_cmp_eq_u32 s9, s7
	s_wait_alu 0xfffe
	s_cselect_b32 s9, s17, s21
	s_wait_alu 0xfffe
	s_cmp_lg_u32 s9, 0
	s_cselect_b32 s9, s42, s40
	s_cselect_b32 s17, s43, s41
	s_cmp_lg_u32 s4, 0
	s_sub_co_ci_u32 s4, s5, s39
	s_wait_alu 0xfffe
	s_cmp_ge_u32 s4, s7
	s_cselect_b32 s5, -1, 0
	s_cmp_ge_u32 s1, s6
	s_cselect_b32 s1, -1, 0
	s_cmp_eq_u32 s4, s7
	s_wait_alu 0xfffe
	s_cselect_b32 s1, s1, s5
	s_wait_alu 0xfffe
	s_cmp_lg_u32 s1, 0
	s_cselect_b32 s5, s17, s37
	s_cselect_b32 s4, s9, s36
	s_xor_b64 s[2:3], s[2:3], 0
	s_wait_alu 0xfffe
	s_xor_b64 s[4:5], s[4:5], s[2:3]
	s_wait_alu 0xfffe
	s_sub_nc_u64 s[38:39], s[4:5], s[2:3]
	s_mov_b32 s2, 0
.LBB19_11:                              ;   in Loop: Header=BB19_9 Depth=1
	s_wait_alu 0xfffe
	s_and_not1_b32 vcc_lo, exec_lo, s2
	s_wait_alu 0xfffe
	s_cbranch_vccnz .LBB19_13
; %bb.12:                               ;   in Loop: Header=BB19_9 Depth=1
	v_readfirstlane_b32 s1, v4
	s_sub_co_i32 s2, 0, s16
	s_wait_alu 0xfffe
	s_mul_i32 s2, s2, s1
	s_wait_alu 0xfffe
	s_mul_hi_u32 s2, s1, s2
	s_wait_alu 0xfffe
	s_add_co_i32 s1, s1, s2
	s_wait_alu 0xfffe
	s_mul_hi_u32 s1, s0, s1
	s_wait_alu 0xfffe
	s_mul_i32 s2, s1, s16
	s_wait_alu 0xfffe
	s_sub_co_i32 s0, s0, s2
	s_add_co_i32 s2, s1, 1
	s_wait_alu 0xfffe
	s_sub_co_i32 s3, s0, s16
	s_cmp_ge_u32 s0, s16
	s_cselect_b32 s1, s2, s1
	s_wait_alu 0xfffe
	s_cselect_b32 s0, s3, s0
	s_add_co_i32 s2, s1, 1
	s_wait_alu 0xfffe
	s_cmp_ge_u32 s0, s16
	s_cselect_b32 s38, s2, s1
.LBB19_13:                              ;   in Loop: Header=BB19_9 Depth=1
	v_readfirstlane_b32 s9, v0
	s_cmp_lg_u32 s20, s38
	s_mov_b32 s0, -1
                                        ; implicit-def: $sgpr21
                                        ; implicit-def: $vgpr6
                                        ; implicit-def: $vgpr7
                                        ; implicit-def: $sgpr17
                                        ; implicit-def: $sgpr27
	s_cbranch_scc1 .LBB19_16
; %bb.14:                               ;   in Loop: Header=BB19_9 Depth=1
	s_wait_alu 0xfffe
	s_and_not1_b32 vcc_lo, exec_lo, s0
	s_wait_alu 0xfffe
	s_cbranch_vccz .LBB19_19
.LBB19_15:                              ;   in Loop: Header=BB19_9 Depth=1
	s_and_not1_b32 vcc_lo, exec_lo, s21
	s_wait_alu 0xfffe
	s_cbranch_vccnz .LBB19_20
	s_branch .LBB19_23
.LBB19_16:                              ;   in Loop: Header=BB19_9 Depth=1
	s_add_co_i32 s0, s34, s16
	s_mov_b32 s1, s8
	s_wait_alu 0xfffe
	s_lshl_b32 s0, s0, 4
	v_max_num_f32_e64 v6, s26, s26
	s_wait_alu 0xfffe
	s_add_co_i32 s0, s0, s15
	s_mov_b32 s39, s8
	s_wait_alu 0xfffe
	s_lshl_b64 s[0:1], s[0:1], 3
	s_mul_u64 s[40:41], s[38:39], s[22:23]
	s_wait_alu 0xfffe
	s_add_nc_u64 s[0:1], s[10:11], s[0:1]
	s_mov_b32 s27, s20
	s_load_b64 s[36:37], s[0:1], 0x0
	v_readfirstlane_b32 s0, v6
	s_wait_kmcnt 0x0
	v_max_num_f32_e64 v7, s36, s36
	s_delay_alu instid0(VALU_DEP_1) | instskip(SKIP_2) | instid1(SALU_CYCLE_2)
	v_readfirstlane_b32 s1, v7
	s_max_num_f32 s9, s0, s1
	s_wait_alu 0xfffe
	s_sub_f32 s33, s26, s9
	s_sub_f32 s35, s36, s9
	s_wait_alu 0xfffe
	s_delay_alu instid0(SALU_CYCLE_1)
	s_cmp_nlt_f32 s33, 0xc2ce8ed0
	s_cselect_b32 s0, -1, 0
	s_cmp_ngt_f32 s33, 0x42b17218
	s_cselect_b32 s1, -1, 0
	s_cmp_ge_f32 s33, 0xc1a00000
	s_cselect_b32 s2, -1, 0
	s_cmp_nlt_f32 s35, 0xc2ce8ed0
	s_cselect_b32 s3, -1, 0
	s_cmp_ngt_f32 s35, 0x42b17218
	s_cselect_b32 s4, -1, 0
	s_cmp_ge_f32 s35, 0xc1a00000
	s_cselect_b32 s5, -1, 0
	s_add_co_i32 s17, s41, s38
	s_wait_alu 0xfffe
	s_lshr_b32 s17, s17, s13
	s_wait_alu 0xfffe
	s_mul_i32 s21, s17, s14
	s_delay_alu instid0(SALU_CYCLE_1)
	s_cmp_eq_u32 s21, s38
	s_cselect_b32 s21, -1, 0
	s_cmp_lt_u32 s17, s12
	s_cselect_b32 s17, -1, 0
	s_wait_alu 0xfffe
	s_or_b32 s17, s17, s21
	s_mov_b32 s21, -1
	s_wait_alu 0xfffe
	s_and_b32 vcc_lo, exec_lo, s17
	s_mov_b32 s17, s34
	s_wait_alu 0xfffe
	s_cbranch_vccnz .LBB19_18
; %bb.17:                               ;   in Loop: Header=BB19_9 Depth=1
	s_add_co_i32 s17, s34, -1
	s_mov_b32 s21, 0
	s_mov_b32 s27, s38
.LBB19_18:                              ;   in Loop: Header=BB19_9 Depth=1
	v_lshl_add_u32 v6, s34, 12, v0
	s_mul_f32 s36, s35, 0x3fb8aa3b
	s_mul_f32 s38, s33, 0x3fb8aa3b
	s_wait_alu 0xfffe
	s_delay_alu instid0(SALU_CYCLE_1)
	s_xor_b32 s39, s36, 0x80000000
	v_ashrrev_i32_e32 v7, 31, v6
	s_rndne_f32 s40, s36
	s_fmamk_f32 s39, s35, 0x3fb8aa3b, s39
	s_xor_b32 s41, s38, 0x80000000
	s_rndne_f32 s42, s38
	v_lshlrev_b64_e32 v[6:7], 2, v[6:7]
	s_sub_f32 s36, s36, s40
	s_fmamk_f32 s35, s35, 0x32a5705f, s39
	s_fmamk_f32 s39, s33, 0x3fb8aa3b, s41
	s_sub_f32 s38, s38, s42
	s_delay_alu instid0(VALU_DEP_1)
	v_add_co_u32 v6, vcc_lo, s24, v6
	s_wait_alu 0xfffd
	v_add_co_ci_u32_e64 v7, null, s25, v7, vcc_lo
	s_wait_alu 0xfffe
	s_add_f32 s35, s36, s35
	s_fmamk_f32 s33, s33, 0x32a5705f, s39
	s_cvt_i32_f32 s36, s40
	global_load_b32 v6, v[6:7], off
	s_wait_alu 0xfffe
	v_s_exp_f32 s35, s35
	s_add_f32 s33, s38, s33
	s_wait_alu 0xfffe
	s_delay_alu instid0(SALU_CYCLE_2) | instskip(NEXT) | instid1(TRANS32_DEP_2)
	v_s_exp_f32 s33, s33
	v_ldexp_f32 v7, s35, s36
	s_cvt_i32_f32 s35, s42
	s_wait_alu 0xf1fe
	s_delay_alu instid0(TRANS32_DEP_1) | instid1(SALU_CYCLE_2)
	v_ldexp_f32 v8, s33, s35
	s_delay_alu instid0(VALU_DEP_2) | instskip(NEXT) | instid1(VALU_DEP_2)
	v_cndmask_b32_e64 v7, 0, v7, s3
	v_cndmask_b32_e64 v8, 0, v8, s0
	s_delay_alu instid0(VALU_DEP_2) | instskip(NEXT) | instid1(VALU_DEP_2)
	v_cndmask_b32_e64 v7, 0x7f800000, v7, s4
	v_cndmask_b32_e64 v8, 0x7f800000, v8, s1
	;; [unrolled: 3-line block ×3, first 2 shown]
	s_wait_loadcnt 0x0
	s_delay_alu instid0(VALU_DEP_2) | instskip(SKIP_1) | instid1(VALU_DEP_1)
	v_mul_f32_e32 v6, v6, v7
	v_mul_f32_e32 v7, s37, v7
	v_fmac_f32_e32 v7, v5, v8
	s_delay_alu instid0(VALU_DEP_3)
	v_fmac_f32_e32 v6, v3, v8
	s_cbranch_execnz .LBB19_15
.LBB19_19:                              ;   in Loop: Header=BB19_9 Depth=1
	s_wait_loadcnt 0x0
	v_dual_mov_b32 v7, v5 :: v_dual_mov_b32 v6, v3
	s_add_co_i32 s17, s34, -1
	s_mov_b32 s27, s20
	s_mov_b32 s9, s26
	s_cbranch_execz .LBB19_23
.LBB19_20:                              ;   in Loop: Header=BB19_9 Depth=1
	v_mov_b32_e32 v5, v7
	s_wait_loadcnt 0x0
	v_mov_b32_e32 v3, v6
	s_wait_alu 0xfffe
	s_mov_b32 s20, s27
	s_mov_b32 s34, s17
	;; [unrolled: 1-line block ×3, first 2 shown]
	s_branch .LBB19_9
.LBB19_21:
                                        ; implicit-def: $sgpr20_sgpr21
	s_branch .LBB19_2
.LBB19_22:
                                        ; implicit-def: $sgpr10_sgpr11
	s_load_b96 s[12:14], s[0:1], 0x44
	s_branch .LBB19_5
.LBB19_23:
	v_div_scale_f32 v0, null, v7, v7, v6
	s_wait_loadcnt 0x0
	s_delay_alu instid0(VALU_DEP_1) | instskip(NEXT) | instid1(TRANS32_DEP_1)
	v_rcp_f32_e32 v3, v0
	v_fma_f32 v4, -v0, v3, 1.0
	s_delay_alu instid0(VALU_DEP_1) | instskip(SKIP_1) | instid1(VALU_DEP_1)
	v_fmac_f32_e32 v3, v4, v3
	v_div_scale_f32 v4, vcc_lo, v6, v7, v6
	v_mul_f32_e32 v5, v4, v3
	s_delay_alu instid0(VALU_DEP_1) | instskip(NEXT) | instid1(VALU_DEP_1)
	v_fma_f32 v8, -v0, v5, v4
	v_fmac_f32_e32 v5, v8, v3
	s_delay_alu instid0(VALU_DEP_1) | instskip(SKIP_1) | instid1(VALU_DEP_1)
	v_fma_f32 v0, -v0, v5, v4
	s_wait_alu 0xfffd
	v_div_fmas_f32 v0, v0, v3, v5
	s_delay_alu instid0(VALU_DEP_1)
	v_div_fixup_f32 v0, v0, v7, v6
	global_store_b32 v[1:2], v0, off
.LBB19_24:
	s_endpgm
	.section	.rodata,"a",@progbits
	.p2align	6, 0x0
	.amdhsa_kernel _ZL33flash_attn_stream_k_fixup_generalILi256ELi4ELi4EEvPfPK15HIP_vector_typeIfLj2EEiiiiS1_IjLj3EES5_S5_S5_
		.amdhsa_group_segment_fixed_size 0
		.amdhsa_private_segment_fixed_size 0
		.amdhsa_kernarg_size 336
		.amdhsa_user_sgpr_count 2
		.amdhsa_user_sgpr_dispatch_ptr 0
		.amdhsa_user_sgpr_queue_ptr 0
		.amdhsa_user_sgpr_kernarg_segment_ptr 1
		.amdhsa_user_sgpr_dispatch_id 0
		.amdhsa_user_sgpr_private_segment_size 0
		.amdhsa_wavefront_size32 1
		.amdhsa_uses_dynamic_stack 0
		.amdhsa_enable_private_segment 0
		.amdhsa_system_sgpr_workgroup_id_x 1
		.amdhsa_system_sgpr_workgroup_id_y 1
		.amdhsa_system_sgpr_workgroup_id_z 1
		.amdhsa_system_sgpr_workgroup_info 0
		.amdhsa_system_vgpr_workitem_id 0
		.amdhsa_next_free_vgpr 9
		.amdhsa_next_free_sgpr 44
		.amdhsa_reserve_vcc 1
		.amdhsa_float_round_mode_32 0
		.amdhsa_float_round_mode_16_64 0
		.amdhsa_float_denorm_mode_32 3
		.amdhsa_float_denorm_mode_16_64 3
		.amdhsa_fp16_overflow 0
		.amdhsa_workgroup_processor_mode 1
		.amdhsa_memory_ordered 1
		.amdhsa_forward_progress 1
		.amdhsa_inst_pref_size 28
		.amdhsa_round_robin_scheduling 0
		.amdhsa_exception_fp_ieee_invalid_op 0
		.amdhsa_exception_fp_denorm_src 0
		.amdhsa_exception_fp_ieee_div_zero 0
		.amdhsa_exception_fp_ieee_overflow 0
		.amdhsa_exception_fp_ieee_underflow 0
		.amdhsa_exception_fp_ieee_inexact 0
		.amdhsa_exception_int_div_zero 0
	.end_amdhsa_kernel
	.section	.text._ZL33flash_attn_stream_k_fixup_generalILi256ELi4ELi4EEvPfPK15HIP_vector_typeIfLj2EEiiiiS1_IjLj3EES5_S5_S5_,"axG",@progbits,_ZL33flash_attn_stream_k_fixup_generalILi256ELi4ELi4EEvPfPK15HIP_vector_typeIfLj2EEiiiiS1_IjLj3EES5_S5_S5_,comdat
.Lfunc_end19:
	.size	_ZL33flash_attn_stream_k_fixup_generalILi256ELi4ELi4EEvPfPK15HIP_vector_typeIfLj2EEiiiiS1_IjLj3EES5_S5_S5_, .Lfunc_end19-_ZL33flash_attn_stream_k_fixup_generalILi256ELi4ELi4EEvPfPK15HIP_vector_typeIfLj2EEiiiiS1_IjLj3EES5_S5_S5_
                                        ; -- End function
	.set _ZL33flash_attn_stream_k_fixup_generalILi256ELi4ELi4EEvPfPK15HIP_vector_typeIfLj2EEiiiiS1_IjLj3EES5_S5_S5_.num_vgpr, 9
	.set _ZL33flash_attn_stream_k_fixup_generalILi256ELi4ELi4EEvPfPK15HIP_vector_typeIfLj2EEiiiiS1_IjLj3EES5_S5_S5_.num_agpr, 0
	.set _ZL33flash_attn_stream_k_fixup_generalILi256ELi4ELi4EEvPfPK15HIP_vector_typeIfLj2EEiiiiS1_IjLj3EES5_S5_S5_.numbered_sgpr, 44
	.set _ZL33flash_attn_stream_k_fixup_generalILi256ELi4ELi4EEvPfPK15HIP_vector_typeIfLj2EEiiiiS1_IjLj3EES5_S5_S5_.num_named_barrier, 0
	.set _ZL33flash_attn_stream_k_fixup_generalILi256ELi4ELi4EEvPfPK15HIP_vector_typeIfLj2EEiiiiS1_IjLj3EES5_S5_S5_.private_seg_size, 0
	.set _ZL33flash_attn_stream_k_fixup_generalILi256ELi4ELi4EEvPfPK15HIP_vector_typeIfLj2EEiiiiS1_IjLj3EES5_S5_S5_.uses_vcc, 1
	.set _ZL33flash_attn_stream_k_fixup_generalILi256ELi4ELi4EEvPfPK15HIP_vector_typeIfLj2EEiiiiS1_IjLj3EES5_S5_S5_.uses_flat_scratch, 0
	.set _ZL33flash_attn_stream_k_fixup_generalILi256ELi4ELi4EEvPfPK15HIP_vector_typeIfLj2EEiiiiS1_IjLj3EES5_S5_S5_.has_dyn_sized_stack, 0
	.set _ZL33flash_attn_stream_k_fixup_generalILi256ELi4ELi4EEvPfPK15HIP_vector_typeIfLj2EEiiiiS1_IjLj3EES5_S5_S5_.has_recursion, 0
	.set _ZL33flash_attn_stream_k_fixup_generalILi256ELi4ELi4EEvPfPK15HIP_vector_typeIfLj2EEiiiiS1_IjLj3EES5_S5_S5_.has_indirect_call, 0
	.section	.AMDGPU.csdata,"",@progbits
; Kernel info:
; codeLenInByte = 3548
; TotalNumSgprs: 46
; NumVgprs: 9
; ScratchSize: 0
; MemoryBound: 0
; FloatMode: 240
; IeeeMode: 1
; LDSByteSize: 0 bytes/workgroup (compile time only)
; SGPRBlocks: 0
; VGPRBlocks: 1
; NumSGPRsForWavesPerEU: 46
; NumVGPRsForWavesPerEU: 9
; Occupancy: 16
; WaveLimiterHint : 0
; COMPUTE_PGM_RSRC2:SCRATCH_EN: 0
; COMPUTE_PGM_RSRC2:USER_SGPR: 2
; COMPUTE_PGM_RSRC2:TRAP_HANDLER: 0
; COMPUTE_PGM_RSRC2:TGID_X_EN: 1
; COMPUTE_PGM_RSRC2:TGID_Y_EN: 1
; COMPUTE_PGM_RSRC2:TGID_Z_EN: 1
; COMPUTE_PGM_RSRC2:TIDIG_COMP_CNT: 0
	.section	.text._ZL15flash_attn_tileILi256ELi256ELi2ELi4ELb0EEvPKcS1_S1_S1_S1_PKiPfP15HIP_vector_typeIfLj2EEffffjfiS5_IjLj3EEiiiiiiiiiiiliiliiiiil,"axG",@progbits,_ZL15flash_attn_tileILi256ELi256ELi2ELi4ELb0EEvPKcS1_S1_S1_S1_PKiPfP15HIP_vector_typeIfLj2EEffffjfiS5_IjLj3EEiiiiiiiiiiiliiliiiiil,comdat
	.globl	_ZL15flash_attn_tileILi256ELi256ELi2ELi4ELb0EEvPKcS1_S1_S1_S1_PKiPfP15HIP_vector_typeIfLj2EEffffjfiS5_IjLj3EEiiiiiiiiiiiliiliiiiil ; -- Begin function _ZL15flash_attn_tileILi256ELi256ELi2ELi4ELb0EEvPKcS1_S1_S1_S1_PKiPfP15HIP_vector_typeIfLj2EEffffjfiS5_IjLj3EEiiiiiiiiiiiliiliiiiil
	.p2align	8
	.type	_ZL15flash_attn_tileILi256ELi256ELi2ELi4ELb0EEvPKcS1_S1_S1_S1_PKiPfP15HIP_vector_typeIfLj2EEffffjfiS5_IjLj3EEiiiiiiiiiiiliiliiiiil,@function
_ZL15flash_attn_tileILi256ELi256ELi2ELi4ELb0EEvPKcS1_S1_S1_S1_PKiPfP15HIP_vector_typeIfLj2EEffffjfiS5_IjLj3EEiiiiiiiiiiiliiliiiiil: ; @_ZL15flash_attn_tileILi256ELi256ELi2ELi4ELb0EEvPKcS1_S1_S1_S1_PKiPfP15HIP_vector_typeIfLj2EEffffjfiS5_IjLj3EEiiiiiiiiiiiliiliiiiil
; %bb.0:
	s_clause 0x1
	s_load_b128 s[20:23], s[0:1], 0x5c
	s_load_b64 s[30:31], s[0:1], 0x80
	s_lshr_b32 s5, ttmp7, 16
	s_load_b64 s[36:37], s[0:1], 0xb8
	s_mov_b64 s[34:35], 0
	s_wait_kmcnt 0x0
	s_ashr_i32 s2, s23, 31
	s_delay_alu instid0(SALU_CYCLE_1) | instskip(NEXT) | instid1(SALU_CYCLE_1)
	s_lshr_b32 s2, s2, 30
	s_add_co_i32 s2, s23, s2
	s_delay_alu instid0(SALU_CYCLE_1) | instskip(NEXT) | instid1(SALU_CYCLE_1)
	s_ashr_i32 s2, s2, 2
	s_cvt_f32_u32 s3, s2
	s_sub_co_i32 s4, 0, s2
	s_delay_alu instid0(SALU_CYCLE_2) | instskip(NEXT) | instid1(TRANS32_DEP_1)
	v_rcp_iflag_f32_e32 v1, s3
	v_readfirstlane_b32 s3, v1
	s_mul_f32 s3, s3, 0x4f7ffffe
	s_wait_alu 0xfffe
	s_delay_alu instid0(SALU_CYCLE_2) | instskip(SKIP_1) | instid1(SALU_CYCLE_2)
	s_cvt_u32_f32 s3, s3
	s_wait_alu 0xfffe
	s_mul_i32 s4, s4, s3
	s_delay_alu instid0(SALU_CYCLE_1) | instskip(NEXT) | instid1(SALU_CYCLE_1)
	s_mul_hi_u32 s4, s3, s4
	s_add_co_i32 s3, s3, s4
	s_wait_alu 0xfffe
	s_mul_hi_u32 s3, s5, s3
	s_wait_alu 0xfffe
	s_mul_i32 s4, s3, s2
	s_add_co_i32 s6, s3, 1
	s_sub_co_i32 s4, s5, s4
	s_delay_alu instid0(SALU_CYCLE_1)
	s_sub_co_i32 s7, s4, s2
	s_cmp_ge_u32 s4, s2
	s_cselect_b32 s3, s6, s3
	s_cselect_b32 s4, s7, s4
	s_wait_alu 0xfffe
	s_add_co_i32 s6, s3, 1
	s_cmp_ge_u32 s4, s2
	s_cselect_b32 s28, s6, s3
	s_abs_i32 s2, s31
	s_abs_i32 s7, s23
	s_wait_alu 0xfffe
	s_cvt_f32_u32 s3, s2
	s_sub_co_i32 s4, 0, s2
	s_lshl_b32 s5, s5, 2
	s_mul_i32 s6, s28, s23
	s_wait_alu 0xfffe
	v_rcp_iflag_f32_e32 v1, s3
	s_sub_co_i32 s33, s5, s6
	s_delay_alu instid0(TRANS32_DEP_1) | instskip(SKIP_2) | instid1(SALU_CYCLE_2)
	v_readfirstlane_b32 s3, v1
	s_mul_f32 s3, s3, 0x4f7ffffe
	s_wait_alu 0xfffe
	s_cvt_u32_f32 s3, s3
	s_wait_alu 0xfffe
	s_delay_alu instid0(SALU_CYCLE_2) | instskip(NEXT) | instid1(SALU_CYCLE_1)
	s_mul_i32 s4, s4, s3
	s_mul_hi_u32 s4, s3, s4
	s_delay_alu instid0(SALU_CYCLE_1)
	s_add_co_i32 s3, s3, s4
	s_xor_b32 s4, s23, s31
	s_wait_alu 0xfffe
	s_mul_hi_u32 s3, s7, s3
	s_ashr_i32 s24, s4, 31
	s_wait_alu 0xfffe
	s_mul_i32 s5, s3, s2
	s_delay_alu instid0(SALU_CYCLE_1)
	s_sub_co_i32 s4, s7, s5
	s_add_co_i32 s5, s3, 1
	s_sub_co_i32 s6, s4, s2
	s_cmp_ge_u32 s4, s2
	s_cselect_b32 s3, s5, s3
	s_cselect_b32 s4, s6, s4
	s_wait_alu 0xfffe
	s_add_co_i32 s5, s3, 1
	s_cmp_ge_u32 s4, s2
	s_cselect_b32 s2, s5, s3
	s_load_b512 s[4:19], s[0:1], 0x0
	s_xor_b32 s2, s2, s24
	s_mov_b32 s3, 0
	s_wait_alu 0xfffe
	s_sub_co_i32 s38, s2, s24
	s_delay_alu instid0(SALU_CYCLE_1) | instskip(NEXT) | instid1(SALU_CYCLE_1)
	s_abs_i32 s31, s38
	s_cvt_f32_u32 s2, s31
	s_wait_alu 0xfffe
	s_delay_alu instid0(SALU_CYCLE_2) | instskip(SKIP_2) | instid1(TRANS32_DEP_1)
	v_rcp_iflag_f32_e32 v1, s2
	s_wait_kmcnt 0x0
	s_cmp_eq_u64 s[10:11], 0
	v_readfirstlane_b32 s2, v1
	s_cbranch_scc1 .LBB20_2
; %bb.1:
	s_abs_i32 s26, s36
	s_delay_alu instid0(SALU_CYCLE_1) | instskip(NEXT) | instid1(SALU_CYCLE_3)
	s_cvt_f32_u32 s24, s26
	v_rcp_iflag_f32_e32 v1, s24
	s_delay_alu instid0(TRANS32_DEP_1) | instskip(SKIP_2) | instid1(SALU_CYCLE_2)
	v_readfirstlane_b32 s24, v1
	s_mul_f32 s24, s24, 0x4f7ffffe
	s_wait_alu 0xfffe
	s_cvt_u32_f32 s27, s24
	s_sub_co_i32 s24, 0, s26
	s_wait_alu 0xfffe
	s_delay_alu instid0(SALU_CYCLE_1) | instskip(SKIP_4) | instid1(SALU_CYCLE_1)
	s_mul_i32 s24, s24, s27
	s_wait_alu 0xfffe
	s_mul_hi_u32 s29, s27, s24
	s_load_b64 s[24:25], s[0:1], 0xc8
	s_add_co_i32 s27, s27, s29
	s_mul_hi_u32 s27, s28, s27
	s_delay_alu instid0(SALU_CYCLE_1) | instskip(NEXT) | instid1(SALU_CYCLE_1)
	s_mul_i32 s27, s27, s26
	s_sub_co_i32 s27, s28, s27
	s_delay_alu instid0(SALU_CYCLE_1) | instskip(SKIP_2) | instid1(SALU_CYCLE_1)
	s_sub_co_i32 s29, s27, s26
	s_cmp_ge_u32 s27, s26
	s_cselect_b32 s27, s29, s27
	s_sub_co_i32 s29, s27, s26
	s_cmp_ge_u32 s27, s26
	s_cselect_b32 s26, s29, s27
	s_delay_alu instid0(SALU_CYCLE_1)
	s_ashr_i32 s27, s26, 31
	s_wait_kmcnt 0x0
	s_mul_u64 s[24:25], s[24:25], s[26:27]
	s_wait_alu 0xfffe
	s_add_nc_u64 s[34:35], s[10:11], s[24:25]
.LBB20_2:
	v_lshrrev_b32_e32 v1, 10, v0
	s_load_b96 s[24:26], s[0:1], 0x70
	s_delay_alu instid0(VALU_DEP_1) | instskip(NEXT) | instid1(VALU_DEP_1)
	v_bfe_u32 v1, v1, 1, 9
	v_lshl_add_u32 v1, ttmp9, 1, v1
	s_delay_alu instid0(VALU_DEP_1) | instskip(SKIP_3) | instid1(VALU_DEP_1)
	v_mul_hi_u32 v2, s20, v1
	s_wait_kmcnt 0x0
	s_mul_i32 s10, s33, s25
	s_mov_b32 s20, s25
	v_add_nc_u32_e32 v2, v1, v2
	s_delay_alu instid0(VALU_DEP_1)
	v_lshrrev_b32_e32 v2, s21, v2
	s_ashr_i32 s21, s25, 31
	s_ashr_i32 s25, s24, 31
	s_wait_alu 0xfffe
	s_lshr_b64 s[40:41], s[24:25], 2
	v_mul_lo_u32 v3, v2, s22
	v_bfe_u32 v2, v0, 10, 10
	s_lshr_b32 s11, s25, 2
	s_mul_i32 s24, s28, s26
	s_lshr_b64 s[26:27], s[20:21], 2
	s_lshr_b32 s20, s21, 2
	v_lshlrev_b32_e32 v6, 1, v2
	s_wait_alu 0xfffe
	s_ashr_i32 s25, s24, 31
	v_sub_nc_u32_e32 v3, v1, v3
	v_and_b32_e32 v0, 0x3ff, v0
	s_wait_alu 0xfffe
	s_add_nc_u64 s[4:5], s[4:5], s[24:25]
	v_or_b32_e32 v21, 1, v6
	v_and_b32_e32 v39, 2, v6
	v_mad_co_u64_u32 v[4:5], null, s40, v3, 0
	v_lshlrev_b32_e32 v12, 4, v0
	s_delay_alu instid0(VALU_DEP_4) | instskip(NEXT) | instid1(VALU_DEP_4)
	v_and_b32_e32 v10, 3, v21
	v_mul_lo_u32 v11, s20, v39
	v_mad_co_u64_u32 v[8:9], null, s26, v39, 0
	v_lshlrev_b32_e32 v41, 3, v0
	v_mad_co_u64_u32 v[5:6], null, s11, v3, v[5:6]
	v_mad_co_u64_u32 v[6:7], null, s26, v10, 0
	s_ashr_i32 s11, s10, 31
	v_or_b32_e32 v9, v9, v11
	s_wait_alu 0xfffe
	s_add_nc_u64 s[4:5], s[4:5], s[10:11]
	v_add_nc_u32_e32 v22, 0x4200, v41
	v_lshlrev_b64_e32 v[4:5], 2, v[4:5]
	s_cmp_eq_u64 s[14:15], 0
	v_mad_co_u64_u32 v[10:11], null, s20, v10, v[7:8]
	s_delay_alu instid0(VALU_DEP_3) | instskip(NEXT) | instid1(VALU_DEP_3)
	v_lshl_add_u32 v21, v21, 9, v22
	v_add_co_u32 v7, vcc_lo, s4, v4
	s_delay_alu instid0(VALU_DEP_1) | instskip(SKIP_1) | instid1(VALU_DEP_3)
	v_add_co_ci_u32_e64 v11, null, s5, v5, vcc_lo
	v_lshlrev_b64_e32 v[4:5], 2, v[8:9]
	v_add_co_u32 v13, vcc_lo, v7, v12
	v_mov_b32_e32 v7, v10
	s_wait_alu 0xfffd
	v_add_co_ci_u32_e64 v14, null, 0, v11, vcc_lo
	s_delay_alu instid0(VALU_DEP_3) | instskip(NEXT) | instid1(VALU_DEP_3)
	v_add_co_u32 v9, vcc_lo, v13, v4
	v_lshlrev_b64_e32 v[11:12], 2, v[6:7]
	s_wait_alu 0xfffd
	s_delay_alu instid0(VALU_DEP_3)
	v_add_co_ci_u32_e64 v10, null, v14, v5, vcc_lo
	s_load_b32 s4, s[0:1], 0x40
	v_lshlrev_b32_e32 v4, 10, v2
	v_add_co_u32 v17, vcc_lo, v13, v11
	s_wait_alu 0xfffd
	v_add_co_ci_u32_e64 v18, null, v14, v12, vcc_lo
	s_clause 0x3
	global_load_b128 v[5:8], v[9:10], off
	global_load_b128 v[9:12], v[9:10], off offset:512
	global_load_b128 v[13:16], v[17:18], off
	global_load_b128 v[17:20], v[17:18], off offset:512
	v_add_nc_u32_e32 v23, v22, v4
	s_wait_loadcnt 0x3
	s_wait_kmcnt 0x0
	v_fma_mixlo_f16 v5, s4, v5, 0
	v_fma_mixlo_f16 v6, s4, v6, 0
	;; [unrolled: 1-line block ×4, first 2 shown]
	s_wait_loadcnt 0x2
	v_fma_mixlo_f16 v9, s4, v9, 0
	v_fma_mixlo_f16 v10, s4, v10, 0
	;; [unrolled: 1-line block ×4, first 2 shown]
	s_wait_loadcnt 0x1
	v_fma_mixlo_f16 v13, s4, v13, 0
	v_fma_mixlo_f16 v14, s4, v14, 0
	s_wait_loadcnt 0x0
	v_fma_mixlo_f16 v17, s4, v17, 0
	v_fma_mixlo_f16 v18, s4, v18, 0
	v_lshlrev_b32_e32 v6, 16, v6
	v_and_b32_e32 v5, 0xffff, v5
	v_lshlrev_b32_e32 v8, 16, v8
	v_and_b32_e32 v7, 0xffff, v7
	;; [unrolled: 2-line block ×3, first 2 shown]
	v_fma_mixlo_f16 v15, s4, v15, 0
	v_fma_mixlo_f16 v16, s4, v16, 0
	;; [unrolled: 1-line block ×4, first 2 shown]
	v_lshlrev_b32_e32 v12, 16, v12
	v_and_b32_e32 v11, 0xffff, v11
	v_lshlrev_b32_e32 v14, 16, v14
	v_and_b32_e32 v13, 0xffff, v13
	;; [unrolled: 2-line block ×3, first 2 shown]
	v_or_b32_e32 v5, v6, v5
	v_or3_b32 v6, v8, v7, 0
	v_or_b32_e32 v7, v10, v9
	v_lshlrev_b32_e32 v16, 16, v16
	v_and_b32_e32 v15, 0xffff, v15
	v_lshlrev_b32_e32 v20, 16, v20
	v_and_b32_e32 v19, 0xffff, v19
	v_or3_b32 v8, v12, v11, 0
	v_or_b32_e32 v9, v14, v13
	v_or_b32_e32 v11, v18, v17
	v_or3_b32 v5, 0, 0, v5
	v_or3_b32 v7, 0, 0, v7
	;; [unrolled: 1-line block ×6, first 2 shown]
	ds_store_2addr_b64 v23, v[5:6], v[7:8] offset1:32
	ds_store_2addr_b64 v21, v[9:10], v[11:12] offset1:32
	s_wait_dscnt 0x0
	s_barrier_signal -1
	s_barrier_wait -1
	global_inv scope:SCOPE_SE
	s_cbranch_scc1 .LBB20_4
; %bb.3:
	s_load_b32 s4, s[0:1], 0xd0
	s_mov_b32 s5, 0
	s_wait_kmcnt 0x0
	s_mul_i32 s4, s4, s28
	s_wait_alu 0xfffe
	s_add_co_i32 s4, s4, ttmp9
	s_wait_alu 0xfffe
	s_lshl_b64 s[4:5], s[4:5], 2
	s_wait_alu 0xfffe
	s_add_nc_u64 s[4:5], s[14:15], s[4:5]
	s_load_b32 s30, s[4:5], 0x0
.LBB20_4:
	s_and_b32 s10, ttmp7, 0xffff
	v_lshlrev_b32_e32 v40, 2, v0
	v_mbcnt_lo_u32_b32 v42, -1, 0
	s_wait_alu 0xfffe
	s_lshl_b32 s14, s10, 5
	s_wait_kmcnt 0x0
	s_cmp_lt_i32 s14, s30
	s_cbranch_scc1 .LBB20_7
; %bb.5:
	v_mbcnt_lo_u32_b32 v5, -1, 0
	v_mov_b32_e32 v44, 32
	s_delay_alu instid0(VALU_DEP_2)
	v_xor_b32_e32 v51, 16, v5
	v_xor_b32_e32 v49, 8, v5
	;; [unrolled: 1-line block ×5, first 2 shown]
	s_mov_b32 s29, 0
	s_cbranch_execz .LBB20_8
; %bb.6:
	v_dual_mov_b32 v83, 0 :: v_dual_mov_b32 v58, 0
	v_dual_mov_b32 v3, 0xfeffffff :: v_dual_mov_b32 v2, 0xfeffffff
	;; [unrolled: 1-line block ×5, first 2 shown]
	v_mov_b32_e32 v82, 0
	v_mov_b32_e32 v80, 0
	s_branch .LBB20_11
.LBB20_7:
                                        ; implicit-def: $vgpr5
                                        ; implicit-def: $vgpr44
                                        ; implicit-def: $vgpr51
                                        ; implicit-def: $vgpr49
                                        ; implicit-def: $vgpr47
                                        ; implicit-def: $vgpr46
                                        ; implicit-def: $vgpr45
	s_mov_b32 s29, 0
.LBB20_8:
	s_mul_f32 s2, s2, 0x4f7ffffe
	s_clause 0x1
	s_load_b128 s[24:27], s[0:1], 0x98
	s_load_b64 s[4:5], s[0:1], 0x8c
	s_sub_co_i32 s15, 0, s31
	s_load_b64 s[40:41], s[0:1], 0xa8
	s_cvt_u32_f32 s11, s2
	s_abs_i32 s2, s33
	s_mov_b32 s21, s3
	v_dual_mov_b32 v52, 0 :: v_dual_lshlrev_b32 v43, 2, v40
	s_wait_alu 0xfffe
	s_mul_i32 s15, s15, s11
	v_lshl_add_u32 v63, v2, 7, 0x5200
	s_mul_hi_u32 s15, s11, s15
	v_mad_u32_u24 v48, 0x210, v2, v43
	s_add_co_i32 s20, s11, s15
	s_ashr_i32 s11, s33, 31
	s_wait_alu 0xfffe
	s_mul_u64 s[20:21], s[2:3], s[20:21]
	s_ashr_i32 s3, s38, 31
	s_ashr_i32 s15, s37, 1
	s_wait_alu 0xfffe
	s_xor_b32 s11, s11, s3
	s_mul_i32 s3, s21, s31
	s_add_co_i32 s37, s21, 1
	s_wait_alu 0xfffe
	s_sub_co_i32 s38, s2, s3
	s_wait_kmcnt 0x0
	s_ashr_i32 s20, s26, 2
	s_ashr_i32 s36, s4, 2
	s_mul_u64 s[2:3], s[24:25], s[28:29]
	s_sub_co_i32 s24, s38, s31
	s_cmp_ge_u32 s38, s31
	v_mul_lo_u32 v6, s36, v2
	s_cselect_b32 s21, s37, s21
	s_wait_alu 0xfffe
	s_cselect_b32 s24, s24, s38
	s_add_co_i32 s37, s21, 1
	s_wait_alu 0xfffe
	s_cmp_ge_u32 s24, s31
	s_mul_u64 s[24:25], s[40:41], s[28:29]
	s_cselect_b32 s21, s37, s21
	s_and_b32 s29, s4, -4
	s_wait_alu 0xfffe
	s_xor_b32 s4, s21, s11
	s_add_nc_u64 s[2:3], s[6:7], s[2:3]
	s_wait_alu 0xfffe
	s_sub_co_i32 s11, s4, s11
	v_mul_lo_u32 v21, s20, v2
	s_wait_alu 0xfffe
	s_mul_i32 s4, s11, s5
	s_add_nc_u64 s[8:9], s[8:9], s[24:25]
	s_wait_alu 0xfffe
	s_ashr_i32 s5, s4, 31
	v_dual_mov_b32 v79, 0 :: v_dual_add_nc_u32 v8, s29, v6
	s_wait_alu 0xfffe
	s_add_nc_u64 s[6:7], s[2:3], s[4:5]
	s_mul_i32 s2, s11, s27
	v_lshl_add_u32 v62, v2, 9, v43
	s_wait_alu 0xfffe
	s_ashr_i32 s3, s2, 31
	v_dual_mov_b32 v81, 0 :: v_dual_add_nc_u32 v10, s29, v8
	s_wait_alu 0xfffe
	s_add_nc_u64 s[8:9], s[8:9], s[2:3]
	s_and_b32 s2, s26, -4
	s_wait_alu 0xfffe
	v_dual_mov_b32 v2, 0xfeffffff :: v_dual_add_nc_u32 v23, s2, v21
	v_dual_mov_b32 v85, 0 :: v_dual_add_nc_u32 v12, s29, v10
	;; [unrolled: 1-line block ×3, first 2 shown]
	s_delay_alu instid0(VALU_DEP_3) | instskip(NEXT) | instid1(VALU_DEP_3)
	v_add_nc_u32_e32 v25, s2, v23
	v_add_nc_u32_e32 v14, s29, v12
	v_mad_co_u64_u32 v[4:5], null, v3, s15, v[0:1]
	v_mov_b32_e32 v3, 0xfeffffff
	s_delay_alu instid0(VALU_DEP_4) | instskip(NEXT) | instid1(VALU_DEP_4)
	v_add_nc_u32_e32 v29, s2, v25
	v_add_nc_u32_e32 v16, s29, v14
	v_ashrrev_i32_e32 v7, 31, v6
	v_ashrrev_i32_e32 v9, 31, v8
	;; [unrolled: 1-line block ×3, first 2 shown]
	v_add_nc_u32_e32 v31, s2, v29
	v_add_nc_u32_e32 v18, s29, v16
	v_ashrrev_i32_e32 v13, 31, v12
	v_ashrrev_i32_e32 v15, 31, v14
	;; [unrolled: 1-line block ×3, first 2 shown]
	v_add_nc_u32_e32 v33, s2, v31
	v_dual_mov_b32 v84, 0 :: v_dual_add_nc_u32 v27, s29, v18
	v_ashrrev_i32_e32 v19, 31, v18
	v_ashrrev_i32_e32 v22, 31, v21
	s_delay_alu instid0(VALU_DEP_4) | instskip(NEXT) | instid1(VALU_DEP_4)
	v_add_nc_u32_e32 v35, s2, v33
	v_ashrrev_i32_e32 v28, 31, v27
	v_ashrrev_i32_e32 v24, 31, v23
	;; [unrolled: 1-line block ×4, first 2 shown]
	v_add_nc_u32_e32 v37, s2, v35
	v_ashrrev_i32_e32 v32, 31, v31
	v_ashrrev_i32_e32 v34, 31, v33
	;; [unrolled: 1-line block ×3, first 2 shown]
	v_lshlrev_b64_e32 v[5:6], 2, v[6:7]
	v_ashrrev_i32_e32 v38, 31, v37
	v_lshlrev_b64_e32 v[7:8], 2, v[8:9]
	v_lshlrev_b64_e32 v[9:10], 2, v[10:11]
	;; [unrolled: 1-line block ×15, first 2 shown]
	v_dual_mov_b32 v83, 0 :: v_dual_add_nc_u32 v50, 0x840, v48
	v_dual_mov_b32 v44, 32 :: v_dual_add_nc_u32 v53, 0x1080, v48
	v_add_nc_u32_e32 v54, 0x18c0, v48
	v_dual_mov_b32 v80, 0 :: v_dual_add_nc_u32 v55, 0x2100, v48
	v_add_nc_u32_e32 v56, 0x2940, v48
	v_dual_mov_b32 v86, 0 :: v_dual_add_nc_u32 v57, 0x3180, v48
	v_dual_mov_b32 v58, 0 :: v_dual_add_nc_u32 v59, 0x39c0, v48
	v_mul_u32_u24_e32 v60, 0x210, v0
	v_add_nc_u32_e32 v64, 0x800, v62
	v_add_nc_u32_e32 v65, 0x1000, v62
	;; [unrolled: 1-line block ×7, first 2 shown]
	v_xor_b32_e32 v51, 16, v42
	v_xor_b32_e32 v49, 8, v42
	;; [unrolled: 1-line block ×5, first 2 shown]
	v_add_nc_u32_e32 v71, v63, v40
	v_add_nc_u32_e32 v72, 0x800, v41
	;; [unrolled: 1-line block ×8, first 2 shown]
	s_ashr_i32 s37, s36, 31
	s_ashr_i32 s21, s20, 31
	s_add_nc_u64 s[24:25], s[0:1], 0xd0
.LBB20_9:                               ; =>This Inner Loop Header: Depth=1
	s_ashr_i32 s15, s14, 31
	s_wait_alu 0xfffe
	s_mul_u64 s[2:3], s[14:15], s[36:37]
	s_wait_alu 0xfffe
	s_lshl_b64 s[2:3], s[2:3], 2
	s_wait_alu 0xfffe
	s_add_nc_u64 s[2:3], s[6:7], s[2:3]
	s_wait_alu 0xfffe
	v_add_co_u32 v37, vcc_lo, s2, v5
	s_wait_alu 0xfffd
	v_add_co_ci_u32_e64 v38, null, s3, v6, vcc_lo
	s_delay_alu instid0(VALU_DEP_2) | instskip(SKIP_1) | instid1(VALU_DEP_2)
	v_add_co_u32 v37, vcc_lo, v37, v43
	s_wait_alu 0xfffd
	v_add_co_ci_u32_e64 v38, null, 0, v38, vcc_lo
	global_load_b128 v[87:90], v[37:38], off
	v_add_co_u32 v37, vcc_lo, s2, v7
	s_wait_alu 0xfffd
	v_add_co_ci_u32_e64 v38, null, s3, v8, vcc_lo
	s_delay_alu instid0(VALU_DEP_2) | instskip(SKIP_1) | instid1(VALU_DEP_2)
	v_add_co_u32 v37, vcc_lo, v37, v43
	s_wait_alu 0xfffd
	v_add_co_ci_u32_e64 v38, null, 0, v38, vcc_lo
	s_wait_loadcnt 0x0
	ds_store_b128 v48, v[87:90]
	global_load_b128 v[87:90], v[37:38], off
	v_add_co_u32 v37, vcc_lo, s2, v9
	s_wait_alu 0xfffd
	v_add_co_ci_u32_e64 v38, null, s3, v10, vcc_lo
	s_delay_alu instid0(VALU_DEP_2) | instskip(SKIP_1) | instid1(VALU_DEP_2)
	v_add_co_u32 v37, vcc_lo, v37, v43
	s_wait_alu 0xfffd
	v_add_co_ci_u32_e64 v38, null, 0, v38, vcc_lo
	s_wait_loadcnt 0x0
	ds_store_b128 v50, v[87:90]
	global_load_b128 v[87:90], v[37:38], off
	v_add_co_u32 v37, vcc_lo, s2, v11
	s_wait_alu 0xfffd
	v_add_co_ci_u32_e64 v38, null, s3, v12, vcc_lo
	s_delay_alu instid0(VALU_DEP_2) | instskip(SKIP_1) | instid1(VALU_DEP_2)
	v_add_co_u32 v37, vcc_lo, v37, v43
	s_wait_alu 0xfffd
	v_add_co_ci_u32_e64 v38, null, 0, v38, vcc_lo
	s_wait_loadcnt 0x0
	ds_store_b128 v53, v[87:90]
	global_load_b128 v[87:90], v[37:38], off
	v_add_co_u32 v37, vcc_lo, s2, v13
	s_wait_alu 0xfffd
	v_add_co_ci_u32_e64 v38, null, s3, v14, vcc_lo
	s_delay_alu instid0(VALU_DEP_2) | instskip(SKIP_1) | instid1(VALU_DEP_2)
	v_add_co_u32 v37, vcc_lo, v37, v43
	s_wait_alu 0xfffd
	v_add_co_ci_u32_e64 v38, null, 0, v38, vcc_lo
	s_wait_loadcnt 0x0
	ds_store_b128 v54, v[87:90]
	global_load_b128 v[87:90], v[37:38], off
	v_add_co_u32 v37, vcc_lo, s2, v15
	s_wait_alu 0xfffd
	v_add_co_ci_u32_e64 v38, null, s3, v16, vcc_lo
	s_delay_alu instid0(VALU_DEP_2) | instskip(SKIP_1) | instid1(VALU_DEP_2)
	v_add_co_u32 v37, vcc_lo, v37, v43
	s_wait_alu 0xfffd
	v_add_co_ci_u32_e64 v38, null, 0, v38, vcc_lo
	s_wait_loadcnt 0x0
	ds_store_b128 v55, v[87:90]
	global_load_b128 v[87:90], v[37:38], off
	v_add_co_u32 v37, vcc_lo, s2, v17
	s_wait_alu 0xfffd
	v_add_co_ci_u32_e64 v38, null, s3, v18, vcc_lo
	s_delay_alu instid0(VALU_DEP_2) | instskip(SKIP_1) | instid1(VALU_DEP_2)
	v_add_co_u32 v37, vcc_lo, v37, v43
	s_wait_alu 0xfffd
	v_add_co_ci_u32_e64 v38, null, 0, v38, vcc_lo
	s_wait_loadcnt 0x0
	ds_store_b128 v56, v[87:90]
	global_load_b128 v[87:90], v[37:38], off
	v_add_co_u32 v37, vcc_lo, s2, v19
	s_wait_alu 0xfffd
	v_add_co_ci_u32_e64 v38, null, s3, v20, vcc_lo
	s_mul_u64 s[2:3], s[14:15], s[20:21]
	v_add_co_u32 v37, vcc_lo, v37, v43
	s_wait_alu 0xfffd
	v_add_co_ci_u32_e64 v38, null, 0, v38, vcc_lo
	s_wait_alu 0xfffe
	s_lshl_b64 s[2:3], s[2:3], 2
	s_wait_alu 0xfffe
	s_add_nc_u64 s[26:27], s[8:9], s[2:3]
	s_wait_loadcnt 0x0
	ds_store_b128 v57, v[87:90]
	global_load_b128 v[87:90], v[37:38], off
	v_dual_mov_b32 v38, 0 :: v_dual_mov_b32 v37, 0
	s_wait_loadcnt 0x0
	ds_store_b128 v59, v[87:90]
	s_wait_dscnt 0x0
	s_barrier_signal -1
	s_barrier_wait -1
	global_inv scope:SCOPE_SE
	ds_load_b128 v[87:90], v60
	ds_load_b128 v[91:94], v61
	ds_load_b128 v[95:98], v61 offset:512
	s_wait_dscnt 0x1
	;;#ASMSTART
	v_dot2_f32_f16 v38, v87, v91, v38
	;;#ASMEND
	;;#ASMSTART
	v_dot2_f32_f16 v38, v88, v92, v38
	;;#ASMEND
	;;#ASMSTART
	v_dot2_f32_f16 v38, v89, v93, v38
	;;#ASMEND
	;;#ASMSTART
	v_dot2_f32_f16 v38, v90, v94, v38
	;;#ASMEND
	s_wait_dscnt 0x0
	;;#ASMSTART
	v_dot2_f32_f16 v37, v87, v95, v37
	;;#ASMEND
	;;#ASMSTART
	v_dot2_f32_f16 v37, v88, v96, v37
	;;#ASMEND
	;;#ASMSTART
	v_dot2_f32_f16 v37, v89, v97, v37
	;;#ASMEND
	;;#ASMSTART
	v_dot2_f32_f16 v37, v90, v98, v37
	;;#ASMEND
	ds_load_b128 v[87:90], v60 offset:16
	ds_load_b128 v[91:94], v61 offset:16
	ds_load_b128 v[95:98], v61 offset:528
	s_wait_dscnt 0x1
	;;#ASMSTART
	v_dot2_f32_f16 v38, v87, v91, v38
	;;#ASMEND
	;;#ASMSTART
	v_dot2_f32_f16 v38, v88, v92, v38
	;;#ASMEND
	;;#ASMSTART
	v_dot2_f32_f16 v38, v89, v93, v38
	;;#ASMEND
	;;#ASMSTART
	v_dot2_f32_f16 v38, v90, v94, v38
	;;#ASMEND
	s_wait_dscnt 0x0
	;;#ASMSTART
	v_dot2_f32_f16 v37, v87, v95, v37
	;;#ASMEND
	;;#ASMSTART
	v_dot2_f32_f16 v37, v88, v96, v37
	;;#ASMEND
	;;#ASMSTART
	v_dot2_f32_f16 v37, v89, v97, v37
	;;#ASMEND
	;;#ASMSTART
	v_dot2_f32_f16 v37, v90, v98, v37
	;;#ASMEND
	ds_load_b128 v[87:90], v60 offset:32
	ds_load_b128 v[91:94], v61 offset:32
	;; [unrolled: 29-line block ×31, first 2 shown]
	ds_load_b128 v[95:98], v61 offset:1008
	s_wait_dscnt 0x1
	;;#ASMSTART
	v_dot2_f32_f16 v38, v87, v91, v38
	;;#ASMEND
	;;#ASMSTART
	v_dot2_f32_f16 v38, v88, v92, v38
	;;#ASMEND
	;; [unrolled: 3-line block ×4, first 2 shown]
	s_wait_dscnt 0x0
	;;#ASMSTART
	v_dot2_f32_f16 v37, v87, v95, v37
	;;#ASMEND
	v_add_nc_u32_e32 v87, s14, v4
	;;#ASMSTART
	v_dot2_f32_f16 v37, v88, v96, v37
	;;#ASMEND
	;;#ASMSTART
	v_dot2_f32_f16 v37, v89, v97, v37
	;;#ASMEND
	;; [unrolled: 3-line block ×3, first 2 shown]
	v_mov_b32_e32 v90, v2
	v_ashrrev_i32_e32 v88, 31, v87
	s_delay_alu instid0(VALU_DEP_1) | instskip(NEXT) | instid1(VALU_DEP_1)
	v_lshlrev_b64_e32 v[87:88], 1, v[87:88]
	v_add_co_u32 v87, vcc_lo, s34, v87
	s_wait_alu 0xfffd
	s_delay_alu instid0(VALU_DEP_2)
	v_add_co_ci_u32_e64 v88, null, s35, v88, vcc_lo
	v_cmp_gt_i32_e32 vcc_lo, 32, v51
	global_load_u16 v2, v[87:88], off
	s_wait_loadcnt 0x0
	s_barrier_signal -1
	s_barrier_wait -1
	global_inv scope:SCOPE_SE
	v_cvt_f32_f16_e32 v2, v2
	s_delay_alu instid0(VALU_DEP_1) | instskip(SKIP_1) | instid1(VALU_DEP_2)
	v_dual_mov_b32 v89, v3 :: v_dual_add_f32 v88, v37, v2
	v_add_f32_e32 v87, v38, v2
	v_dual_max_num_f32 v2, v90, v90 :: v_dual_add_f32 v37, 0x40051340, v88
	s_delay_alu instid0(VALU_DEP_2) | instskip(NEXT) | instid1(VALU_DEP_1)
	v_add_f32_e32 v3, 0x40051340, v87
	v_dual_max_num_f32 v2, v2, v3 :: v_dual_max_num_f32 v3, v89, v89
	s_delay_alu instid0(VALU_DEP_1) | instskip(SKIP_3) | instid1(VALU_DEP_2)
	v_max_num_f32_e32 v3, v3, v37
	s_wait_alu 0xfffd
	v_cndmask_b32_e32 v37, v42, v51, vcc_lo
	v_cmp_gt_i32_e32 vcc_lo, 32, v49
	v_lshlrev_b32_e32 v37, 2, v37
	ds_bpermute_b32 v38, v37, v2
	s_wait_dscnt 0x0
	v_max_num_f32_e32 v38, v38, v38
	s_delay_alu instid0(VALU_DEP_1) | instskip(SKIP_3) | instid1(VALU_DEP_1)
	v_max_num_f32_e32 v2, v2, v38
	ds_bpermute_b32 v37, v37, v3
	s_wait_dscnt 0x0
	v_max_num_f32_e32 v37, v37, v37
	v_max_num_f32_e32 v3, v3, v37
	s_wait_alu 0xfffd
	v_cndmask_b32_e32 v37, v42, v49, vcc_lo
	v_cmp_gt_i32_e32 vcc_lo, 32, v47
	s_delay_alu instid0(VALU_DEP_2) | instskip(SKIP_4) | instid1(VALU_DEP_1)
	v_lshlrev_b32_e32 v37, 2, v37
	ds_bpermute_b32 v38, v37, v2
	ds_bpermute_b32 v37, v37, v3
	s_wait_dscnt 0x0
	v_dual_max_num_f32 v38, v38, v38 :: v_dual_max_num_f32 v37, v37, v37
	v_dual_max_num_f32 v2, v2, v38 :: v_dual_max_num_f32 v3, v3, v37
	s_wait_alu 0xfffd
	v_cndmask_b32_e32 v37, v42, v47, vcc_lo
	v_cmp_gt_i32_e32 vcc_lo, 32, v46
	s_delay_alu instid0(VALU_DEP_2) | instskip(SKIP_4) | instid1(VALU_DEP_1)
	v_lshlrev_b32_e32 v37, 2, v37
	ds_bpermute_b32 v38, v37, v2
	ds_bpermute_b32 v37, v37, v3
	s_wait_dscnt 0x0
	v_dual_max_num_f32 v38, v38, v38 :: v_dual_max_num_f32 v37, v37, v37
	v_dual_max_num_f32 v2, v2, v38 :: v_dual_max_num_f32 v3, v3, v37
	;; [unrolled: 10-line block ×3, first 2 shown]
	s_wait_alu 0xfffd
	v_cndmask_b32_e32 v37, v42, v45, vcc_lo
	s_delay_alu instid0(VALU_DEP_1) | instskip(SKIP_4) | instid1(VALU_DEP_1)
	v_lshlrev_b32_e32 v37, 2, v37
	ds_bpermute_b32 v38, v37, v2
	ds_bpermute_b32 v37, v37, v3
	s_wait_dscnt 0x0
	v_dual_max_num_f32 v38, v38, v38 :: v_dual_max_num_f32 v37, v37, v37
	v_dual_max_num_f32 v2, v2, v38 :: v_dual_max_num_f32 v3, v3, v37
	s_wait_alu 0xfffe
	v_add_co_u32 v37, vcc_lo, s26, v21
	s_wait_alu 0xfffd
	v_add_co_ci_u32_e64 v38, null, s27, v22, vcc_lo
	v_sub_f32_e32 v87, v87, v2
	s_delay_alu instid0(VALU_DEP_3) | instskip(SKIP_1) | instid1(VALU_DEP_3)
	v_add_co_u32 v37, vcc_lo, v37, v43
	s_wait_alu 0xfffd
	v_add_co_ci_u32_e64 v38, null, 0, v38, vcc_lo
	s_delay_alu instid0(VALU_DEP_3) | instskip(SKIP_2) | instid1(VALU_DEP_3)
	v_mul_f32_e32 v91, 0x3fb8aa3b, v87
	v_cmp_ngt_f32_e32 vcc_lo, 0xc2ce8ed0, v87
	v_cmp_nlt_f32_e64 s2, 0x42b17218, v87
	v_fma_f32 v92, 0x3fb8aa3b, v87, -v91
	s_delay_alu instid0(VALU_DEP_1) | instskip(SKIP_1) | instid1(VALU_DEP_1)
	v_fmac_f32_e32 v92, 0x32a5705f, v87
	v_sub_f32_e32 v87, v88, v3
	v_mul_f32_e32 v88, 0x3fb8aa3b, v87
	v_cmp_ngt_f32_e64 s3, 0xc2ce8ed0, v87
	v_cmp_nlt_f32_e64 s4, 0x42b17218, v87
	s_delay_alu instid0(VALU_DEP_3) | instskip(NEXT) | instid1(VALU_DEP_1)
	v_fma_f32 v93, 0x3fb8aa3b, v87, -v88
	v_fmac_f32_e32 v93, 0x32a5705f, v87
	v_rndne_f32_e32 v87, v91
	s_delay_alu instid0(VALU_DEP_1) | instskip(SKIP_1) | instid1(VALU_DEP_2)
	v_sub_f32_e32 v91, v91, v87
	v_cvt_i32_f32_e32 v87, v87
	v_add_f32_e32 v91, v91, v92
	v_rndne_f32_e32 v92, v88
	s_delay_alu instid0(VALU_DEP_2) | instskip(NEXT) | instid1(VALU_DEP_1)
	v_exp_f32_e32 v91, v91
	v_sub_f32_e32 v88, v88, v92
	s_delay_alu instid0(VALU_DEP_1) | instskip(NEXT) | instid1(TRANS32_DEP_1)
	v_add_f32_e32 v88, v88, v93
	v_ldexp_f32 v91, v91, v87
	s_delay_alu instid0(VALU_DEP_2)
	v_exp_f32_e32 v88, v88
	v_cvt_i32_f32_e32 v87, v92
	s_delay_alu instid0(TRANS32_DEP_1) | instid1(VALU_DEP_1)
	v_ldexp_f32 v88, v88, v87
	s_wait_alu 0xfffd
	v_dual_mov_b32 v87, v52 :: v_dual_cndmask_b32 v52, 0, v91
	s_wait_alu 0xf1ff
	s_delay_alu instid0(VALU_DEP_2) | instskip(NEXT) | instid1(VALU_DEP_2)
	v_cndmask_b32_e64 v88, 0, v88, s3
	v_cndmask_b32_e64 v52, 0x7f800000, v52, s2
	s_delay_alu instid0(VALU_DEP_2) | instskip(NEXT) | instid1(VALU_DEP_2)
	v_cndmask_b32_e64 v88, 0x7f800000, v88, s4
	v_cvt_f16_f32_e32 v91, v52
	s_delay_alu instid0(VALU_DEP_2) | instskip(NEXT) | instid1(VALU_DEP_1)
	v_cvt_f16_f32_e32 v92, v88
	v_pack_b32_f16 v91, v91, v92
	ds_store_b32 v71, v91
	global_load_b128 v[91:94], v[37:38], off
	v_add_co_u32 v37, vcc_lo, s26, v23
	s_wait_alu 0xfffd
	v_add_co_ci_u32_e64 v38, null, s27, v24, vcc_lo
	s_delay_alu instid0(VALU_DEP_2) | instskip(SKIP_1) | instid1(VALU_DEP_2)
	v_add_co_u32 v37, vcc_lo, v37, v43
	s_wait_alu 0xfffd
	v_add_co_ci_u32_e64 v38, null, 0, v38, vcc_lo
	s_wait_loadcnt 0x0
	ds_store_b128 v62, v[91:94]
	global_load_b128 v[91:94], v[37:38], off
	v_add_co_u32 v37, vcc_lo, s26, v25
	s_wait_alu 0xfffd
	v_add_co_ci_u32_e64 v38, null, s27, v26, vcc_lo
	s_delay_alu instid0(VALU_DEP_2) | instskip(SKIP_1) | instid1(VALU_DEP_2)
	v_add_co_u32 v37, vcc_lo, v37, v43
	s_wait_alu 0xfffd
	v_add_co_ci_u32_e64 v38, null, 0, v38, vcc_lo
	s_wait_loadcnt 0x0
	ds_store_b128 v64, v[91:94]
	;; [unrolled: 10-line block ×7, first 2 shown]
	global_load_b128 v[91:94], v[37:38], off
	v_sub_f32_e32 v37, v90, v2
	s_delay_alu instid0(VALU_DEP_1) | instskip(SKIP_2) | instid1(VALU_DEP_3)
	v_mul_f32_e32 v38, 0x3fb8aa3b, v37
	v_cmp_ngt_f32_e32 vcc_lo, 0xc2ce8ed0, v37
	v_cmp_nlt_f32_e64 s2, 0x42b17218, v37
	v_fma_f32 v90, 0x3fb8aa3b, v37, -v38
	s_delay_alu instid0(VALU_DEP_1) | instskip(NEXT) | instid1(VALU_DEP_1)
	v_dual_fmac_f32 v90, 0x32a5705f, v37 :: v_dual_sub_f32 v37, v89, v3
	v_mul_f32_e32 v89, 0x3fb8aa3b, v37
	v_cmp_ngt_f32_e64 s3, 0xc2ce8ed0, v37
	v_cmp_nlt_f32_e64 s4, 0x42b17218, v37
	s_wait_loadcnt 0x0
	ds_store_b128 v70, v[91:94]
	v_fma_f32 v91, 0x3fb8aa3b, v37, -v89
	s_wait_dscnt 0x0
	s_barrier_signal -1
	s_barrier_wait -1
	global_inv scope:SCOPE_SE
	v_fmac_f32_e32 v91, 0x32a5705f, v37
	v_rndne_f32_e32 v37, v38
	s_delay_alu instid0(VALU_DEP_1) | instskip(SKIP_1) | instid1(VALU_DEP_2)
	v_sub_f32_e32 v38, v38, v37
	v_cvt_i32_f32_e32 v37, v37
	v_add_f32_e32 v38, v38, v90
	v_rndne_f32_e32 v90, v89
	s_delay_alu instid0(VALU_DEP_2) | instskip(NEXT) | instid1(VALU_DEP_1)
	v_exp_f32_e32 v38, v38
	v_sub_f32_e32 v89, v89, v90
	s_delay_alu instid0(VALU_DEP_1) | instskip(NEXT) | instid1(TRANS32_DEP_1)
	v_add_f32_e32 v89, v89, v91
	v_ldexp_f32 v37, v38, v37
	s_delay_alu instid0(VALU_DEP_2) | instskip(SKIP_2) | instid1(VALU_DEP_2)
	v_exp_f32_e32 v89, v89
	v_cvt_i32_f32_e32 v38, v90
	s_wait_alu 0xfffd
	v_cndmask_b32_e32 v37, 0, v37, vcc_lo
	s_delay_alu instid0(TRANS32_DEP_1) | instid1(VALU_DEP_2)
	v_ldexp_f32 v38, v89, v38
	s_wait_alu 0xf1ff
	s_delay_alu instid0(VALU_DEP_1) | instskip(NEXT) | instid1(VALU_DEP_3)
	v_cndmask_b32_e64 v89, 0, v38, s3
	v_cndmask_b32_e64 v38, 0x7f800000, v37, s2
	s_delay_alu instid0(VALU_DEP_2) | instskip(NEXT) | instid1(VALU_DEP_2)
	v_cndmask_b32_e64 v37, 0x7f800000, v89, s4
	v_cvt_f16_f32_e32 v89, v38
	s_delay_alu instid0(VALU_DEP_2) | instskip(NEXT) | instid1(VALU_DEP_2)
	v_cvt_f16_f32_e32 v90, v37
	v_and_b32_e32 v89, 0xffff, v89
	s_delay_alu instid0(VALU_DEP_2) | instskip(NEXT) | instid1(VALU_DEP_2)
	v_and_b32_e32 v90, 0xffff, v90
	v_mul_u32_u24_e32 v97, 0x10001, v89
	s_delay_alu instid0(VALU_DEP_2)
	v_mul_u32_u24_e32 v98, 0x10001, v90
	ds_load_b128 v[89:92], v63
	v_pk_mul_f16 v85, v85, v97
	v_pk_mul_f16 v86, v86, v97
	;; [unrolled: 1-line block ×6, first 2 shown]
	s_wait_dscnt 0x0
	v_and_b32_e32 v93, 0xffff, v89
	v_lshrrev_b32_e32 v89, 16, v89
	s_delay_alu instid0(VALU_DEP_2) | instskip(SKIP_4) | instid1(VALU_DEP_2)
	v_mul_u32_u24_e32 v99, 0x10001, v93
	ds_load_2addr_b64 v[93:96], v41 offset1:32
	v_mul_u32_u24_e32 v89, 0x10001, v89
	s_wait_dscnt 0x0
	v_pk_fma_f16 v85, v96, v99, v85
	v_pk_fma_f16 v96, v96, v89, v79
	v_pk_mul_f16 v79, v93, v89
	v_pk_fma_f16 v86, v94, v99, v86
	v_pk_fma_f16 v84, v95, v99, v84
	;; [unrolled: 1-line block ×5, first 2 shown]
	v_and_b32_e32 v79, 0xffff, v90
	v_pk_mul_f16 v99, v93, v99
	v_lshrrev_b32_e32 v90, 16, v90
	s_delay_alu instid0(VALU_DEP_3) | instskip(SKIP_4) | instid1(VALU_DEP_2)
	v_mul_u32_u24_e32 v93, 0x10001, v79
	ds_load_2addr_b64 v[79:82], v41 offset0:64 offset1:96
	v_pk_fma_f16 v83, v83, v97, v99
	v_mul_u32_u24_e32 v90, 0x10001, v90
	s_wait_dscnt 0x0
	v_pk_fma_f16 v83, v79, v93, v83
	s_delay_alu instid0(VALU_DEP_2)
	v_pk_fma_f16 v89, v79, v90, v89
	v_and_b32_e32 v79, 0xffff, v91
	v_pk_fma_f16 v86, v80, v93, v86
	v_pk_fma_f16 v84, v81, v93, v84
	;; [unrolled: 1-line block ×6, first 2 shown]
	v_mul_u32_u24_e32 v90, 0x10001, v79
	ds_load_2addr_b64 v[79:82], v41 offset0:128 offset1:160
	s_wait_dscnt 0x0
	v_pk_fma_f16 v86, v80, v90, v86
	v_pk_fma_f16 v84, v81, v90, v84
	v_pk_fma_f16 v85, v82, v90, v85
	v_pk_fma_f16 v83, v79, v90, v83
	v_lshrrev_b32_e32 v90, 16, v91
	s_delay_alu instid0(VALU_DEP_1) | instskip(NEXT) | instid1(VALU_DEP_1)
	v_mul_u32_u24_e32 v90, 0x10001, v90
	v_pk_fma_f16 v89, v79, v90, v89
	v_and_b32_e32 v79, 0xffff, v92
	v_pk_fma_f16 v91, v80, v90, v93
	v_pk_fma_f16 v93, v81, v90, v94
	;; [unrolled: 1-line block ×3, first 2 shown]
	v_lshrrev_b32_e32 v90, 16, v92
	v_mul_u32_u24_e32 v92, 0x10001, v79
	ds_load_2addr_b64 v[79:82], v41 offset0:192 offset1:224
	s_wait_dscnt 0x0
	v_pk_fma_f16 v95, v80, v92, v86
	v_pk_fma_f16 v96, v81, v92, v84
	;; [unrolled: 1-line block ×4, first 2 shown]
	v_mul_u32_u24_e32 v83, 0x10001, v90
	s_delay_alu instid0(VALU_DEP_1)
	v_pk_fma_f16 v90, v80, v83, v91
	v_pk_fma_f16 v91, v81, v83, v93
	v_pk_fma_f16 v93, v82, v83, v94
	v_pk_fma_f16 v89, v79, v83, v89
	ds_load_b128 v[79:82], v63 offset:16
	s_wait_dscnt 0x0
	v_and_b32_e32 v83, 0xffff, v79
	v_lshrrev_b32_e32 v79, 16, v79
	s_delay_alu instid0(VALU_DEP_2) | instskip(SKIP_4) | instid1(VALU_DEP_2)
	v_mul_u32_u24_e32 v94, 0x10001, v83
	ds_load_2addr_b64 v[83:86], v72 offset1:32
	v_mul_u32_u24_e32 v79, 0x10001, v79
	s_wait_dscnt 0x0
	v_pk_fma_f16 v92, v83, v94, v92
	v_pk_fma_f16 v90, v84, v79, v90
	v_pk_fma_f16 v91, v85, v79, v91
	v_pk_fma_f16 v93, v86, v79, v93
	v_pk_fma_f16 v79, v83, v79, v89
	v_and_b32_e32 v83, 0xffff, v80
	v_pk_fma_f16 v95, v84, v94, v95
	v_pk_fma_f16 v96, v85, v94, v96
	;; [unrolled: 1-line block ×3, first 2 shown]
	v_lshrrev_b32_e32 v80, 16, v80
	v_mul_u32_u24_e32 v89, 0x10001, v83
	ds_load_2addr_b64 v[83:86], v72 offset0:64 offset1:96
	v_mul_u32_u24_e32 v80, 0x10001, v80
	s_wait_dscnt 0x0
	v_pk_fma_f16 v94, v84, v89, v95
	v_pk_fma_f16 v95, v85, v89, v96
	;; [unrolled: 1-line block ×8, first 2 shown]
	ds_load_2addr_b64 v[83:86], v72 offset0:128 offset1:160
	v_and_b32_e32 v80, 0xffff, v81
	s_delay_alu instid0(VALU_DEP_1) | instskip(SKIP_1) | instid1(VALU_DEP_1)
	v_mul_u32_u24_e32 v80, 0x10001, v80
	s_wait_dscnt 0x0
	v_pk_fma_f16 v93, v84, v80, v94
	v_pk_fma_f16 v94, v85, v80, v95
	;; [unrolled: 1-line block ×4, first 2 shown]
	v_lshrrev_b32_e32 v80, 16, v81
	s_delay_alu instid0(VALU_DEP_1) | instskip(NEXT) | instid1(VALU_DEP_1)
	v_mul_u32_u24_e32 v80, 0x10001, v80
	v_pk_fma_f16 v83, v83, v80, v79
	v_and_b32_e32 v79, 0xffff, v82
	v_pk_fma_f16 v84, v84, v80, v90
	v_pk_fma_f16 v85, v85, v80, v91
	;; [unrolled: 1-line block ×3, first 2 shown]
	v_lshrrev_b32_e32 v90, 16, v82
	v_mul_u32_u24_e32 v91, 0x10001, v79
	ds_load_2addr_b64 v[79:82], v72 offset0:192 offset1:224
	v_mul_u32_u24_e32 v90, 0x10001, v90
	s_wait_dscnt 0x0
	v_pk_fma_f16 v92, v80, v91, v93
	v_pk_fma_f16 v93, v81, v91, v94
	;; [unrolled: 1-line block ×8, first 2 shown]
	ds_load_b128 v[79:82], v63 offset:32
	s_wait_dscnt 0x0
	v_and_b32_e32 v83, 0xffff, v79
	v_lshrrev_b32_e32 v79, 16, v79
	s_delay_alu instid0(VALU_DEP_2) | instskip(SKIP_4) | instid1(VALU_DEP_2)
	v_mul_u32_u24_e32 v97, 0x10001, v83
	ds_load_2addr_b64 v[83:86], v73 offset1:32
	v_mul_u32_u24_e32 v79, 0x10001, v79
	s_wait_dscnt 0x0
	v_pk_fma_f16 v89, v83, v97, v89
	v_pk_fma_f16 v91, v84, v79, v91
	;; [unrolled: 1-line block ×5, first 2 shown]
	v_and_b32_e32 v83, 0xffff, v80
	v_pk_fma_f16 v92, v84, v97, v92
	v_pk_fma_f16 v93, v85, v97, v93
	v_pk_fma_f16 v94, v86, v97, v94
	v_lshrrev_b32_e32 v80, 16, v80
	v_mul_u32_u24_e32 v90, 0x10001, v83
	ds_load_2addr_b64 v[83:86], v73 offset0:64 offset1:96
	v_mul_u32_u24_e32 v80, 0x10001, v80
	s_wait_dscnt 0x0
	v_pk_fma_f16 v92, v84, v90, v92
	v_pk_fma_f16 v93, v85, v90, v93
	;; [unrolled: 1-line block ×8, first 2 shown]
	ds_load_2addr_b64 v[83:86], v73 offset0:128 offset1:160
	v_and_b32_e32 v80, 0xffff, v81
	s_delay_alu instid0(VALU_DEP_1) | instskip(SKIP_1) | instid1(VALU_DEP_1)
	v_mul_u32_u24_e32 v80, 0x10001, v80
	s_wait_dscnt 0x0
	v_pk_fma_f16 v92, v84, v80, v92
	v_pk_fma_f16 v93, v85, v80, v93
	;; [unrolled: 1-line block ×4, first 2 shown]
	v_lshrrev_b32_e32 v80, 16, v81
	s_delay_alu instid0(VALU_DEP_1) | instskip(NEXT) | instid1(VALU_DEP_1)
	v_mul_u32_u24_e32 v80, 0x10001, v80
	v_pk_fma_f16 v83, v83, v80, v79
	v_and_b32_e32 v79, 0xffff, v82
	v_pk_fma_f16 v84, v84, v80, v90
	v_pk_fma_f16 v85, v85, v80, v91
	;; [unrolled: 1-line block ×3, first 2 shown]
	v_lshrrev_b32_e32 v90, 16, v82
	v_mul_u32_u24_e32 v91, 0x10001, v79
	ds_load_2addr_b64 v[79:82], v73 offset0:192 offset1:224
	v_mul_u32_u24_e32 v90, 0x10001, v90
	s_wait_dscnt 0x0
	v_pk_fma_f16 v92, v80, v91, v92
	v_pk_fma_f16 v93, v81, v91, v93
	;; [unrolled: 1-line block ×8, first 2 shown]
	ds_load_b128 v[79:82], v63 offset:48
	s_wait_dscnt 0x0
	v_and_b32_e32 v83, 0xffff, v79
	v_lshrrev_b32_e32 v79, 16, v79
	s_delay_alu instid0(VALU_DEP_2) | instskip(SKIP_4) | instid1(VALU_DEP_2)
	v_mul_u32_u24_e32 v97, 0x10001, v83
	ds_load_2addr_b64 v[83:86], v74 offset1:32
	v_mul_u32_u24_e32 v79, 0x10001, v79
	s_wait_dscnt 0x0
	v_pk_fma_f16 v89, v83, v97, v89
	v_pk_fma_f16 v91, v84, v79, v91
	;; [unrolled: 1-line block ×5, first 2 shown]
	v_and_b32_e32 v83, 0xffff, v80
	v_pk_fma_f16 v92, v84, v97, v92
	v_pk_fma_f16 v93, v85, v97, v93
	v_pk_fma_f16 v94, v86, v97, v94
	v_lshrrev_b32_e32 v80, 16, v80
	v_mul_u32_u24_e32 v90, 0x10001, v83
	ds_load_2addr_b64 v[83:86], v74 offset0:64 offset1:96
	v_mul_u32_u24_e32 v80, 0x10001, v80
	s_wait_dscnt 0x0
	v_pk_fma_f16 v92, v84, v90, v92
	v_pk_fma_f16 v93, v85, v90, v93
	;; [unrolled: 1-line block ×8, first 2 shown]
	ds_load_2addr_b64 v[83:86], v74 offset0:128 offset1:160
	v_and_b32_e32 v80, 0xffff, v81
	v_fmac_f32_e32 v52, v87, v38
	v_mov_b32_e32 v38, v58
	v_mov_b32_e32 v58, v88
	s_delay_alu instid0(VALU_DEP_4) | instskip(NEXT) | instid1(VALU_DEP_2)
	v_mul_u32_u24_e32 v80, 0x10001, v80
	v_fmac_f32_e32 v58, v38, v37
	s_wait_dscnt 0x0
	s_delay_alu instid0(VALU_DEP_2) | instskip(SKIP_4) | instid1(VALU_DEP_1)
	v_pk_fma_f16 v92, v84, v80, v92
	v_pk_fma_f16 v93, v85, v80, v93
	;; [unrolled: 1-line block ×4, first 2 shown]
	v_lshrrev_b32_e32 v80, 16, v81
	v_mul_u32_u24_e32 v80, 0x10001, v80
	s_delay_alu instid0(VALU_DEP_1)
	v_pk_fma_f16 v83, v83, v80, v79
	v_and_b32_e32 v79, 0xffff, v82
	v_pk_fma_f16 v84, v84, v80, v90
	v_pk_fma_f16 v85, v85, v80, v91
	v_pk_fma_f16 v86, v86, v80, v95
	v_lshrrev_b32_e32 v90, 16, v82
	v_mul_u32_u24_e32 v91, 0x10001, v79
	ds_load_2addr_b64 v[79:82], v74 offset0:192 offset1:224
	v_mul_u32_u24_e32 v90, 0x10001, v90
	s_wait_dscnt 0x0
	v_pk_fma_f16 v92, v80, v91, v92
	v_pk_fma_f16 v93, v81, v91, v93
	v_pk_fma_f16 v94, v82, v91, v94
	v_pk_fma_f16 v89, v79, v91, v89
	v_pk_fma_f16 v91, v80, v90, v84
	v_pk_fma_f16 v95, v81, v90, v85
	v_pk_fma_f16 v96, v82, v90, v86
	v_pk_fma_f16 v90, v79, v90, v83
	ds_load_b128 v[79:82], v63 offset:64
	s_wait_dscnt 0x0
	v_and_b32_e32 v83, 0xffff, v79
	v_lshrrev_b32_e32 v79, 16, v79
	s_delay_alu instid0(VALU_DEP_2) | instskip(SKIP_4) | instid1(VALU_DEP_2)
	v_mul_u32_u24_e32 v97, 0x10001, v83
	ds_load_2addr_b64 v[83:86], v75 offset1:32
	v_mul_u32_u24_e32 v79, 0x10001, v79
	s_wait_dscnt 0x0
	v_pk_fma_f16 v89, v83, v97, v89
	v_pk_fma_f16 v91, v84, v79, v91
	v_pk_fma_f16 v95, v85, v79, v95
	v_pk_fma_f16 v96, v86, v79, v96
	v_pk_fma_f16 v79, v83, v79, v90
	v_and_b32_e32 v83, 0xffff, v80
	v_pk_fma_f16 v92, v84, v97, v92
	v_pk_fma_f16 v93, v85, v97, v93
	v_pk_fma_f16 v94, v86, v97, v94
	v_lshrrev_b32_e32 v80, 16, v80
	v_mul_u32_u24_e32 v90, 0x10001, v83
	ds_load_2addr_b64 v[83:86], v75 offset0:64 offset1:96
	v_mul_u32_u24_e32 v80, 0x10001, v80
	s_wait_dscnt 0x0
	v_pk_fma_f16 v92, v84, v90, v92
	v_pk_fma_f16 v93, v85, v90, v93
	v_pk_fma_f16 v94, v86, v90, v94
	v_pk_fma_f16 v89, v83, v90, v89
	v_pk_fma_f16 v90, v84, v80, v91
	v_pk_fma_f16 v91, v85, v80, v95
	v_pk_fma_f16 v95, v86, v80, v96
	v_pk_fma_f16 v79, v83, v80, v79
	ds_load_2addr_b64 v[83:86], v75 offset0:128 offset1:160
	v_and_b32_e32 v80, 0xffff, v81
	s_delay_alu instid0(VALU_DEP_1) | instskip(SKIP_1) | instid1(VALU_DEP_1)
	v_mul_u32_u24_e32 v80, 0x10001, v80
	s_wait_dscnt 0x0
	v_pk_fma_f16 v92, v84, v80, v92
	v_pk_fma_f16 v93, v85, v80, v93
	v_pk_fma_f16 v94, v86, v80, v94
	v_pk_fma_f16 v89, v83, v80, v89
	v_lshrrev_b32_e32 v80, 16, v81
	s_delay_alu instid0(VALU_DEP_1) | instskip(NEXT) | instid1(VALU_DEP_1)
	v_mul_u32_u24_e32 v80, 0x10001, v80
	v_pk_fma_f16 v83, v83, v80, v79
	v_and_b32_e32 v79, 0xffff, v82
	v_pk_fma_f16 v84, v84, v80, v90
	v_pk_fma_f16 v85, v85, v80, v91
	v_pk_fma_f16 v86, v86, v80, v95
	v_lshrrev_b32_e32 v90, 16, v82
	v_mul_u32_u24_e32 v91, 0x10001, v79
	ds_load_2addr_b64 v[79:82], v75 offset0:192 offset1:224
	v_mul_u32_u24_e32 v90, 0x10001, v90
	s_wait_dscnt 0x0
	v_pk_fma_f16 v92, v80, v91, v92
	v_pk_fma_f16 v93, v81, v91, v93
	v_pk_fma_f16 v94, v82, v91, v94
	v_pk_fma_f16 v89, v79, v91, v89
	v_pk_fma_f16 v91, v80, v90, v84
	v_pk_fma_f16 v95, v81, v90, v85
	v_pk_fma_f16 v96, v82, v90, v86
	v_pk_fma_f16 v90, v79, v90, v83
	ds_load_b128 v[79:82], v63 offset:80
	s_wait_dscnt 0x0
	v_and_b32_e32 v83, 0xffff, v79
	v_lshrrev_b32_e32 v79, 16, v79
	s_delay_alu instid0(VALU_DEP_2) | instskip(SKIP_4) | instid1(VALU_DEP_2)
	v_mul_u32_u24_e32 v97, 0x10001, v83
	ds_load_2addr_b64 v[83:86], v76 offset1:32
	v_mul_u32_u24_e32 v79, 0x10001, v79
	s_wait_dscnt 0x0
	v_pk_fma_f16 v89, v83, v97, v89
	v_pk_fma_f16 v91, v84, v79, v91
	v_pk_fma_f16 v95, v85, v79, v95
	v_pk_fma_f16 v96, v86, v79, v96
	v_pk_fma_f16 v79, v83, v79, v90
	v_and_b32_e32 v83, 0xffff, v80
	v_pk_fma_f16 v92, v84, v97, v92
	v_pk_fma_f16 v93, v85, v97, v93
	v_pk_fma_f16 v94, v86, v97, v94
	v_lshrrev_b32_e32 v80, 16, v80
	v_mul_u32_u24_e32 v90, 0x10001, v83
	ds_load_2addr_b64 v[83:86], v76 offset0:64 offset1:96
	v_mul_u32_u24_e32 v80, 0x10001, v80
	s_wait_dscnt 0x0
	v_pk_fma_f16 v92, v84, v90, v92
	v_pk_fma_f16 v93, v85, v90, v93
	v_pk_fma_f16 v94, v86, v90, v94
	v_pk_fma_f16 v89, v83, v90, v89
	v_pk_fma_f16 v90, v84, v80, v91
	v_pk_fma_f16 v91, v85, v80, v95
	v_pk_fma_f16 v95, v86, v80, v96
	v_pk_fma_f16 v79, v83, v80, v79
	ds_load_2addr_b64 v[83:86], v76 offset0:128 offset1:160
	v_and_b32_e32 v80, 0xffff, v81
	s_delay_alu instid0(VALU_DEP_1) | instskip(SKIP_1) | instid1(VALU_DEP_1)
	v_mul_u32_u24_e32 v80, 0x10001, v80
	s_wait_dscnt 0x0
	v_pk_fma_f16 v92, v84, v80, v92
	v_pk_fma_f16 v93, v85, v80, v93
	v_pk_fma_f16 v94, v86, v80, v94
	v_pk_fma_f16 v89, v83, v80, v89
	v_lshrrev_b32_e32 v80, 16, v81
	s_delay_alu instid0(VALU_DEP_1) | instskip(NEXT) | instid1(VALU_DEP_1)
	v_mul_u32_u24_e32 v80, 0x10001, v80
	;; [unrolled: 61-line block ×3, first 2 shown]
	v_pk_fma_f16 v83, v83, v80, v79
	v_and_b32_e32 v79, 0xffff, v82
	v_pk_fma_f16 v84, v84, v80, v90
	v_pk_fma_f16 v85, v85, v80, v91
	;; [unrolled: 1-line block ×3, first 2 shown]
	v_lshrrev_b32_e32 v90, 16, v82
	v_mul_u32_u24_e32 v91, 0x10001, v79
	ds_load_2addr_b64 v[79:82], v77 offset0:192 offset1:224
	v_mul_u32_u24_e32 v90, 0x10001, v90
	s_wait_dscnt 0x0
	v_pk_fma_f16 v92, v80, v91, v92
	v_pk_fma_f16 v93, v81, v91, v93
	;; [unrolled: 1-line block ×8, first 2 shown]
	ds_load_b128 v[79:82], v63 offset:112
	s_wait_dscnt 0x0
	v_and_b32_e32 v83, 0xffff, v79
	v_lshrrev_b32_e32 v79, 16, v79
	s_delay_alu instid0(VALU_DEP_2) | instskip(SKIP_4) | instid1(VALU_DEP_2)
	v_mul_u32_u24_e32 v97, 0x10001, v83
	ds_load_2addr_b64 v[83:86], v78 offset1:32
	v_mul_u32_u24_e32 v79, 0x10001, v79
	s_wait_dscnt 0x0
	v_pk_fma_f16 v89, v83, v97, v89
	v_pk_fma_f16 v91, v84, v79, v91
	;; [unrolled: 1-line block ×5, first 2 shown]
	v_and_b32_e32 v83, 0xffff, v80
	v_pk_fma_f16 v92, v84, v97, v92
	v_pk_fma_f16 v93, v85, v97, v93
	;; [unrolled: 1-line block ×3, first 2 shown]
	v_lshrrev_b32_e32 v80, 16, v80
	v_mul_u32_u24_e32 v90, 0x10001, v83
	ds_load_2addr_b64 v[83:86], v78 offset0:64 offset1:96
	v_mul_u32_u24_e32 v80, 0x10001, v80
	s_wait_dscnt 0x0
	v_pk_fma_f16 v92, v84, v90, v92
	v_pk_fma_f16 v93, v85, v90, v93
	;; [unrolled: 1-line block ×8, first 2 shown]
	ds_load_2addr_b64 v[83:86], v78 offset0:128 offset1:160
	v_and_b32_e32 v80, 0xffff, v81
	v_lshrrev_b32_e32 v81, 16, v81
	s_delay_alu instid0(VALU_DEP_2) | instskip(NEXT) | instid1(VALU_DEP_2)
	v_mul_u32_u24_e32 v80, 0x10001, v80
	v_mul_u32_u24_e32 v81, 0x10001, v81
	s_wait_dscnt 0x0
	s_delay_alu instid0(VALU_DEP_2)
	v_pk_fma_f16 v96, v84, v80, v92
	v_pk_fma_f16 v93, v85, v80, v93
	;; [unrolled: 1-line block ×6, first 2 shown]
	ds_load_2addr_b64 v[89:92], v78 offset0:192 offset1:224
	s_wait_loadcnt_dscnt 0x0
	s_barrier_signal -1
	s_barrier_wait -1
	global_inv scope:SCOPE_SE
	s_load_b32 s2, s[24:25], 0x4
	v_pk_fma_f16 v95, v86, v81, v95
	v_pk_fma_f16 v81, v83, v81, v79
	v_and_b32_e32 v79, 0xffff, v82
	v_lshrrev_b32_e32 v82, 16, v82
	s_delay_alu instid0(VALU_DEP_2) | instskip(NEXT) | instid1(VALU_DEP_1)
	v_mul_u32_u24_e32 v79, 0x10001, v79
	v_pk_fma_f16 v84, v91, v79, v93
	s_delay_alu instid0(VALU_DEP_3)
	v_mul_u32_u24_e32 v93, 0x10001, v82
	v_pk_fma_f16 v86, v90, v79, v96
	v_pk_fma_f16 v85, v92, v79, v94
	v_pk_fma_f16 v83, v89, v79, v80
	s_wait_kmcnt 0x0
	s_lshl_b32 s2, s2, 5
	v_pk_fma_f16 v82, v90, v93, v97
	v_pk_fma_f16 v80, v91, v93, v98
	;; [unrolled: 1-line block ×4, first 2 shown]
	s_wait_alu 0xfffe
	s_add_co_i32 s14, s2, s14
	s_wait_alu 0xfffe
	s_cmp_ge_i32 s14, s30
	s_cbranch_scc0 .LBB20_9
; %bb.10:
	v_mov_b32_e32 v5, v42
.LBB20_11:
	v_cmp_lt_i32_e32 vcc_lo, v51, v44
	s_cmp_lg_u64 s[12:13], 0
	s_cselect_b32 s2, -1, 0
	s_cmp_eq_u32 s10, 0
	s_wait_alu 0xfffd
	v_cndmask_b32_e32 v4, v5, v51, vcc_lo
	v_cmp_lt_i32_e32 vcc_lo, v49, v44
	s_cselect_b32 s3, -1, 0
	s_wait_alu 0xfffe
	s_and_b32 s2, s3, s2
	s_wait_alu 0xfffd
	v_cndmask_b32_e32 v7, v5, v49, vcc_lo
	v_cmp_lt_i32_e32 vcc_lo, v47, v44
	s_wait_alu 0xfffd
	v_cndmask_b32_e32 v9, v5, v47, vcc_lo
	v_cmp_lt_i32_e32 vcc_lo, v46, v44
	s_delay_alu instid0(VALU_DEP_2)
	v_lshlrev_b32_e32 v9, 2, v9
	v_lshlrev_b32_e32 v4, 2, v4
	ds_bpermute_b32 v6, v4, v52
	ds_bpermute_b32 v4, v4, v58
	s_wait_dscnt 0x1
	v_dual_add_f32 v6, v52, v6 :: v_dual_lshlrev_b32 v7, 2, v7
	s_wait_dscnt 0x0
	v_add_f32_e32 v4, v58, v4
	ds_bpermute_b32 v8, v7, v6
	ds_bpermute_b32 v7, v7, v4
	s_wait_dscnt 0x1
	v_add_f32_e32 v6, v6, v8
	s_wait_dscnt 0x0
	v_add_f32_e32 v4, v4, v7
	ds_bpermute_b32 v7, v9, v6
	ds_bpermute_b32 v8, v9, v4
	s_wait_alu 0xfffd
	v_cndmask_b32_e32 v9, v5, v46, vcc_lo
	v_cmp_lt_i32_e32 vcc_lo, v45, v44
	s_delay_alu instid0(VALU_DEP_2)
	v_lshlrev_b32_e32 v9, 2, v9
	s_wait_alu 0xfffd
	v_cndmask_b32_e32 v5, v5, v45, vcc_lo
	s_wait_alu 0xfffe
	s_and_b32 vcc_lo, exec_lo, s2
	s_wait_dscnt 0x1
	s_delay_alu instid0(VALU_DEP_1)
	v_dual_add_f32 v6, v6, v7 :: v_dual_lshlrev_b32 v5, 2, v5
	s_wait_dscnt 0x0
	v_add_f32_e32 v4, v4, v8
	ds_bpermute_b32 v7, v9, v6
	ds_bpermute_b32 v8, v9, v4
	s_wait_dscnt 0x0
	v_dual_add_f32 v6, v6, v7 :: v_dual_add_f32 v7, v4, v8
	ds_bpermute_b32 v4, v5, v6
	ds_bpermute_b32 v5, v5, v7
	s_wait_dscnt 0x0
	v_dual_add_f32 v4, v6, v4 :: v_dual_add_f32 v5, v7, v5
	s_wait_alu 0xfffe
	s_cbranch_vccz .LBB20_14
; %bb.12:
	v_add_nc_u32_e32 v6, s33, v39
	v_max_num_f32_e32 v10, v3, v3
	s_delay_alu instid0(VALU_DEP_2) | instskip(NEXT) | instid1(VALU_DEP_1)
	v_ashrrev_i32_e32 v7, 31, v6
	v_lshlrev_b64_e32 v[6:7], 2, v[6:7]
	s_delay_alu instid0(VALU_DEP_1) | instskip(SKIP_1) | instid1(VALU_DEP_2)
	v_add_co_u32 v6, vcc_lo, s12, v6
	s_wait_alu 0xfffd
	v_add_co_ci_u32_e64 v7, null, s13, v7, vcc_lo
	global_load_b64 v[6:7], v[6:7], off
	s_wait_loadcnt 0x0
	v_dual_max_num_f32 v8, v2, v2 :: v_dual_max_num_f32 v11, v7, v7
	v_max_num_f32_e32 v9, v6, v6
	s_delay_alu instid0(VALU_DEP_1) | instskip(NEXT) | instid1(VALU_DEP_1)
	v_dual_max_num_f32 v8, v8, v9 :: v_dual_max_num_f32 v9, v10, v11
	v_dual_sub_f32 v2, v2, v8 :: v_dual_sub_f32 v7, v7, v9
	v_dual_sub_f32 v6, v6, v8 :: v_dual_sub_f32 v3, v3, v9
	s_delay_alu instid0(VALU_DEP_2) | instskip(NEXT) | instid1(VALU_DEP_3)
	v_cmp_ngt_f32_e32 vcc_lo, 0xc2ce8ed0, v2
	v_mul_f32_e32 v13, 0x3fb8aa3b, v7
	s_delay_alu instid0(VALU_DEP_3) | instskip(NEXT) | instid1(VALU_DEP_2)
	v_dual_mul_f32 v11, 0x3fb8aa3b, v6 :: v_dual_mul_f32 v12, 0x3fb8aa3b, v3
	v_fma_f32 v20, 0x3fb8aa3b, v7, -v13
	s_delay_alu instid0(VALU_DEP_2) | instskip(SKIP_3) | instid1(VALU_DEP_4)
	v_rndne_f32_e32 v17, v11
	v_mul_f32_e32 v10, 0x3fb8aa3b, v2
	v_fma_f32 v16, 0x3fb8aa3b, v6, -v11
	v_rndne_f32_e32 v21, v13
	v_dual_fmac_f32 v20, 0x32a5705f, v7 :: v_dual_sub_f32 v11, v11, v17
	s_delay_alu instid0(VALU_DEP_4) | instskip(SKIP_1) | instid1(VALU_DEP_4)
	v_fma_f32 v14, 0x3fb8aa3b, v2, -v10
	v_rndne_f32_e32 v15, v10
	v_sub_f32_e32 v13, v13, v21
	v_fma_f32 v18, 0x3fb8aa3b, v3, -v12
	v_rndne_f32_e32 v19, v12
	v_fmac_f32_e32 v14, 0x32a5705f, v2
	s_delay_alu instid0(VALU_DEP_4) | instskip(SKIP_2) | instid1(VALU_DEP_3)
	v_dual_fmac_f32 v16, 0x32a5705f, v6 :: v_dual_add_f32 v13, v13, v20
	v_sub_f32_e32 v10, v10, v15
	v_fmac_f32_e32 v18, 0x32a5705f, v3
	v_dual_sub_f32 v12, v12, v19 :: v_dual_add_f32 v11, v11, v16
	v_cvt_i32_f32_e32 v16, v19
	s_delay_alu instid0(VALU_DEP_4) | instskip(SKIP_1) | instid1(VALU_DEP_4)
	v_add_f32_e32 v10, v10, v14
	v_cvt_i32_f32_e32 v14, v15
	v_add_f32_e32 v12, v12, v18
	v_exp_f32_e32 v11, v11
	v_cvt_i32_f32_e32 v15, v17
	v_exp_f32_e32 v10, v10
	v_exp_f32_e32 v13, v13
	;; [unrolled: 1-line block ×3, first 2 shown]
	s_delay_alu instid0(VALU_DEP_1) | instskip(NEXT) | instid1(TRANS32_DEP_3)
	v_ldexp_f32 v11, v11, v15
	v_ldexp_f32 v10, v10, v14
	v_cvt_i32_f32_e32 v14, v21
	s_delay_alu instid0(TRANS32_DEP_1) | instskip(SKIP_1) | instid1(VALU_DEP_3)
	v_ldexp_f32 v12, v12, v16
	s_wait_alu 0xfffd
	v_cndmask_b32_e32 v10, 0, v10, vcc_lo
	v_cmp_ngt_f32_e32 vcc_lo, 0xc2ce8ed0, v3
	s_delay_alu instid0(TRANS32_DEP_2)
	v_ldexp_f32 v13, v13, v14
	s_wait_alu 0xfffd
	v_cndmask_b32_e32 v12, 0, v12, vcc_lo
	v_cmp_nlt_f32_e32 vcc_lo, 0x42b17218, v2
	s_wait_alu 0xfffd
	v_cndmask_b32_e32 v2, 0x7f800000, v10, vcc_lo
	v_cmp_ngt_f32_e32 vcc_lo, 0xc2ce8ed0, v6
	s_wait_alu 0xfffd
	v_cndmask_b32_e32 v10, 0, v11, vcc_lo
	v_cmp_nlt_f32_e32 vcc_lo, 0x42b17218, v3
	v_cvt_f16_f32_e32 v3, v2
	s_wait_alu 0xfffd
	v_cndmask_b32_e32 v11, 0x7f800000, v12, vcc_lo
	v_cmp_ngt_f32_e32 vcc_lo, 0xc2ce8ed0, v7
	s_wait_alu 0xfffd
	v_dual_cndmask_b32 v12, 0, v13 :: v_dual_and_b32 v3, 0xffff, v3
	v_cmp_nlt_f32_e32 vcc_lo, 0x42b17218, v6
	s_wait_alu 0xfffd
	v_cndmask_b32_e32 v6, 0x7f800000, v10, vcc_lo
	v_cvt_f16_f32_e32 v10, v11
	v_cmp_nlt_f32_e32 vcc_lo, 0x42b17218, v7
	s_delay_alu instid0(VALU_DEP_3) | instskip(NEXT) | instid1(VALU_DEP_3)
	v_fmac_f32_e32 v6, v4, v2
	v_and_b32_e32 v10, 0xffff, v10
	s_wait_alu 0xfffd
	v_cndmask_b32_e32 v7, 0x7f800000, v12, vcc_lo
	v_mul_u32_u24_e32 v12, 0x10001, v3
	v_dual_mov_b32 v2, v8 :: v_dual_mov_b32 v3, v9
	s_delay_alu instid0(VALU_DEP_3) | instskip(SKIP_1) | instid1(VALU_DEP_4)
	v_dual_mov_b32 v4, v6 :: v_dual_fmac_f32 v7, v5, v11
	v_mul_u32_u24_e32 v5, 0x10001, v10
	v_pk_mul_f16 v83, v83, v12
	v_pk_mul_f16 v86, v86, v12
	;; [unrolled: 1-line block ×8, first 2 shown]
	v_mov_b32_e32 v5, v7
	s_mov_b32 s2, exec_lo
	v_cmpx_gt_i32_e64 s22, v1
	s_cbranch_execnz .LBB20_15
.LBB20_13:
	s_nop 0
	s_sendmsg sendmsg(MSG_DEALLOC_VGPRS)
	s_endpgm
.LBB20_14:
	s_delay_alu instid0(VALU_DEP_1)
	v_dual_mov_b32 v7, v5 :: v_dual_mov_b32 v6, v4
	s_mov_b32 s2, exec_lo
	v_cmpx_gt_i32_e64 s22, v1
	s_cbranch_execz .LBB20_13
.LBB20_15:
	s_load_b32 s1, s[0:1], 0xd4
	v_mov_b32_e32 v8, 1.0
	s_wait_kmcnt 0x0
	s_cmp_lg_u32 s1, 1
	s_cselect_b32 s3, -1, 0
	s_cmp_eq_u32 s1, 1
	s_cselect_b32 s2, -1, 0
	s_wait_alu 0xfffe
	s_and_b32 vcc_lo, exec_lo, s3
	s_wait_alu 0xfffe
	s_cbranch_vccnz .LBB20_17
; %bb.16:
	v_div_scale_f32 v8, null, v4, v4, 1.0
	s_delay_alu instid0(VALU_DEP_1) | instskip(NEXT) | instid1(TRANS32_DEP_1)
	v_rcp_f32_e32 v9, v8
	v_fma_f32 v10, -v8, v9, 1.0
	s_delay_alu instid0(VALU_DEP_1) | instskip(SKIP_1) | instid1(VALU_DEP_1)
	v_fmac_f32_e32 v9, v10, v9
	v_div_scale_f32 v10, vcc_lo, 1.0, v4, 1.0
	v_mul_f32_e32 v11, v10, v9
	s_delay_alu instid0(VALU_DEP_1) | instskip(NEXT) | instid1(VALU_DEP_1)
	v_fma_f32 v12, -v8, v11, v10
	v_fmac_f32_e32 v11, v12, v9
	s_delay_alu instid0(VALU_DEP_1) | instskip(SKIP_1) | instid1(VALU_DEP_1)
	v_fma_f32 v8, -v8, v11, v10
	s_wait_alu 0xfffd
	v_div_fmas_f32 v8, v8, v9, v11
	s_delay_alu instid0(VALU_DEP_1)
	v_div_fixup_f32 v8, v8, v4, 1.0
.LBB20_17:
	v_mad_co_u64_u32 v[9:10], null, s28, s22, v[1:2]
	v_cmp_eq_u32_e32 vcc_lo, 0, v0
	v_lshrrev_b32_e32 v4, 16, v86
	v_cvt_f32_f16_e32 v12, v83
	v_lshrrev_b32_e32 v10, 16, v83
	v_lshrrev_b32_e32 v13, 16, v85
	;; [unrolled: 1-line block ×3, first 2 shown]
	v_mul_lo_u32 v1, v9, s23
	v_cvt_f32_f16_e32 v9, v86
	v_mov_b32_e32 v18, 0
	v_cvt_f32_f16_e32 v4, v4
	v_cvt_f32_f16_e32 v10, v10
	v_cvt_f32_f16_e32 v16, v84
	v_mul_f32_e32 v11, v8, v9
	v_mul_f32_e32 v9, v8, v12
	v_add3_u32 v0, s33, v39, v1
	v_cvt_f32_f16_e32 v21, v13
	v_mul_f32_e32 v10, v8, v10
	v_mul_f32_e32 v13, v8, v16
	;; [unrolled: 1-line block ×3, first 2 shown]
	v_mad_co_u64_u32 v[0:1], null, s1, v0, s[10:11]
	v_cvt_f32_f16_e32 v1, v85
	v_mul_f32_e32 v16, v8, v21
	s_delay_alu instid0(VALU_DEP_2) | instskip(NEXT) | instid1(VALU_DEP_4)
	v_mul_f32_e32 v15, v8, v1
	v_lshl_add_u32 v17, v0, 8, v40
	v_cvt_f32_f16_e32 v1, v14
	s_delay_alu instid0(VALU_DEP_2) | instskip(SKIP_1) | instid1(VALU_DEP_3)
	v_lshlrev_b64_e32 v[19:20], 2, v[17:18]
	v_add_nc_u32_e32 v17, 0x80, v17
	v_mul_f32_e32 v14, v8, v1
	s_delay_alu instid0(VALU_DEP_2) | instskip(NEXT) | instid1(VALU_DEP_4)
	v_lshlrev_b64_e32 v[17:18], 2, v[17:18]
	v_add_co_u32 v19, s0, s16, v19
	s_wait_alu 0xf1ff
	v_add_co_ci_u32_e64 v20, null, s17, v20, s0
	s_delay_alu instid0(VALU_DEP_3)
	v_add_co_u32 v17, s0, s16, v17
	s_wait_alu 0xf1ff
	v_add_co_ci_u32_e64 v18, null, s17, v18, s0
	s_and_b32 s0, vcc_lo, s3
	s_clause 0x1
	global_store_b128 v[19:20], v[9:12], off
	global_store_b128 v[17:18], v[13:16], off
	s_wait_alu 0xfffe
	s_and_saveexec_b32 s3, s0
	s_cbranch_execz .LBB20_19
; %bb.18:
	v_ashrrev_i32_e32 v1, 31, v0
	s_delay_alu instid0(VALU_DEP_1) | instskip(SKIP_1) | instid1(VALU_DEP_2)
	v_lshlrev_b64_e32 v[8:9], 3, v[0:1]
	v_dual_mov_b32 v1, v2 :: v_dual_mov_b32 v2, v6
	v_add_co_u32 v8, vcc_lo, s18, v8
	s_wait_alu 0xfffd
	s_delay_alu instid0(VALU_DEP_3)
	v_add_co_ci_u32_e64 v9, null, s19, v9, vcc_lo
	global_store_b64 v[8:9], v[1:2], off
.LBB20_19:
	s_wait_alu 0xfffe
	s_or_b32 exec_lo, exec_lo, s3
	v_mov_b32_e32 v1, 1.0
	s_and_not1_b32 vcc_lo, exec_lo, s2
	s_wait_alu 0xfffe
	s_cbranch_vccnz .LBB20_21
; %bb.20:
	v_div_scale_f32 v1, null, v5, v5, 1.0
	s_delay_alu instid0(VALU_DEP_1) | instskip(NEXT) | instid1(TRANS32_DEP_1)
	v_rcp_f32_e32 v2, v1
	v_fma_f32 v4, -v1, v2, 1.0
	s_delay_alu instid0(VALU_DEP_1) | instskip(SKIP_1) | instid1(VALU_DEP_1)
	v_fmac_f32_e32 v2, v4, v2
	v_div_scale_f32 v4, vcc_lo, 1.0, v5, 1.0
	v_mul_f32_e32 v6, v4, v2
	s_delay_alu instid0(VALU_DEP_1) | instskip(NEXT) | instid1(VALU_DEP_1)
	v_fma_f32 v8, -v1, v6, v4
	v_fmac_f32_e32 v6, v8, v2
	s_delay_alu instid0(VALU_DEP_1) | instskip(SKIP_1) | instid1(VALU_DEP_1)
	v_fma_f32 v1, -v1, v6, v4
	s_wait_alu 0xfffd
	v_div_fmas_f32 v1, v1, v2, v6
	s_delay_alu instid0(VALU_DEP_1)
	v_div_fixup_f32 v1, v1, v5, 1.0
.LBB20_21:
	v_lshrrev_b32_e32 v2, 16, v82
	v_dual_mov_b32 v5, 0 :: v_dual_add_nc_u32 v0, s1, v0
	v_lshrrev_b32_e32 v6, 16, v81
	v_cvt_f32_f16_e32 v8, v82
	s_delay_alu instid0(VALU_DEP_4) | instskip(NEXT) | instid1(VALU_DEP_4)
	v_cvt_f32_f16_e32 v2, v2
	v_lshl_add_u32 v4, v0, 8, v40
	v_cvt_f32_f16_e32 v14, v81
	v_cvt_f32_f16_e32 v6, v6
	;; [unrolled: 1-line block ×3, first 2 shown]
	v_mul_f32_e32 v11, v1, v2
	v_lshlrev_b64_e32 v[12:13], 2, v[4:5]
	s_delay_alu instid0(VALU_DEP_4) | instskip(SKIP_3) | instid1(VALU_DEP_4)
	v_dual_mul_f32 v9, v1, v6 :: v_dual_add_nc_u32 v4, 0x80, v4
	v_lshrrev_b32_e32 v2, 16, v79
	v_lshrrev_b32_e32 v6, 16, v80
	v_mul_f32_e32 v10, v1, v8
	v_lshlrev_b64_e32 v[4:5], 2, v[4:5]
	v_add_co_u32 v16, vcc_lo, s16, v12
	v_cvt_f32_f16_e32 v2, v2
	v_cvt_f32_f16_e32 v12, v79
	;; [unrolled: 1-line block ×3, first 2 shown]
	v_mul_f32_e32 v8, v1, v14
	s_wait_alu 0xfffd
	v_add_co_ci_u32_e64 v17, null, s17, v13, vcc_lo
	v_mul_f32_e32 v15, v1, v2
	v_mul_f32_e32 v14, v1, v12
	;; [unrolled: 1-line block ×4, first 2 shown]
	v_add_co_u32 v1, vcc_lo, s16, v4
	s_wait_alu 0xfffd
	v_add_co_ci_u32_e64 v2, null, s17, v5, vcc_lo
	s_clause 0x1
	global_store_b128 v[16:17], v[8:11], off
	global_store_b128 v[1:2], v[12:15], off
	s_and_b32 exec_lo, exec_lo, s0
	s_cbranch_execz .LBB20_13
; %bb.22:
	v_ashrrev_i32_e32 v1, 31, v0
	v_mov_b32_e32 v6, v3
	s_delay_alu instid0(VALU_DEP_2) | instskip(NEXT) | instid1(VALU_DEP_1)
	v_lshlrev_b64_e32 v[0:1], 3, v[0:1]
	v_add_co_u32 v0, vcc_lo, s18, v0
	s_wait_alu 0xfffd
	s_delay_alu instid0(VALU_DEP_2)
	v_add_co_ci_u32_e64 v1, null, s19, v1, vcc_lo
	global_store_b64 v[0:1], v[6:7], off
	s_nop 0
	s_sendmsg sendmsg(MSG_DEALLOC_VGPRS)
	s_endpgm
	.section	.rodata,"a",@progbits
	.p2align	6, 0x0
	.amdhsa_kernel _ZL15flash_attn_tileILi256ELi256ELi2ELi4ELb0EEvPKcS1_S1_S1_S1_PKiPfP15HIP_vector_typeIfLj2EEffffjfiS5_IjLj3EEiiiiiiiiiiiliiliiiiil
		.amdhsa_group_segment_fixed_size 21504
		.amdhsa_private_segment_fixed_size 0
		.amdhsa_kernarg_size 464
		.amdhsa_user_sgpr_count 2
		.amdhsa_user_sgpr_dispatch_ptr 0
		.amdhsa_user_sgpr_queue_ptr 0
		.amdhsa_user_sgpr_kernarg_segment_ptr 1
		.amdhsa_user_sgpr_dispatch_id 0
		.amdhsa_user_sgpr_private_segment_size 0
		.amdhsa_wavefront_size32 1
		.amdhsa_uses_dynamic_stack 0
		.amdhsa_enable_private_segment 0
		.amdhsa_system_sgpr_workgroup_id_x 1
		.amdhsa_system_sgpr_workgroup_id_y 1
		.amdhsa_system_sgpr_workgroup_id_z 1
		.amdhsa_system_sgpr_workgroup_info 0
		.amdhsa_system_vgpr_workitem_id 1
		.amdhsa_next_free_vgpr 217
		.amdhsa_next_free_sgpr 42
		.amdhsa_reserve_vcc 1
		.amdhsa_float_round_mode_32 0
		.amdhsa_float_round_mode_16_64 0
		.amdhsa_float_denorm_mode_32 3
		.amdhsa_float_denorm_mode_16_64 3
		.amdhsa_fp16_overflow 0
		.amdhsa_workgroup_processor_mode 1
		.amdhsa_memory_ordered 1
		.amdhsa_forward_progress 1
		.amdhsa_inst_pref_size 87
		.amdhsa_round_robin_scheduling 0
		.amdhsa_exception_fp_ieee_invalid_op 0
		.amdhsa_exception_fp_denorm_src 0
		.amdhsa_exception_fp_ieee_div_zero 0
		.amdhsa_exception_fp_ieee_overflow 0
		.amdhsa_exception_fp_ieee_underflow 0
		.amdhsa_exception_fp_ieee_inexact 0
		.amdhsa_exception_int_div_zero 0
	.end_amdhsa_kernel
	.section	.text._ZL15flash_attn_tileILi256ELi256ELi2ELi4ELb0EEvPKcS1_S1_S1_S1_PKiPfP15HIP_vector_typeIfLj2EEffffjfiS5_IjLj3EEiiiiiiiiiiiliiliiiiil,"axG",@progbits,_ZL15flash_attn_tileILi256ELi256ELi2ELi4ELb0EEvPKcS1_S1_S1_S1_PKiPfP15HIP_vector_typeIfLj2EEffffjfiS5_IjLj3EEiiiiiiiiiiiliiliiiiil,comdat
.Lfunc_end20:
	.size	_ZL15flash_attn_tileILi256ELi256ELi2ELi4ELb0EEvPKcS1_S1_S1_S1_PKiPfP15HIP_vector_typeIfLj2EEffffjfiS5_IjLj3EEiiiiiiiiiiiliiliiiiil, .Lfunc_end20-_ZL15flash_attn_tileILi256ELi256ELi2ELi4ELb0EEvPKcS1_S1_S1_S1_PKiPfP15HIP_vector_typeIfLj2EEffffjfiS5_IjLj3EEiiiiiiiiiiiliiliiiiil
                                        ; -- End function
	.set _ZL15flash_attn_tileILi256ELi256ELi2ELi4ELb0EEvPKcS1_S1_S1_S1_PKiPfP15HIP_vector_typeIfLj2EEffffjfiS5_IjLj3EEiiiiiiiiiiiliiliiiiil.num_vgpr, 100
	.set _ZL15flash_attn_tileILi256ELi256ELi2ELi4ELb0EEvPKcS1_S1_S1_S1_PKiPfP15HIP_vector_typeIfLj2EEffffjfiS5_IjLj3EEiiiiiiiiiiiliiliiiiil.num_agpr, 0
	.set _ZL15flash_attn_tileILi256ELi256ELi2ELi4ELb0EEvPKcS1_S1_S1_S1_PKiPfP15HIP_vector_typeIfLj2EEffffjfiS5_IjLj3EEiiiiiiiiiiiliiliiiiil.numbered_sgpr, 42
	.set _ZL15flash_attn_tileILi256ELi256ELi2ELi4ELb0EEvPKcS1_S1_S1_S1_PKiPfP15HIP_vector_typeIfLj2EEffffjfiS5_IjLj3EEiiiiiiiiiiiliiliiiiil.num_named_barrier, 0
	.set _ZL15flash_attn_tileILi256ELi256ELi2ELi4ELb0EEvPKcS1_S1_S1_S1_PKiPfP15HIP_vector_typeIfLj2EEffffjfiS5_IjLj3EEiiiiiiiiiiiliiliiiiil.private_seg_size, 0
	.set _ZL15flash_attn_tileILi256ELi256ELi2ELi4ELb0EEvPKcS1_S1_S1_S1_PKiPfP15HIP_vector_typeIfLj2EEffffjfiS5_IjLj3EEiiiiiiiiiiiliiliiiiil.uses_vcc, 1
	.set _ZL15flash_attn_tileILi256ELi256ELi2ELi4ELb0EEvPKcS1_S1_S1_S1_PKiPfP15HIP_vector_typeIfLj2EEffffjfiS5_IjLj3EEiiiiiiiiiiiliiliiiiil.uses_flat_scratch, 0
	.set _ZL15flash_attn_tileILi256ELi256ELi2ELi4ELb0EEvPKcS1_S1_S1_S1_PKiPfP15HIP_vector_typeIfLj2EEffffjfiS5_IjLj3EEiiiiiiiiiiiliiliiiiil.has_dyn_sized_stack, 0
	.set _ZL15flash_attn_tileILi256ELi256ELi2ELi4ELb0EEvPKcS1_S1_S1_S1_PKiPfP15HIP_vector_typeIfLj2EEffffjfiS5_IjLj3EEiiiiiiiiiiiliiliiiiil.has_recursion, 0
	.set _ZL15flash_attn_tileILi256ELi256ELi2ELi4ELb0EEvPKcS1_S1_S1_S1_PKiPfP15HIP_vector_typeIfLj2EEffffjfiS5_IjLj3EEiiiiiiiiiiiliiliiiiil.has_indirect_call, 0
	.section	.AMDGPU.csdata,"",@progbits
; Kernel info:
; codeLenInByte = 11032
; TotalNumSgprs: 44
; NumVgprs: 100
; ScratchSize: 0
; MemoryBound: 0
; FloatMode: 240
; IeeeMode: 1
; LDSByteSize: 21504 bytes/workgroup (compile time only)
; SGPRBlocks: 0
; VGPRBlocks: 27
; NumSGPRsForWavesPerEU: 44
; NumVGPRsForWavesPerEU: 217
; Occupancy: 6
; WaveLimiterHint : 1
; COMPUTE_PGM_RSRC2:SCRATCH_EN: 0
; COMPUTE_PGM_RSRC2:USER_SGPR: 2
; COMPUTE_PGM_RSRC2:TRAP_HANDLER: 0
; COMPUTE_PGM_RSRC2:TGID_X_EN: 1
; COMPUTE_PGM_RSRC2:TGID_Y_EN: 1
; COMPUTE_PGM_RSRC2:TGID_Z_EN: 1
; COMPUTE_PGM_RSRC2:TIDIG_COMP_CNT: 1
	.section	.text._ZL33flash_attn_stream_k_fixup_uniformILi256ELi2ELi4EEvPfPK15HIP_vector_typeIfLj2EEiiiiiiS1_IjLj3EES5_S5_,"axG",@progbits,_ZL33flash_attn_stream_k_fixup_uniformILi256ELi2ELi4EEvPfPK15HIP_vector_typeIfLj2EEiiiiiiS1_IjLj3EES5_S5_,comdat
	.globl	_ZL33flash_attn_stream_k_fixup_uniformILi256ELi2ELi4EEvPfPK15HIP_vector_typeIfLj2EEiiiiiiS1_IjLj3EES5_S5_ ; -- Begin function _ZL33flash_attn_stream_k_fixup_uniformILi256ELi2ELi4EEvPfPK15HIP_vector_typeIfLj2EEiiiiiiS1_IjLj3EES5_S5_
	.p2align	8
	.type	_ZL33flash_attn_stream_k_fixup_uniformILi256ELi2ELi4EEvPfPK15HIP_vector_typeIfLj2EEiiiiiiS1_IjLj3EES5_S5_,@function
_ZL33flash_attn_stream_k_fixup_uniformILi256ELi2ELi4EEvPfPK15HIP_vector_typeIfLj2EEiiiiiiS1_IjLj3EES5_S5_: ; @_ZL33flash_attn_stream_k_fixup_uniformILi256ELi2ELi4EEvPfPK15HIP_vector_typeIfLj2EEiiiiiiS1_IjLj3EES5_S5_
; %bb.0:
	s_clause 0x1
	s_load_b256 s[4:11], s[0:1], 0x1c
	s_load_b128 s[12:15], s[0:1], 0x3c
	s_wait_kmcnt 0x0
	s_mul_hi_u32 s2, s7, ttmp9
	s_delay_alu instid0(SALU_CYCLE_1) | instskip(NEXT) | instid1(SALU_CYCLE_1)
	s_add_co_i32 s2, ttmp9, s2
	s_lshr_b32 s2, s2, s8
	s_delay_alu instid0(SALU_CYCLE_1) | instskip(SKIP_2) | instid1(SALU_CYCLE_1)
	s_mul_i32 s3, s2, s9
	s_load_b64 s[8:9], s[0:1], 0x10
	s_sub_co_i32 s7, ttmp9, s3
	s_mul_hi_u32 s3, s7, s10
	s_delay_alu instid0(SALU_CYCLE_1) | instskip(NEXT) | instid1(SALU_CYCLE_1)
	s_add_co_i32 s3, s7, s3
	s_lshr_b32 s3, s3, s11
	s_delay_alu instid0(SALU_CYCLE_1) | instskip(NEXT) | instid1(SALU_CYCLE_1)
	s_mul_i32 s10, s3, s12
	s_sub_co_i32 s7, s7, s10
	s_delay_alu instid0(SALU_CYCLE_1) | instskip(NEXT) | instid1(SALU_CYCLE_1)
	s_mul_hi_u32 s10, s7, s13
	s_add_co_i32 s10, s7, s10
	s_delay_alu instid0(SALU_CYCLE_1) | instskip(NEXT) | instid1(SALU_CYCLE_1)
	s_lshr_b32 s12, s10, s14
	s_mul_i32 s10, s12, s15
	s_lshl_b32 s12, s12, 2
	s_sub_co_i32 s11, s7, s10
	s_and_b32 s7, ttmp7, 0xffff
	s_lshl_b32 s13, s11, 1
	s_lshr_b32 s10, ttmp7, 16
	s_add_co_i32 s13, s13, s7
	s_wait_kmcnt 0x0
	s_cmp_lt_i32 s13, s8
	s_cselect_b32 s13, -1, 0
	s_add_co_i32 s14, s12, s10
	s_delay_alu instid0(SALU_CYCLE_1) | instskip(SKIP_1) | instid1(SALU_CYCLE_1)
	s_cmp_lt_i32 s14, s5
	s_cselect_b32 s14, -1, 0
	s_and_b32 s13, s13, s14
	s_delay_alu instid0(SALU_CYCLE_1)
	s_and_not1_b32 vcc_lo, exec_lo, s13
	s_cbranch_vccnz .LBB21_6
; %bb.1:
	s_mul_i32 s2, s2, s8
	s_mul_i32 s5, s3, s5
	s_add_co_i32 s2, s2, s7
	s_delay_alu instid0(SALU_CYCLE_1) | instskip(NEXT) | instid1(SALU_CYCLE_1)
	s_mul_i32 s2, s2, s9
	s_add_co_i32 s8, s2, s10
	s_load_b128 s[0:3], s[0:1], 0x0
	s_add_co_i32 s5, s8, s5
	s_mul_i32 s8, s9, s11
	s_add_co_i32 s5, s5, s12
	s_lshl_b32 s8, s8, 9
	s_lshl_b32 s5, s5, 8
	s_delay_alu instid0(SALU_CYCLE_1)
	s_add_co_i32 s8, s8, s5
	s_lshl_b32 s5, s7, 2
	v_or_b32_e32 v1, s8, v0
	s_mul_i32 s8, s6, ttmp9
	s_wait_alu 0xfffe
	s_add_co_i32 s9, s8, s6
	s_wait_alu 0xfffe
	s_add_co_i32 s12, s9, -2
	v_ashrrev_i32_e32 v2, 31, v1
	s_delay_alu instid0(VALU_DEP_1) | instskip(SKIP_1) | instid1(VALU_DEP_1)
	v_lshlrev_b64_e32 v[1:2], 2, v[1:2]
	s_wait_kmcnt 0x0
	v_add_co_u32 v1, vcc_lo, s0, v1
	s_delay_alu instid0(VALU_DEP_1)
	v_add_co_ci_u32_e64 v2, null, s1, v2, vcc_lo
	s_add_co_i32 s0, s5, s10
	s_lshl_b32 s1, s9, 3
	global_load_b32 v5, v[1:2], off
	s_wait_alu 0xfffe
	s_add_co_i32 s0, s0, s1
	s_wait_alu 0xfffe
	s_add_co_i32 s0, s0, -8
	s_wait_alu 0xfffe
	s_ashr_i32 s1, s0, 31
	s_wait_alu 0xfffe
	s_lshl_b64 s[0:1], s[0:1], 3
	s_cmp_lt_i32 s12, s8
	s_wait_alu 0xfffe
	s_add_nc_u64 s[0:1], s[2:3], s[0:1]
	s_load_b32 s11, s[0:1], 0x4
	s_cbranch_scc1 .LBB21_4
; %bb.2:
	s_load_b32 s0, s[0:1], 0x0
	s_add_co_i32 s13, ttmp9, 1
	s_lshl_b32 s12, s4, 5
	s_mul_i32 s1, s6, s13
	s_lshl_b32 s6, s7, 10
	s_lshl_b32 s7, s10, 8
	s_wait_alu 0xfffe
	s_lshl_b32 s14, s1, 11
	s_add_co_i32 s6, s7, s6
	s_lshl_b32 s1, s1, 3
	s_add_co_i32 s14, s6, s14
	s_wait_alu 0xfffe
	s_add_co_i32 s1, s10, s1
	v_or_b32_e32 v0, s14, v0
	s_lshl_b32 s4, s4, 3
	s_ashr_i32 s13, s12, 31
	s_wait_alu 0xfffe
	s_add_co_i32 s1, s1, s4
	s_wait_kmcnt 0x0
	v_dual_mov_b32 v6, s11 :: v_dual_add_nc_u32 v3, 0xfffff000, v0
	s_lshl_b64 s[6:7], s[12:13], 2
	s_wait_alu 0xfffe
	s_add_co_i32 s4, s1, s5
	s_add_nc_u64 s[6:7], s[2:3], s[6:7]
	s_add_co_i32 s1, s9, -1
	s_add_co_i32 s4, s4, -16
.LBB21_3:                               ; =>This Inner Loop Header: Depth=1
	v_ashrrev_i32_e32 v4, 31, v3
	s_ashr_i32 s5, s4, 31
	v_mov_b32_e32 v10, v6
	s_lshl_b64 s[10:11], s[4:5], 3
	s_wait_loadcnt 0x0
	v_mov_b32_e32 v9, v5
	v_lshlrev_b64_e32 v[7:8], 2, v[3:4]
	s_wait_alu 0xfffe
	s_add_nc_u64 s[10:11], s[2:3], s[10:11]
	v_max_num_f32_e64 v4, s0, s0
	s_load_b64 s[10:11], s[10:11], 0x0
	v_add_nc_u32_e32 v3, 0xfffff800, v3
	v_add_co_u32 v7, vcc_lo, s6, v7
	s_wait_alu 0xfffd
	v_add_co_ci_u32_e64 v8, null, s7, v8, vcc_lo
	v_readfirstlane_b32 s5, v4
	global_load_b32 v0, v[7:8], off
	s_wait_kmcnt 0x0
	v_max_num_f32_e64 v4, s10, s10
	s_delay_alu instid0(VALU_DEP_1) | instskip(SKIP_1) | instid1(SALU_CYCLE_3)
	v_readfirstlane_b32 s9, v4
	s_max_num_f32 s5, s5, s9
	s_sub_f32 s0, s0, s5
	s_sub_f32 s9, s10, s5
	s_wait_alu 0xfffe
	s_delay_alu instid0(SALU_CYCLE_1) | instskip(NEXT) | instid1(SALU_CYCLE_1)
	s_mul_f32 s10, s0, 0x3fb8aa3b
	s_mul_f32 s12, s9, 0x3fb8aa3b
	s_wait_alu 0xfffe
	s_delay_alu instid0(SALU_CYCLE_1)
	s_xor_b32 s13, s10, 0x80000000
	s_rndne_f32 s14, s10
	s_fmamk_f32 s13, s0, 0x3fb8aa3b, s13
	s_cmp_nlt_f32 s0, 0xc2ce8ed0
	s_rndne_f32 s15, s12
	s_wait_alu 0xfffe
	s_sub_f32 s10, s10, s14
	s_fmamk_f32 s13, s0, 0x32a5705f, s13
	s_cvt_i32_f32 s14, s14
	s_cselect_b32 vcc_lo, -1, 0
	s_cmp_ngt_f32 s0, 0x42b17218
	s_wait_alu 0xfffe
	s_add_f32 s10, s10, s13
	s_sub_f32 s13, s12, s15
	s_wait_alu 0xfffe
	s_delay_alu instid0(SALU_CYCLE_1) | instskip(SKIP_1) | instid1(TRANS32_DEP_1)
	v_s_exp_f32 s10, s10
	s_wait_alu 0xf1ff
	v_ldexp_f32 v4, s10, s14
	s_cvt_i32_f32 s10, s15
	s_delay_alu instid0(VALU_DEP_1) | instskip(SKIP_3) | instid1(VALU_DEP_1)
	v_cndmask_b32_e32 v4, 0, v4, vcc_lo
	s_cselect_b32 vcc_lo, -1, 0
	s_cmp_ge_f32 s0, 0xc1a00000
	s_wait_alu 0xfffe
	v_cndmask_b32_e32 v4, 0x7f800000, v4, vcc_lo
	s_cselect_b32 vcc_lo, -1, 0
	s_xor_b32 s0, s12, 0x80000000
	s_cmp_nlt_f32 s9, 0xc2ce8ed0
	s_wait_alu 0xfffe
	s_fmamk_f32 s0, s9, 0x3fb8aa3b, s0
	s_wait_alu 0xfffe
	s_delay_alu instid0(SALU_CYCLE_2) | instskip(SKIP_1) | instid1(SALU_CYCLE_2)
	s_fmamk_f32 s0, s9, 0x32a5705f, s0
	s_wait_alu 0xfffe
	s_add_f32 s0, s13, s0
	s_wait_alu 0xfffe
	s_delay_alu instid0(SALU_CYCLE_2) | instskip(SKIP_1) | instid1(TRANS32_DEP_1)
	v_s_exp_f32 s0, s0
	s_wait_alu 0xf1ff
	v_ldexp_f32 v7, s0, s10
	s_cselect_b32 s0, -1, 0
	s_cmp_ngt_f32 s9, 0x42b17218
	s_wait_alu 0xfffe
	s_delay_alu instid0(VALU_DEP_1) | instskip(SKIP_3) | instid1(VALU_DEP_1)
	v_cndmask_b32_e64 v7, 0, v7, s0
	s_cselect_b32 s0, -1, 0
	s_cmp_ge_f32 s9, 0xc1a00000
	s_wait_alu 0xfffe
	v_cndmask_b32_e64 v7, 0x7f800000, v7, s0
	s_cselect_b32 s0, -1, 0
	s_add_co_i32 s1, s1, -1
	s_add_co_i32 s4, s4, -8
	s_wait_alu 0xfffe
	s_cmp_le_i32 s1, s8
	v_cndmask_b32_e64 v7, 0, v7, s0
	s_mov_b32 s0, s5
	s_wait_loadcnt 0x0
	s_delay_alu instid0(VALU_DEP_1) | instskip(NEXT) | instid1(VALU_DEP_1)
	v_dual_mul_f32 v5, v0, v7 :: v_dual_cndmask_b32 v4, 0, v4
	v_dual_mul_f32 v8, s11, v7 :: v_dual_fmac_f32 v5, v9, v4
	s_delay_alu instid0(VALU_DEP_1) | instskip(NEXT) | instid1(VALU_DEP_1)
	v_mov_b32_e32 v6, v8
	v_fmac_f32_e32 v6, v10, v4
	s_cbranch_scc0 .LBB21_3
	s_branch .LBB21_5
.LBB21_4:
	s_wait_kmcnt 0x0
	v_mov_b32_e32 v6, s11
.LBB21_5:
	s_wait_loadcnt 0x0
	s_delay_alu instid0(VALU_DEP_1) | instskip(NEXT) | instid1(VALU_DEP_1)
	v_div_scale_f32 v0, null, v6, v6, v5
	v_rcp_f32_e32 v3, v0
	s_delay_alu instid0(TRANS32_DEP_1) | instskip(NEXT) | instid1(VALU_DEP_1)
	v_fma_f32 v4, -v0, v3, 1.0
	v_fmac_f32_e32 v3, v4, v3
	v_div_scale_f32 v4, vcc_lo, v5, v6, v5
	s_delay_alu instid0(VALU_DEP_1) | instskip(NEXT) | instid1(VALU_DEP_1)
	v_mul_f32_e32 v7, v4, v3
	v_fma_f32 v8, -v0, v7, v4
	s_delay_alu instid0(VALU_DEP_1) | instskip(NEXT) | instid1(VALU_DEP_1)
	v_fmac_f32_e32 v7, v8, v3
	v_fma_f32 v0, -v0, v7, v4
	s_wait_alu 0xfffd
	s_delay_alu instid0(VALU_DEP_1) | instskip(NEXT) | instid1(VALU_DEP_1)
	v_div_fmas_f32 v0, v0, v3, v7
	v_div_fixup_f32 v0, v0, v6, v5
	global_store_b32 v[1:2], v0, off
.LBB21_6:
	s_endpgm
	.section	.rodata,"a",@progbits
	.p2align	6, 0x0
	.amdhsa_kernel _ZL33flash_attn_stream_k_fixup_uniformILi256ELi2ELi4EEvPfPK15HIP_vector_typeIfLj2EEiiiiiiS1_IjLj3EES5_S5_
		.amdhsa_group_segment_fixed_size 0
		.amdhsa_private_segment_fixed_size 0
		.amdhsa_kernarg_size 76
		.amdhsa_user_sgpr_count 2
		.amdhsa_user_sgpr_dispatch_ptr 0
		.amdhsa_user_sgpr_queue_ptr 0
		.amdhsa_user_sgpr_kernarg_segment_ptr 1
		.amdhsa_user_sgpr_dispatch_id 0
		.amdhsa_user_sgpr_private_segment_size 0
		.amdhsa_wavefront_size32 1
		.amdhsa_uses_dynamic_stack 0
		.amdhsa_enable_private_segment 0
		.amdhsa_system_sgpr_workgroup_id_x 1
		.amdhsa_system_sgpr_workgroup_id_y 1
		.amdhsa_system_sgpr_workgroup_id_z 1
		.amdhsa_system_sgpr_workgroup_info 0
		.amdhsa_system_vgpr_workitem_id 0
		.amdhsa_next_free_vgpr 11
		.amdhsa_next_free_sgpr 16
		.amdhsa_reserve_vcc 1
		.amdhsa_float_round_mode_32 0
		.amdhsa_float_round_mode_16_64 0
		.amdhsa_float_denorm_mode_32 3
		.amdhsa_float_denorm_mode_16_64 3
		.amdhsa_fp16_overflow 0
		.amdhsa_workgroup_processor_mode 1
		.amdhsa_memory_ordered 1
		.amdhsa_forward_progress 1
		.amdhsa_inst_pref_size 9
		.amdhsa_round_robin_scheduling 0
		.amdhsa_exception_fp_ieee_invalid_op 0
		.amdhsa_exception_fp_denorm_src 0
		.amdhsa_exception_fp_ieee_div_zero 0
		.amdhsa_exception_fp_ieee_overflow 0
		.amdhsa_exception_fp_ieee_underflow 0
		.amdhsa_exception_fp_ieee_inexact 0
		.amdhsa_exception_int_div_zero 0
	.end_amdhsa_kernel
	.section	.text._ZL33flash_attn_stream_k_fixup_uniformILi256ELi2ELi4EEvPfPK15HIP_vector_typeIfLj2EEiiiiiiS1_IjLj3EES5_S5_,"axG",@progbits,_ZL33flash_attn_stream_k_fixup_uniformILi256ELi2ELi4EEvPfPK15HIP_vector_typeIfLj2EEiiiiiiS1_IjLj3EES5_S5_,comdat
.Lfunc_end21:
	.size	_ZL33flash_attn_stream_k_fixup_uniformILi256ELi2ELi4EEvPfPK15HIP_vector_typeIfLj2EEiiiiiiS1_IjLj3EES5_S5_, .Lfunc_end21-_ZL33flash_attn_stream_k_fixup_uniformILi256ELi2ELi4EEvPfPK15HIP_vector_typeIfLj2EEiiiiiiS1_IjLj3EES5_S5_
                                        ; -- End function
	.set _ZL33flash_attn_stream_k_fixup_uniformILi256ELi2ELi4EEvPfPK15HIP_vector_typeIfLj2EEiiiiiiS1_IjLj3EES5_S5_.num_vgpr, 11
	.set _ZL33flash_attn_stream_k_fixup_uniformILi256ELi2ELi4EEvPfPK15HIP_vector_typeIfLj2EEiiiiiiS1_IjLj3EES5_S5_.num_agpr, 0
	.set _ZL33flash_attn_stream_k_fixup_uniformILi256ELi2ELi4EEvPfPK15HIP_vector_typeIfLj2EEiiiiiiS1_IjLj3EES5_S5_.numbered_sgpr, 16
	.set _ZL33flash_attn_stream_k_fixup_uniformILi256ELi2ELi4EEvPfPK15HIP_vector_typeIfLj2EEiiiiiiS1_IjLj3EES5_S5_.num_named_barrier, 0
	.set _ZL33flash_attn_stream_k_fixup_uniformILi256ELi2ELi4EEvPfPK15HIP_vector_typeIfLj2EEiiiiiiS1_IjLj3EES5_S5_.private_seg_size, 0
	.set _ZL33flash_attn_stream_k_fixup_uniformILi256ELi2ELi4EEvPfPK15HIP_vector_typeIfLj2EEiiiiiiS1_IjLj3EES5_S5_.uses_vcc, 1
	.set _ZL33flash_attn_stream_k_fixup_uniformILi256ELi2ELi4EEvPfPK15HIP_vector_typeIfLj2EEiiiiiiS1_IjLj3EES5_S5_.uses_flat_scratch, 0
	.set _ZL33flash_attn_stream_k_fixup_uniformILi256ELi2ELi4EEvPfPK15HIP_vector_typeIfLj2EEiiiiiiS1_IjLj3EES5_S5_.has_dyn_sized_stack, 0
	.set _ZL33flash_attn_stream_k_fixup_uniformILi256ELi2ELi4EEvPfPK15HIP_vector_typeIfLj2EEiiiiiiS1_IjLj3EES5_S5_.has_recursion, 0
	.set _ZL33flash_attn_stream_k_fixup_uniformILi256ELi2ELi4EEvPfPK15HIP_vector_typeIfLj2EEiiiiiiS1_IjLj3EES5_S5_.has_indirect_call, 0
	.section	.AMDGPU.csdata,"",@progbits
; Kernel info:
; codeLenInByte = 1140
; TotalNumSgprs: 18
; NumVgprs: 11
; ScratchSize: 0
; MemoryBound: 0
; FloatMode: 240
; IeeeMode: 1
; LDSByteSize: 0 bytes/workgroup (compile time only)
; SGPRBlocks: 0
; VGPRBlocks: 1
; NumSGPRsForWavesPerEU: 18
; NumVGPRsForWavesPerEU: 11
; Occupancy: 16
; WaveLimiterHint : 0
; COMPUTE_PGM_RSRC2:SCRATCH_EN: 0
; COMPUTE_PGM_RSRC2:USER_SGPR: 2
; COMPUTE_PGM_RSRC2:TRAP_HANDLER: 0
; COMPUTE_PGM_RSRC2:TGID_X_EN: 1
; COMPUTE_PGM_RSRC2:TGID_Y_EN: 1
; COMPUTE_PGM_RSRC2:TGID_Z_EN: 1
; COMPUTE_PGM_RSRC2:TIDIG_COMP_CNT: 0
	.section	.text._ZL33flash_attn_stream_k_fixup_generalILi256ELi2ELi4EEvPfPK15HIP_vector_typeIfLj2EEiiiiS1_IjLj3EES5_S5_S5_,"axG",@progbits,_ZL33flash_attn_stream_k_fixup_generalILi256ELi2ELi4EEvPfPK15HIP_vector_typeIfLj2EEiiiiS1_IjLj3EES5_S5_S5_,comdat
	.globl	_ZL33flash_attn_stream_k_fixup_generalILi256ELi2ELi4EEvPfPK15HIP_vector_typeIfLj2EEiiiiS1_IjLj3EES5_S5_S5_ ; -- Begin function _ZL33flash_attn_stream_k_fixup_generalILi256ELi2ELi4EEvPfPK15HIP_vector_typeIfLj2EEiiiiS1_IjLj3EES5_S5_S5_
	.p2align	8
	.type	_ZL33flash_attn_stream_k_fixup_generalILi256ELi2ELi4EEvPfPK15HIP_vector_typeIfLj2EEiiiiS1_IjLj3EES5_S5_S5_,@function
_ZL33flash_attn_stream_k_fixup_generalILi256ELi2ELi4EEvPfPK15HIP_vector_typeIfLj2EEiiiiS1_IjLj3EES5_S5_S5_: ; @_ZL33flash_attn_stream_k_fixup_generalILi256ELi2ELi4EEvPfPK15HIP_vector_typeIfLj2EEiiiiS1_IjLj3EES5_S5_S5_
; %bb.0:
	s_clause 0x1
	s_load_b128 s[4:7], s[0:1], 0x10
	s_load_b32 s16, s[0:1], 0x50
	s_mov_b32 s2, ttmp9
	s_ashr_i32 s3, ttmp9, 31
	s_mov_b32 s17, 0
	s_delay_alu instid0(SALU_CYCLE_1) | instskip(SKIP_3) | instid1(SALU_CYCLE_1)
	s_mov_b32 s8, s17
	s_wait_kmcnt 0x0
	s_ashr_i32 s19, s7, 31
	s_mov_b32 s18, s7
	s_mul_u64 s[2:3], s[18:19], s[2:3]
	s_delay_alu instid0(SALU_CYCLE_1) | instskip(NEXT) | instid1(SALU_CYCLE_1)
	s_mov_b32 s9, s3
	s_cmp_lg_u64 s[8:9], 0
	s_cbranch_scc0 .LBB22_21
; %bb.1:
	s_add_nc_u64 s[8:9], s[16:17], 0
	s_mov_b32 s15, s17
	s_xor_b64 s[8:9], s[8:9], 0
	s_mov_b32 s23, s17
	s_cvt_f32_u32 s7, s8
	s_cvt_f32_u32 s10, s9
	s_sub_nc_u64 s[12:13], 0, s[8:9]
	s_delay_alu instid0(SALU_CYCLE_2) | instskip(NEXT) | instid1(SALU_CYCLE_3)
	s_fmamk_f32 s7, s10, 0x4f800000, s7
	v_s_rcp_f32 s7, s7
	s_delay_alu instid0(TRANS32_DEP_1) | instskip(SKIP_1) | instid1(SALU_CYCLE_2)
	s_mul_f32 s7, s7, 0x5f7ffffc
	s_wait_alu 0xfffe
	s_mul_f32 s10, s7, 0x2f800000
	s_delay_alu instid0(SALU_CYCLE_3) | instskip(NEXT) | instid1(SALU_CYCLE_3)
	s_trunc_f32 s10, s10
	s_fmamk_f32 s7, s10, 0xcf800000, s7
	s_cvt_u32_f32 s11, s10
	s_wait_alu 0xfffe
	s_delay_alu instid0(SALU_CYCLE_1) | instskip(NEXT) | instid1(SALU_CYCLE_3)
	s_cvt_u32_f32 s10, s7
	s_mul_u64 s[20:21], s[12:13], s[10:11]
	s_delay_alu instid0(SALU_CYCLE_1)
	s_mul_hi_u32 s25, s10, s21
	s_mul_i32 s24, s10, s21
	s_mul_hi_u32 s14, s10, s20
	s_mul_i32 s22, s11, s20
	s_add_nc_u64 s[14:15], s[14:15], s[24:25]
	s_mul_hi_u32 s7, s11, s20
	s_mul_hi_u32 s26, s11, s21
	s_add_co_u32 s14, s14, s22
	s_wait_alu 0xfffe
	s_add_co_ci_u32 s22, s15, s7
	s_mul_i32 s20, s11, s21
	s_add_co_ci_u32 s21, s26, 0
	s_delay_alu instid0(SALU_CYCLE_1)
	s_add_nc_u64 s[14:15], s[22:23], s[20:21]
	s_mov_b32 s21, s17
	s_add_co_u32 s10, s10, s14
	s_cselect_b32 s7, -1, 0
	s_wait_alu 0xfffe
	s_cmp_lg_u32 s7, 0
	s_add_co_ci_u32 s11, s11, s15
	s_mov_b32 s15, s17
	s_mul_u64 s[12:13], s[12:13], s[10:11]
	s_delay_alu instid0(SALU_CYCLE_1)
	s_mul_hi_u32 s23, s10, s13
	s_mul_i32 s22, s10, s13
	s_mul_hi_u32 s14, s10, s12
	s_mul_i32 s20, s11, s12
	s_add_nc_u64 s[14:15], s[14:15], s[22:23]
	s_mul_hi_u32 s7, s11, s12
	s_mul_hi_u32 s24, s11, s13
	s_mul_i32 s12, s11, s13
	s_add_co_u32 s13, s14, s20
	s_wait_alu 0xfffe
	s_add_co_ci_u32 s20, s15, s7
	s_add_co_ci_u32 s13, s24, 0
	s_mov_b32 s15, s17
	s_add_nc_u64 s[12:13], s[20:21], s[12:13]
	s_delay_alu instid0(SALU_CYCLE_1) | instskip(SKIP_1) | instid1(SALU_CYCLE_1)
	s_add_co_u32 s7, s10, s12
	s_cselect_b32 s10, -1, 0
	s_cmp_lg_u32 s10, 0
	s_add_co_ci_u32 s20, s11, s13
	s_ashr_i32 s10, s3, 31
	s_delay_alu instid0(SALU_CYCLE_1) | instskip(NEXT) | instid1(SALU_CYCLE_1)
	s_mov_b32 s11, s10
	s_add_nc_u64 s[12:13], s[2:3], s[10:11]
	s_delay_alu instid0(SALU_CYCLE_1) | instskip(NEXT) | instid1(SALU_CYCLE_1)
	s_xor_b64 s[12:13], s[12:13], s[10:11]
	s_mul_hi_u32 s23, s12, s20
	s_mul_i32 s22, s12, s20
	s_wait_alu 0xfffe
	s_mul_hi_u32 s14, s12, s7
	s_mul_hi_u32 s24, s13, s7
	s_mul_i32 s7, s13, s7
	s_add_nc_u64 s[14:15], s[14:15], s[22:23]
	s_mul_hi_u32 s3, s13, s20
	s_wait_alu 0xfffe
	s_add_co_u32 s7, s14, s7
	s_mul_i32 s22, s13, s20
	s_add_co_ci_u32 s20, s15, s24
	s_add_co_ci_u32 s23, s3, 0
	s_delay_alu instid0(SALU_CYCLE_1) | instskip(NEXT) | instid1(SALU_CYCLE_1)
	s_add_nc_u64 s[14:15], s[20:21], s[22:23]
	s_mul_u64 s[20:21], s[8:9], s[14:15]
	s_delay_alu instid0(SALU_CYCLE_1)
	s_sub_co_u32 s3, s12, s20
	s_cselect_b32 s7, -1, 0
	s_sub_co_i32 s12, s13, s21
	s_wait_alu 0xfffe
	s_cmp_lg_u32 s7, 0
	s_sub_co_ci_u32 s12, s12, s9
	s_sub_co_u32 s20, s3, s8
	s_cselect_b32 s22, -1, 0
	s_delay_alu instid0(SALU_CYCLE_1) | instskip(SKIP_2) | instid1(SALU_CYCLE_1)
	s_cmp_lg_u32 s22, 0
	s_add_nc_u64 s[22:23], s[14:15], 1
	s_sub_co_ci_u32 s12, s12, 0
	s_cmp_ge_u32 s12, s9
	s_cselect_b32 s24, -1, 0
	s_cmp_ge_u32 s20, s8
	s_cselect_b32 s20, -1, 0
	s_cmp_eq_u32 s12, s9
	s_cselect_b32 s12, s20, s24
	s_add_nc_u64 s[24:25], s[14:15], 2
	s_cmp_lg_u32 s12, 0
	s_cselect_b32 s12, s24, s22
	s_cselect_b32 s20, s25, s23
	s_cmp_lg_u32 s7, 0
	s_sub_co_ci_u32 s7, s13, s21
	s_wait_alu 0xfffe
	s_cmp_ge_u32 s7, s9
	s_cselect_b32 s13, -1, 0
	s_cmp_ge_u32 s3, s8
	s_cselect_b32 s3, -1, 0
	s_cmp_eq_u32 s7, s9
	s_cselect_b32 s3, s3, s13
	s_delay_alu instid0(SALU_CYCLE_1) | instskip(SKIP_4) | instid1(SALU_CYCLE_1)
	s_cmp_lg_u32 s3, 0
	s_mov_b32 s3, s17
	s_cselect_b32 s9, s20, s15
	s_cselect_b32 s8, s12, s14
	s_xor_b64 s[10:11], s[10:11], 0
	s_xor_b64 s[8:9], s[8:9], s[10:11]
	s_delay_alu instid0(SALU_CYCLE_1)
	s_sub_nc_u64 s[20:21], s[8:9], s[10:11]
	s_and_not1_b32 vcc_lo, exec_lo, s3
	s_cbranch_vccnz .LBB22_3
.LBB22_2:
	v_cvt_f32_u32_e32 v1, s16
	s_sub_co_i32 s7, 0, s16
	s_delay_alu instid0(VALU_DEP_1) | instskip(NEXT) | instid1(TRANS32_DEP_1)
	v_rcp_iflag_f32_e32 v1, v1
	v_mul_f32_e32 v1, 0x4f7ffffe, v1
	s_delay_alu instid0(VALU_DEP_1) | instskip(NEXT) | instid1(VALU_DEP_1)
	v_cvt_u32_f32_e32 v1, v1
	v_readfirstlane_b32 s3, v1
	s_wait_alu 0xfffe
	s_mul_i32 s7, s7, s3
	s_wait_alu 0xfffe
	s_mul_hi_u32 s7, s3, s7
	s_wait_alu 0xfffe
	s_add_co_i32 s3, s3, s7
	s_delay_alu instid0(SALU_CYCLE_1) | instskip(NEXT) | instid1(SALU_CYCLE_1)
	s_mul_hi_u32 s3, s2, s3
	s_mul_i32 s7, s3, s16
	s_wait_alu 0xfffe
	s_sub_co_i32 s2, s2, s7
	s_add_co_i32 s7, s3, 1
	s_sub_co_i32 s8, s2, s16
	s_cmp_ge_u32 s2, s16
	s_wait_alu 0xfffe
	s_cselect_b32 s3, s7, s3
	s_cselect_b32 s2, s8, s2
	s_add_co_i32 s7, s3, 1
	s_cmp_ge_u32 s2, s16
	s_wait_alu 0xfffe
	s_cselect_b32 s20, s7, s3
.LBB22_3:
	s_add_co_i32 s2, ttmp9, 1
	s_mov_b32 s8, 0
	s_ashr_i32 s3, s2, 31
	s_delay_alu instid0(SALU_CYCLE_1) | instskip(NEXT) | instid1(SALU_CYCLE_1)
	s_mul_u64 s[2:3], s[18:19], s[2:3]
	s_mov_b32 s9, s3
	s_delay_alu instid0(SALU_CYCLE_1)
	s_cmp_lg_u64 s[8:9], 0
	s_cbranch_scc0 .LBB22_22
; %bb.4:
	s_add_nc_u64 s[10:11], s[16:17], 0
	s_mov_b32 s23, s8
	s_xor_b64 s[10:11], s[10:11], 0
	s_mov_b32 s27, s8
	s_cvt_f32_u32 s7, s10
	s_cvt_f32_u32 s9, s11
	s_sub_nc_u64 s[14:15], 0, s[10:11]
	s_wait_alu 0xfffe
	s_delay_alu instid0(SALU_CYCLE_1) | instskip(SKIP_1) | instid1(SALU_CYCLE_2)
	s_fmamk_f32 s7, s9, 0x4f800000, s7
	s_wait_alu 0xfffe
	v_s_rcp_f32 s7, s7
	s_delay_alu instid0(TRANS32_DEP_1) | instskip(SKIP_1) | instid1(SALU_CYCLE_2)
	s_mul_f32 s7, s7, 0x5f7ffffc
	s_wait_alu 0xfffe
	s_mul_f32 s9, s7, 0x2f800000
	s_delay_alu instid0(SALU_CYCLE_3) | instskip(NEXT) | instid1(SALU_CYCLE_3)
	s_trunc_f32 s9, s9
	s_fmamk_f32 s7, s9, 0xcf800000, s7
	s_cvt_u32_f32 s13, s9
	s_wait_alu 0xfffe
	s_delay_alu instid0(SALU_CYCLE_1) | instskip(NEXT) | instid1(SALU_CYCLE_3)
	s_cvt_u32_f32 s12, s7
	s_mul_u64 s[24:25], s[14:15], s[12:13]
	s_delay_alu instid0(SALU_CYCLE_1)
	s_mul_hi_u32 s29, s12, s25
	s_mul_i32 s28, s12, s25
	s_mul_hi_u32 s22, s12, s24
	s_mul_i32 s9, s13, s24
	s_add_nc_u64 s[22:23], s[22:23], s[28:29]
	s_mul_hi_u32 s7, s13, s24
	s_mul_hi_u32 s21, s13, s25
	s_add_co_u32 s9, s22, s9
	s_wait_alu 0xfffe
	s_add_co_ci_u32 s26, s23, s7
	s_mul_i32 s24, s13, s25
	s_add_co_ci_u32 s25, s21, 0
	s_delay_alu instid0(SALU_CYCLE_1)
	s_add_nc_u64 s[22:23], s[26:27], s[24:25]
	s_mov_b32 s25, s8
	s_add_co_u32 s12, s12, s22
	s_cselect_b32 s7, -1, 0
	s_wait_alu 0xfffe
	s_cmp_lg_u32 s7, 0
	s_add_co_ci_u32 s13, s13, s23
	s_mov_b32 s23, s8
	s_mul_u64 s[14:15], s[14:15], s[12:13]
	s_delay_alu instid0(SALU_CYCLE_1)
	s_mul_hi_u32 s27, s12, s15
	s_mul_i32 s26, s12, s15
	s_mul_hi_u32 s22, s12, s14
	s_mul_i32 s9, s13, s14
	s_add_nc_u64 s[22:23], s[22:23], s[26:27]
	s_mul_hi_u32 s7, s13, s14
	s_mul_hi_u32 s21, s13, s15
	s_add_co_u32 s9, s22, s9
	s_wait_alu 0xfffe
	s_add_co_ci_u32 s24, s23, s7
	s_mul_i32 s14, s13, s15
	s_add_co_ci_u32 s15, s21, 0
	s_mov_b32 s23, s8
	s_add_nc_u64 s[14:15], s[24:25], s[14:15]
	s_delay_alu instid0(SALU_CYCLE_1) | instskip(SKIP_1) | instid1(SALU_CYCLE_1)
	s_add_co_u32 s7, s12, s14
	s_cselect_b32 s9, -1, 0
	s_cmp_lg_u32 s9, 0
	s_add_co_ci_u32 s9, s13, s15
	s_ashr_i32 s12, s3, 31
	s_delay_alu instid0(SALU_CYCLE_1) | instskip(NEXT) | instid1(SALU_CYCLE_1)
	s_mov_b32 s13, s12
	s_add_nc_u64 s[14:15], s[2:3], s[12:13]
	s_delay_alu instid0(SALU_CYCLE_1) | instskip(NEXT) | instid1(SALU_CYCLE_1)
	s_xor_b64 s[14:15], s[14:15], s[12:13]
	s_mul_hi_u32 s27, s14, s9
	s_mul_i32 s26, s14, s9
	s_wait_alu 0xfffe
	s_mul_hi_u32 s22, s14, s7
	s_mul_hi_u32 s21, s15, s7
	s_mul_i32 s7, s15, s7
	s_add_nc_u64 s[22:23], s[22:23], s[26:27]
	s_mul_hi_u32 s3, s15, s9
	s_wait_alu 0xfffe
	s_add_co_u32 s7, s22, s7
	s_add_co_ci_u32 s24, s23, s21
	s_mul_i32 s26, s15, s9
	s_add_co_ci_u32 s27, s3, 0
	s_delay_alu instid0(SALU_CYCLE_1) | instskip(NEXT) | instid1(SALU_CYCLE_1)
	s_add_nc_u64 s[22:23], s[24:25], s[26:27]
	s_mul_u64 s[24:25], s[10:11], s[22:23]
	s_add_nc_u64 s[26:27], s[22:23], 1
	s_sub_co_u32 s3, s14, s24
	s_cselect_b32 s7, -1, 0
	s_sub_co_i32 s9, s15, s25
	s_wait_alu 0xfffe
	s_cmp_lg_u32 s7, 0
	s_add_nc_u64 s[28:29], s[22:23], 2
	s_sub_co_ci_u32 s9, s9, s11
	s_sub_co_u32 s14, s3, s10
	s_cselect_b32 s21, -1, 0
	s_delay_alu instid0(SALU_CYCLE_1) | instskip(SKIP_1) | instid1(SALU_CYCLE_1)
	s_cmp_lg_u32 s21, 0
	s_sub_co_ci_u32 s9, s9, 0
	s_cmp_ge_u32 s9, s11
	s_cselect_b32 s21, -1, 0
	s_cmp_ge_u32 s14, s10
	s_cselect_b32 s14, -1, 0
	s_cmp_eq_u32 s9, s11
	s_cselect_b32 s9, s14, s21
	s_delay_alu instid0(SALU_CYCLE_1)
	s_cmp_lg_u32 s9, 0
	s_cselect_b32 s9, s28, s26
	s_cselect_b32 s14, s29, s27
	s_cmp_lg_u32 s7, 0
	s_sub_co_ci_u32 s7, s15, s25
	s_wait_alu 0xfffe
	s_cmp_ge_u32 s7, s11
	s_cselect_b32 s15, -1, 0
	s_cmp_ge_u32 s3, s10
	s_cselect_b32 s3, -1, 0
	s_cmp_eq_u32 s7, s11
	s_cselect_b32 s3, s3, s15
	s_delay_alu instid0(SALU_CYCLE_1) | instskip(SKIP_3) | instid1(SALU_CYCLE_1)
	s_cmp_lg_u32 s3, 0
	s_cselect_b32 s11, s14, s23
	s_cselect_b32 s10, s9, s22
	s_xor_b64 s[12:13], s[12:13], 0
	s_xor_b64 s[10:11], s[10:11], s[12:13]
	s_delay_alu instid0(SALU_CYCLE_1)
	s_sub_nc_u64 s[10:11], s[10:11], s[12:13]
	s_load_b96 s[12:14], s[0:1], 0x44
	s_and_not1_b32 vcc_lo, exec_lo, s8
	s_cbranch_vccnz .LBB22_6
.LBB22_5:
	v_cvt_f32_u32_e32 v1, s16
	s_sub_co_i32 s7, 0, s16
	s_delay_alu instid0(VALU_DEP_1) | instskip(NEXT) | instid1(TRANS32_DEP_1)
	v_rcp_iflag_f32_e32 v1, v1
	v_mul_f32_e32 v1, 0x4f7ffffe, v1
	s_delay_alu instid0(VALU_DEP_1) | instskip(NEXT) | instid1(VALU_DEP_1)
	v_cvt_u32_f32_e32 v1, v1
	v_readfirstlane_b32 s3, v1
	s_wait_alu 0xfffe
	s_mul_i32 s7, s7, s3
	s_wait_alu 0xfffe
	s_mul_hi_u32 s7, s3, s7
	s_wait_alu 0xfffe
	s_add_co_i32 s3, s3, s7
	s_delay_alu instid0(SALU_CYCLE_1) | instskip(NEXT) | instid1(SALU_CYCLE_1)
	s_mul_hi_u32 s3, s2, s3
	s_mul_i32 s7, s3, s16
	s_wait_alu 0xfffe
	s_sub_co_i32 s2, s2, s7
	s_add_co_i32 s7, s3, 1
	s_sub_co_i32 s8, s2, s16
	s_cmp_ge_u32 s2, s16
	s_wait_alu 0xfffe
	s_cselect_b32 s3, s7, s3
	s_cselect_b32 s2, s8, s2
	s_add_co_i32 s7, s3, 1
	s_cmp_ge_u32 s2, s16
	s_wait_alu 0xfffe
	s_cselect_b32 s10, s7, s3
.LBB22_6:
	s_mov_b32 s21, 0
	s_wait_kmcnt 0x0
	s_mov_b32 s22, s12
	s_mov_b32 s23, s21
	s_cmp_eq_u32 s20, s10
	s_mul_u64 s[2:3], s[20:21], s[22:23]
	s_cselect_b32 s7, -1, 0
	s_add_co_i32 s2, s3, s20
	s_mov_b32 s11, s21
	s_lshr_b32 s12, s2, s13
	s_mul_u64 s[2:3], s[10:11], s[22:23]
	s_mul_i32 s2, s12, s14
	s_delay_alu instid0(SALU_CYCLE_1) | instskip(SKIP_2) | instid1(SALU_CYCLE_1)
	s_cmp_eq_u32 s2, s20
	s_cselect_b32 s2, -1, 0
	s_add_co_i32 s3, s3, s10
	s_lshr_b32 s3, s3, s13
	s_delay_alu instid0(SALU_CYCLE_1)
	s_cmp_eq_u32 s12, s3
	s_mul_i32 s3, s3, s14
	s_cselect_b32 s8, -1, 0
	s_cmp_lg_u32 s3, s10
	s_cselect_b32 s3, -1, 0
	s_wait_alu 0xfffe
	s_or_b32 s2, s7, s2
	s_and_b32 s3, s8, s3
	s_delay_alu instid0(SALU_CYCLE_1) | instskip(NEXT) | instid1(SALU_CYCLE_1)
	s_or_b32 s2, s2, s3
	s_and_b32 vcc_lo, exec_lo, s2
	s_cbranch_vccnz .LBB22_24
; %bb.7:
	s_load_b256 s[24:31], s[0:1], 0x20
	s_mov_b32 s3, s21
	s_wait_kmcnt 0x0
	s_mov_b32 s2, s24
	s_delay_alu instid0(SALU_CYCLE_1) | instskip(NEXT) | instid1(SALU_CYCLE_1)
	s_mul_u64 s[2:3], s[20:21], s[2:3]
	s_add_co_i32 s2, s3, s20
	s_delay_alu instid0(SALU_CYCLE_1) | instskip(SKIP_2) | instid1(SALU_CYCLE_1)
	s_lshr_b32 s7, s2, s25
	s_load_b32 s2, s[0:1], 0x40
	s_mul_i32 s3, s7, s26
	s_sub_co_i32 s3, s20, s3
	s_delay_alu instid0(SALU_CYCLE_1) | instskip(NEXT) | instid1(SALU_CYCLE_1)
	s_mul_hi_u32 s8, s3, s27
	s_add_co_i32 s8, s3, s8
	s_delay_alu instid0(SALU_CYCLE_1) | instskip(NEXT) | instid1(SALU_CYCLE_1)
	s_lshr_b32 s8, s8, s28
	s_mul_i32 s9, s8, s29
	s_delay_alu instid0(SALU_CYCLE_1) | instskip(NEXT) | instid1(SALU_CYCLE_1)
	s_sub_co_i32 s9, s3, s9
	s_mul_hi_u32 s3, s9, s30
	s_delay_alu instid0(SALU_CYCLE_1) | instskip(NEXT) | instid1(SALU_CYCLE_1)
	s_add_co_i32 s3, s9, s3
	s_lshr_b32 s24, s3, s31
	s_mov_b32 s3, s21
	s_wait_kmcnt 0x0
	s_mul_i32 s2, s24, s2
	s_lshl_b32 s21, s24, 2
	s_sub_co_i32 s2, s9, s2
	s_delay_alu instid0(SALU_CYCLE_1) | instskip(SKIP_2) | instid1(SALU_CYCLE_1)
	s_mul_u64 s[10:11], s[2:3], s[22:23]
	s_lshr_b32 s3, ttmp7, 16
	s_add_co_i32 s2, s2, s11
	s_lshr_b32 s15, s2, s13
	s_and_b32 s2, ttmp7, 0xffff
	s_lshl_b32 s9, s15, 1
	s_delay_alu instid0(SALU_CYCLE_1) | instskip(NEXT) | instid1(SALU_CYCLE_1)
	s_add_co_i32 s9, s9, s2
	s_cmp_lt_i32 s9, s4
	s_cselect_b32 s9, -1, 0
	s_add_co_i32 s10, s21, s3
	s_delay_alu instid0(SALU_CYCLE_1) | instskip(SKIP_1) | instid1(SALU_CYCLE_1)
	s_cmp_lt_i32 s10, s6
	s_cselect_b32 s10, -1, 0
	s_and_b32 s9, s9, s10
	s_delay_alu instid0(SALU_CYCLE_1)
	s_and_not1_b32 vcc_lo, exec_lo, s9
	s_cbranch_vccnz .LBB22_24
; %bb.8:
	s_mul_i32 s4, s7, s4
	s_mul_i32 s6, s8, s6
	s_add_co_i32 s4, s4, s2
	s_load_b128 s[8:11], s[0:1], 0x0
	s_mul_i32 s4, s4, s5
	s_mul_i32 s1, s5, s15
	s_add_co_i32 s4, s4, s3
	s_lshl_b32 s1, s1, 9
	s_add_co_i32 s0, s4, s6
	s_lshl_b32 s15, s2, 2
	s_add_co_i32 s0, s0, s21
	s_add_co_i32 s15, s15, s3
	s_lshl_b32 s0, s0, 8
	v_cvt_f32_u32_e32 v4, s16
	s_add_co_i32 s1, s1, s0
	s_add_co_i32 s34, ttmp9, -1
	v_or_b32_e32 v1, s1, v0
	s_add_nc_u64 s[0:1], s[16:17], 0
	v_rcp_iflag_f32_e32 v4, v4
	s_wait_alu 0xfffe
	s_xor_b64 s[6:7], s[0:1], 0
	s_lshl_b32 s0, ttmp9, 3
	v_ashrrev_i32_e32 v2, 31, v1
	s_wait_alu 0xfffe
	s_cvt_f32_u32 s1, s6
	s_cvt_f32_u32 s2, s7
	s_add_co_i32 s0, s15, s0
	v_lshl_or_b32 v0, s15, 8, v0
	v_lshlrev_b64_e32 v[1:2], 2, v[1:2]
	s_wait_alu 0xfffe
	s_fmamk_f32 s2, s2, 0x4f800000, s1
	s_ashr_i32 s1, s0, 31
	s_sub_nc_u64 s[30:31], 0, s[6:7]
	s_wait_alu 0xfffe
	s_lshl_b64 s[0:1], s[0:1], 3
	v_s_rcp_f32 s2, s2
	s_wait_kmcnt 0x0
	v_add_co_u32 v1, vcc_lo, s8, v1
	s_delay_alu instid0(VALU_DEP_1)
	v_add_co_ci_u32_e64 v2, null, s9, v2, vcc_lo
	s_wait_alu 0xfffe
	s_add_nc_u64 s[0:1], s[10:11], s[0:1]
	s_mov_b32 s8, 0
	s_load_b64 s[26:27], s[0:1], 0x0
	global_load_b32 v3, v[1:2], off
	s_mul_f32 s2, s2, 0x5f7ffffc
	v_mul_f32_e32 v4, 0x4f7ffffe, v4
	s_lshl_b32 s0, s16, 5
	s_wait_alu 0xfffe
	s_mul_f32 s1, s2, 0x2f800000
	s_wait_alu 0xfffe
	s_delay_alu instid0(SALU_CYCLE_2)
	s_trunc_f32 s3, s1
	s_mov_b32 s1, s8
	s_wait_alu 0xfffe
	s_lshl_b64 s[0:1], s[0:1], 2
	s_fmamk_f32 s2, s3, 0xcf800000, s2
	s_cvt_u32_f32 s29, s3
	s_wait_alu 0xfffe
	s_add_nc_u64 s[24:25], s[10:11], s[0:1]
	s_cvt_u32_f32 s28, s2
	s_wait_kmcnt 0x0
	v_mov_b32_e32 v5, s27
	v_cvt_u32_f32_e32 v4, v4
.LBB22_9:                               ; =>This Inner Loop Header: Depth=1
	s_wait_alu 0xfffe
	s_ashr_i32 s35, s34, 31
	s_mov_b32 s2, -1
	s_wait_alu 0xfffe
	s_mul_u64 s[0:1], s[34:35], s[18:19]
                                        ; implicit-def: $sgpr38_sgpr39
	s_wait_alu 0xfffe
	s_mov_b32 s9, s1
	s_wait_alu 0xfffe
	s_cmp_lg_u64 s[8:9], 0
	s_cbranch_scc0 .LBB22_11
; %bb.10:                               ;   in Loop: Header=BB22_9 Depth=1
	s_mul_u64 s[2:3], s[30:31], s[28:29]
	s_mov_b32 s37, s8
	s_wait_alu 0xfffe
	s_mul_hi_u32 s5, s28, s3
	s_mul_i32 s4, s28, s3
	s_mul_hi_u32 s36, s28, s2
	s_mul_hi_u32 s9, s29, s2
	s_wait_alu 0xfffe
	s_add_nc_u64 s[4:5], s[36:37], s[4:5]
	s_mul_i32 s2, s29, s2
	s_mul_hi_u32 s17, s29, s3
	s_wait_alu 0xfffe
	s_add_co_u32 s2, s4, s2
	s_add_co_ci_u32 s2, s5, s9
	s_add_co_ci_u32 s5, s17, 0
	s_mul_i32 s4, s29, s3
	s_mov_b32 s3, s8
	s_mov_b32 s39, s8
	s_wait_alu 0xfffe
	s_add_nc_u64 s[2:3], s[2:3], s[4:5]
	s_wait_alu 0xfffe
	s_add_co_u32 s2, s28, s2
	s_cselect_b32 s4, -1, 0
	s_wait_alu 0xfffe
	s_cmp_lg_u32 s4, 0
	s_add_co_ci_u32 s3, s29, s3
	s_wait_alu 0xfffe
	s_mul_u64 s[4:5], s[30:31], s[2:3]
	s_wait_alu 0xfffe
	s_mul_hi_u32 s37, s2, s5
	s_mul_i32 s36, s2, s5
	s_mul_hi_u32 s38, s2, s4
	s_mul_hi_u32 s9, s3, s4
	s_mul_i32 s4, s3, s4
	s_wait_alu 0xfffe
	s_add_nc_u64 s[36:37], s[38:39], s[36:37]
	s_mul_hi_u32 s17, s3, s5
	s_wait_alu 0xfffe
	s_add_co_u32 s4, s36, s4
	s_add_co_ci_u32 s4, s37, s9
	s_add_co_ci_u32 s37, s17, 0
	s_mul_i32 s36, s3, s5
	s_mov_b32 s5, s8
	s_wait_alu 0xfffe
	s_add_nc_u64 s[4:5], s[4:5], s[36:37]
	s_mov_b32 s37, s8
	s_wait_alu 0xfffe
	s_add_co_u32 s9, s2, s4
	s_cselect_b32 s2, -1, 0
	s_wait_alu 0xfffe
	s_cmp_lg_u32 s2, 0
	s_add_co_ci_u32 s17, s3, s5
	s_ashr_i32 s2, s1, 31
	s_wait_alu 0xfffe
	s_mov_b32 s3, s2
	s_wait_alu 0xfffe
	s_add_nc_u64 s[4:5], s[0:1], s[2:3]
	s_wait_alu 0xfffe
	s_xor_b64 s[4:5], s[4:5], s[2:3]
	s_wait_alu 0xfffe
	s_mul_hi_u32 s39, s4, s17
	s_mul_i32 s38, s4, s17
	s_mul_hi_u32 s36, s4, s9
	s_mul_i32 s21, s5, s9
	s_wait_alu 0xfffe
	s_add_nc_u64 s[36:37], s[36:37], s[38:39]
	s_mul_hi_u32 s9, s5, s9
	s_mul_hi_u32 s1, s5, s17
	s_wait_alu 0xfffe
	s_add_co_u32 s21, s36, s21
	s_add_co_ci_u32 s36, s37, s9
	s_add_co_ci_u32 s39, s1, 0
	s_mul_i32 s38, s5, s17
	s_mov_b32 s37, s8
	s_wait_alu 0xfffe
	s_add_nc_u64 s[36:37], s[36:37], s[38:39]
	s_wait_alu 0xfffe
	s_mul_u64 s[38:39], s[6:7], s[36:37]
	s_add_nc_u64 s[40:41], s[36:37], 1
	s_sub_co_u32 s1, s4, s38
	s_cselect_b32 s4, -1, 0
	s_sub_co_i32 s9, s5, s39
	s_wait_alu 0xfffe
	s_cmp_lg_u32 s4, 0
	s_add_nc_u64 s[42:43], s[36:37], 2
	s_sub_co_ci_u32 s9, s9, s7
	s_sub_co_u32 s17, s1, s6
	s_cselect_b32 s21, -1, 0
	s_delay_alu instid0(SALU_CYCLE_1)
	s_cmp_lg_u32 s21, 0
	s_wait_alu 0xfffe
	s_sub_co_ci_u32 s9, s9, 0
	s_wait_alu 0xfffe
	s_cmp_ge_u32 s9, s7
	s_cselect_b32 s21, -1, 0
	s_cmp_ge_u32 s17, s6
	s_cselect_b32 s17, -1, 0
	s_cmp_eq_u32 s9, s7
	s_wait_alu 0xfffe
	s_cselect_b32 s9, s17, s21
	s_wait_alu 0xfffe
	s_cmp_lg_u32 s9, 0
	s_cselect_b32 s9, s42, s40
	s_cselect_b32 s17, s43, s41
	s_cmp_lg_u32 s4, 0
	s_sub_co_ci_u32 s4, s5, s39
	s_wait_alu 0xfffe
	s_cmp_ge_u32 s4, s7
	s_cselect_b32 s5, -1, 0
	s_cmp_ge_u32 s1, s6
	s_cselect_b32 s1, -1, 0
	s_cmp_eq_u32 s4, s7
	s_wait_alu 0xfffe
	s_cselect_b32 s1, s1, s5
	s_wait_alu 0xfffe
	s_cmp_lg_u32 s1, 0
	s_cselect_b32 s5, s17, s37
	s_cselect_b32 s4, s9, s36
	s_xor_b64 s[2:3], s[2:3], 0
	s_wait_alu 0xfffe
	s_xor_b64 s[4:5], s[4:5], s[2:3]
	s_wait_alu 0xfffe
	s_sub_nc_u64 s[38:39], s[4:5], s[2:3]
	s_mov_b32 s2, 0
.LBB22_11:                              ;   in Loop: Header=BB22_9 Depth=1
	s_wait_alu 0xfffe
	s_and_not1_b32 vcc_lo, exec_lo, s2
	s_wait_alu 0xfffe
	s_cbranch_vccnz .LBB22_13
; %bb.12:                               ;   in Loop: Header=BB22_9 Depth=1
	v_readfirstlane_b32 s1, v4
	s_sub_co_i32 s2, 0, s16
	s_wait_alu 0xfffe
	s_mul_i32 s2, s2, s1
	s_wait_alu 0xfffe
	s_mul_hi_u32 s2, s1, s2
	s_wait_alu 0xfffe
	s_add_co_i32 s1, s1, s2
	s_wait_alu 0xfffe
	s_mul_hi_u32 s1, s0, s1
	s_wait_alu 0xfffe
	s_mul_i32 s2, s1, s16
	s_wait_alu 0xfffe
	s_sub_co_i32 s0, s0, s2
	s_add_co_i32 s2, s1, 1
	s_wait_alu 0xfffe
	s_sub_co_i32 s3, s0, s16
	s_cmp_ge_u32 s0, s16
	s_cselect_b32 s1, s2, s1
	s_wait_alu 0xfffe
	s_cselect_b32 s0, s3, s0
	s_add_co_i32 s2, s1, 1
	s_wait_alu 0xfffe
	s_cmp_ge_u32 s0, s16
	s_cselect_b32 s38, s2, s1
.LBB22_13:                              ;   in Loop: Header=BB22_9 Depth=1
	v_readfirstlane_b32 s9, v0
	s_cmp_lg_u32 s20, s38
	s_mov_b32 s0, -1
                                        ; implicit-def: $sgpr21
                                        ; implicit-def: $vgpr6
                                        ; implicit-def: $vgpr7
                                        ; implicit-def: $sgpr17
                                        ; implicit-def: $sgpr27
	s_cbranch_scc1 .LBB22_16
; %bb.14:                               ;   in Loop: Header=BB22_9 Depth=1
	s_wait_alu 0xfffe
	s_and_not1_b32 vcc_lo, exec_lo, s0
	s_wait_alu 0xfffe
	s_cbranch_vccz .LBB22_19
.LBB22_15:                              ;   in Loop: Header=BB22_9 Depth=1
	s_and_not1_b32 vcc_lo, exec_lo, s21
	s_wait_alu 0xfffe
	s_cbranch_vccnz .LBB22_20
	s_branch .LBB22_23
.LBB22_16:                              ;   in Loop: Header=BB22_9 Depth=1
	s_add_co_i32 s0, s34, s16
	s_mov_b32 s1, s8
	s_wait_alu 0xfffe
	s_lshl_b32 s0, s0, 3
	v_max_num_f32_e64 v6, s26, s26
	s_wait_alu 0xfffe
	s_add_co_i32 s0, s0, s15
	s_mov_b32 s39, s8
	s_wait_alu 0xfffe
	s_lshl_b64 s[0:1], s[0:1], 3
	s_mul_u64 s[40:41], s[38:39], s[22:23]
	s_wait_alu 0xfffe
	s_add_nc_u64 s[0:1], s[10:11], s[0:1]
	s_mov_b32 s27, s20
	s_load_b64 s[36:37], s[0:1], 0x0
	v_readfirstlane_b32 s0, v6
	s_wait_kmcnt 0x0
	v_max_num_f32_e64 v7, s36, s36
	s_delay_alu instid0(VALU_DEP_1) | instskip(SKIP_2) | instid1(SALU_CYCLE_2)
	v_readfirstlane_b32 s1, v7
	s_max_num_f32 s9, s0, s1
	s_wait_alu 0xfffe
	s_sub_f32 s33, s26, s9
	s_sub_f32 s35, s36, s9
	s_wait_alu 0xfffe
	s_delay_alu instid0(SALU_CYCLE_1)
	s_cmp_nlt_f32 s33, 0xc2ce8ed0
	s_cselect_b32 s0, -1, 0
	s_cmp_ngt_f32 s33, 0x42b17218
	s_cselect_b32 s1, -1, 0
	s_cmp_ge_f32 s33, 0xc1a00000
	s_cselect_b32 s2, -1, 0
	s_cmp_nlt_f32 s35, 0xc2ce8ed0
	s_cselect_b32 s3, -1, 0
	s_cmp_ngt_f32 s35, 0x42b17218
	s_cselect_b32 s4, -1, 0
	s_cmp_ge_f32 s35, 0xc1a00000
	s_cselect_b32 s5, -1, 0
	s_add_co_i32 s17, s41, s38
	s_wait_alu 0xfffe
	s_lshr_b32 s17, s17, s13
	s_wait_alu 0xfffe
	s_mul_i32 s21, s17, s14
	s_delay_alu instid0(SALU_CYCLE_1)
	s_cmp_eq_u32 s21, s38
	s_cselect_b32 s21, -1, 0
	s_cmp_lt_u32 s17, s12
	s_cselect_b32 s17, -1, 0
	s_wait_alu 0xfffe
	s_or_b32 s17, s17, s21
	s_mov_b32 s21, -1
	s_wait_alu 0xfffe
	s_and_b32 vcc_lo, exec_lo, s17
	s_mov_b32 s17, s34
	s_wait_alu 0xfffe
	s_cbranch_vccnz .LBB22_18
; %bb.17:                               ;   in Loop: Header=BB22_9 Depth=1
	s_add_co_i32 s17, s34, -1
	s_mov_b32 s21, 0
	s_mov_b32 s27, s38
.LBB22_18:                              ;   in Loop: Header=BB22_9 Depth=1
	v_lshl_add_u32 v6, s34, 11, v0
	s_mul_f32 s36, s35, 0x3fb8aa3b
	s_mul_f32 s38, s33, 0x3fb8aa3b
	s_wait_alu 0xfffe
	s_delay_alu instid0(SALU_CYCLE_1)
	s_xor_b32 s39, s36, 0x80000000
	v_ashrrev_i32_e32 v7, 31, v6
	s_rndne_f32 s40, s36
	s_fmamk_f32 s39, s35, 0x3fb8aa3b, s39
	s_xor_b32 s41, s38, 0x80000000
	s_rndne_f32 s42, s38
	v_lshlrev_b64_e32 v[6:7], 2, v[6:7]
	s_sub_f32 s36, s36, s40
	s_fmamk_f32 s35, s35, 0x32a5705f, s39
	s_fmamk_f32 s39, s33, 0x3fb8aa3b, s41
	s_sub_f32 s38, s38, s42
	s_delay_alu instid0(VALU_DEP_1)
	v_add_co_u32 v6, vcc_lo, s24, v6
	s_wait_alu 0xfffd
	v_add_co_ci_u32_e64 v7, null, s25, v7, vcc_lo
	s_wait_alu 0xfffe
	s_add_f32 s35, s36, s35
	s_fmamk_f32 s33, s33, 0x32a5705f, s39
	s_cvt_i32_f32 s36, s40
	global_load_b32 v6, v[6:7], off
	s_wait_alu 0xfffe
	v_s_exp_f32 s35, s35
	s_add_f32 s33, s38, s33
	s_wait_alu 0xfffe
	s_delay_alu instid0(SALU_CYCLE_2) | instskip(NEXT) | instid1(TRANS32_DEP_2)
	v_s_exp_f32 s33, s33
	v_ldexp_f32 v7, s35, s36
	s_cvt_i32_f32 s35, s42
	s_wait_alu 0xf1fe
	s_delay_alu instid0(TRANS32_DEP_1) | instid1(SALU_CYCLE_2)
	v_ldexp_f32 v8, s33, s35
	s_delay_alu instid0(VALU_DEP_2) | instskip(NEXT) | instid1(VALU_DEP_2)
	v_cndmask_b32_e64 v7, 0, v7, s3
	v_cndmask_b32_e64 v8, 0, v8, s0
	s_delay_alu instid0(VALU_DEP_2) | instskip(NEXT) | instid1(VALU_DEP_2)
	v_cndmask_b32_e64 v7, 0x7f800000, v7, s4
	v_cndmask_b32_e64 v8, 0x7f800000, v8, s1
	;; [unrolled: 3-line block ×3, first 2 shown]
	s_wait_loadcnt 0x0
	s_delay_alu instid0(VALU_DEP_2) | instskip(SKIP_1) | instid1(VALU_DEP_1)
	v_mul_f32_e32 v6, v6, v7
	v_mul_f32_e32 v7, s37, v7
	v_fmac_f32_e32 v7, v5, v8
	s_delay_alu instid0(VALU_DEP_3)
	v_fmac_f32_e32 v6, v3, v8
	s_cbranch_execnz .LBB22_15
.LBB22_19:                              ;   in Loop: Header=BB22_9 Depth=1
	s_wait_loadcnt 0x0
	v_dual_mov_b32 v7, v5 :: v_dual_mov_b32 v6, v3
	s_add_co_i32 s17, s34, -1
	s_mov_b32 s27, s20
	s_mov_b32 s9, s26
	s_cbranch_execz .LBB22_23
.LBB22_20:                              ;   in Loop: Header=BB22_9 Depth=1
	v_mov_b32_e32 v5, v7
	s_wait_loadcnt 0x0
	v_mov_b32_e32 v3, v6
	s_wait_alu 0xfffe
	s_mov_b32 s20, s27
	s_mov_b32 s34, s17
	;; [unrolled: 1-line block ×3, first 2 shown]
	s_branch .LBB22_9
.LBB22_21:
                                        ; implicit-def: $sgpr20_sgpr21
	s_branch .LBB22_2
.LBB22_22:
                                        ; implicit-def: $sgpr10_sgpr11
	s_load_b96 s[12:14], s[0:1], 0x44
	s_branch .LBB22_5
.LBB22_23:
	v_div_scale_f32 v0, null, v7, v7, v6
	s_wait_loadcnt 0x0
	s_delay_alu instid0(VALU_DEP_1) | instskip(NEXT) | instid1(TRANS32_DEP_1)
	v_rcp_f32_e32 v3, v0
	v_fma_f32 v4, -v0, v3, 1.0
	s_delay_alu instid0(VALU_DEP_1) | instskip(SKIP_1) | instid1(VALU_DEP_1)
	v_fmac_f32_e32 v3, v4, v3
	v_div_scale_f32 v4, vcc_lo, v6, v7, v6
	v_mul_f32_e32 v5, v4, v3
	s_delay_alu instid0(VALU_DEP_1) | instskip(NEXT) | instid1(VALU_DEP_1)
	v_fma_f32 v8, -v0, v5, v4
	v_fmac_f32_e32 v5, v8, v3
	s_delay_alu instid0(VALU_DEP_1) | instskip(SKIP_1) | instid1(VALU_DEP_1)
	v_fma_f32 v0, -v0, v5, v4
	s_wait_alu 0xfffd
	v_div_fmas_f32 v0, v0, v3, v5
	s_delay_alu instid0(VALU_DEP_1)
	v_div_fixup_f32 v0, v0, v7, v6
	global_store_b32 v[1:2], v0, off
.LBB22_24:
	s_endpgm
	.section	.rodata,"a",@progbits
	.p2align	6, 0x0
	.amdhsa_kernel _ZL33flash_attn_stream_k_fixup_generalILi256ELi2ELi4EEvPfPK15HIP_vector_typeIfLj2EEiiiiS1_IjLj3EES5_S5_S5_
		.amdhsa_group_segment_fixed_size 0
		.amdhsa_private_segment_fixed_size 0
		.amdhsa_kernarg_size 336
		.amdhsa_user_sgpr_count 2
		.amdhsa_user_sgpr_dispatch_ptr 0
		.amdhsa_user_sgpr_queue_ptr 0
		.amdhsa_user_sgpr_kernarg_segment_ptr 1
		.amdhsa_user_sgpr_dispatch_id 0
		.amdhsa_user_sgpr_private_segment_size 0
		.amdhsa_wavefront_size32 1
		.amdhsa_uses_dynamic_stack 0
		.amdhsa_enable_private_segment 0
		.amdhsa_system_sgpr_workgroup_id_x 1
		.amdhsa_system_sgpr_workgroup_id_y 1
		.amdhsa_system_sgpr_workgroup_id_z 1
		.amdhsa_system_sgpr_workgroup_info 0
		.amdhsa_system_vgpr_workitem_id 0
		.amdhsa_next_free_vgpr 9
		.amdhsa_next_free_sgpr 44
		.amdhsa_reserve_vcc 1
		.amdhsa_float_round_mode_32 0
		.amdhsa_float_round_mode_16_64 0
		.amdhsa_float_denorm_mode_32 3
		.amdhsa_float_denorm_mode_16_64 3
		.amdhsa_fp16_overflow 0
		.amdhsa_workgroup_processor_mode 1
		.amdhsa_memory_ordered 1
		.amdhsa_forward_progress 1
		.amdhsa_inst_pref_size 28
		.amdhsa_round_robin_scheduling 0
		.amdhsa_exception_fp_ieee_invalid_op 0
		.amdhsa_exception_fp_denorm_src 0
		.amdhsa_exception_fp_ieee_div_zero 0
		.amdhsa_exception_fp_ieee_overflow 0
		.amdhsa_exception_fp_ieee_underflow 0
		.amdhsa_exception_fp_ieee_inexact 0
		.amdhsa_exception_int_div_zero 0
	.end_amdhsa_kernel
	.section	.text._ZL33flash_attn_stream_k_fixup_generalILi256ELi2ELi4EEvPfPK15HIP_vector_typeIfLj2EEiiiiS1_IjLj3EES5_S5_S5_,"axG",@progbits,_ZL33flash_attn_stream_k_fixup_generalILi256ELi2ELi4EEvPfPK15HIP_vector_typeIfLj2EEiiiiS1_IjLj3EES5_S5_S5_,comdat
.Lfunc_end22:
	.size	_ZL33flash_attn_stream_k_fixup_generalILi256ELi2ELi4EEvPfPK15HIP_vector_typeIfLj2EEiiiiS1_IjLj3EES5_S5_S5_, .Lfunc_end22-_ZL33flash_attn_stream_k_fixup_generalILi256ELi2ELi4EEvPfPK15HIP_vector_typeIfLj2EEiiiiS1_IjLj3EES5_S5_S5_
                                        ; -- End function
	.set _ZL33flash_attn_stream_k_fixup_generalILi256ELi2ELi4EEvPfPK15HIP_vector_typeIfLj2EEiiiiS1_IjLj3EES5_S5_S5_.num_vgpr, 9
	.set _ZL33flash_attn_stream_k_fixup_generalILi256ELi2ELi4EEvPfPK15HIP_vector_typeIfLj2EEiiiiS1_IjLj3EES5_S5_S5_.num_agpr, 0
	.set _ZL33flash_attn_stream_k_fixup_generalILi256ELi2ELi4EEvPfPK15HIP_vector_typeIfLj2EEiiiiS1_IjLj3EES5_S5_S5_.numbered_sgpr, 44
	.set _ZL33flash_attn_stream_k_fixup_generalILi256ELi2ELi4EEvPfPK15HIP_vector_typeIfLj2EEiiiiS1_IjLj3EES5_S5_S5_.num_named_barrier, 0
	.set _ZL33flash_attn_stream_k_fixup_generalILi256ELi2ELi4EEvPfPK15HIP_vector_typeIfLj2EEiiiiS1_IjLj3EES5_S5_S5_.private_seg_size, 0
	.set _ZL33flash_attn_stream_k_fixup_generalILi256ELi2ELi4EEvPfPK15HIP_vector_typeIfLj2EEiiiiS1_IjLj3EES5_S5_S5_.uses_vcc, 1
	.set _ZL33flash_attn_stream_k_fixup_generalILi256ELi2ELi4EEvPfPK15HIP_vector_typeIfLj2EEiiiiS1_IjLj3EES5_S5_S5_.uses_flat_scratch, 0
	.set _ZL33flash_attn_stream_k_fixup_generalILi256ELi2ELi4EEvPfPK15HIP_vector_typeIfLj2EEiiiiS1_IjLj3EES5_S5_S5_.has_dyn_sized_stack, 0
	.set _ZL33flash_attn_stream_k_fixup_generalILi256ELi2ELi4EEvPfPK15HIP_vector_typeIfLj2EEiiiiS1_IjLj3EES5_S5_S5_.has_recursion, 0
	.set _ZL33flash_attn_stream_k_fixup_generalILi256ELi2ELi4EEvPfPK15HIP_vector_typeIfLj2EEiiiiS1_IjLj3EES5_S5_S5_.has_indirect_call, 0
	.section	.AMDGPU.csdata,"",@progbits
; Kernel info:
; codeLenInByte = 3548
; TotalNumSgprs: 46
; NumVgprs: 9
; ScratchSize: 0
; MemoryBound: 0
; FloatMode: 240
; IeeeMode: 1
; LDSByteSize: 0 bytes/workgroup (compile time only)
; SGPRBlocks: 0
; VGPRBlocks: 1
; NumSGPRsForWavesPerEU: 46
; NumVGPRsForWavesPerEU: 9
; Occupancy: 16
; WaveLimiterHint : 0
; COMPUTE_PGM_RSRC2:SCRATCH_EN: 0
; COMPUTE_PGM_RSRC2:USER_SGPR: 2
; COMPUTE_PGM_RSRC2:TRAP_HANDLER: 0
; COMPUTE_PGM_RSRC2:TGID_X_EN: 1
; COMPUTE_PGM_RSRC2:TGID_Y_EN: 1
; COMPUTE_PGM_RSRC2:TGID_Z_EN: 1
; COMPUTE_PGM_RSRC2:TIDIG_COMP_CNT: 0
	.section	.text._ZL15flash_attn_tileILi256ELi256ELi1ELi4ELb0EEvPKcS1_S1_S1_S1_PKiPfP15HIP_vector_typeIfLj2EEffffjfiS5_IjLj3EEiiiiiiiiiiiliiliiiiil,"axG",@progbits,_ZL15flash_attn_tileILi256ELi256ELi1ELi4ELb0EEvPKcS1_S1_S1_S1_PKiPfP15HIP_vector_typeIfLj2EEffffjfiS5_IjLj3EEiiiiiiiiiiiliiliiiiil,comdat
	.globl	_ZL15flash_attn_tileILi256ELi256ELi1ELi4ELb0EEvPKcS1_S1_S1_S1_PKiPfP15HIP_vector_typeIfLj2EEffffjfiS5_IjLj3EEiiiiiiiiiiiliiliiiiil ; -- Begin function _ZL15flash_attn_tileILi256ELi256ELi1ELi4ELb0EEvPKcS1_S1_S1_S1_PKiPfP15HIP_vector_typeIfLj2EEffffjfiS5_IjLj3EEiiiiiiiiiiiliiliiiiil
	.p2align	8
	.type	_ZL15flash_attn_tileILi256ELi256ELi1ELi4ELb0EEvPKcS1_S1_S1_S1_PKiPfP15HIP_vector_typeIfLj2EEffffjfiS5_IjLj3EEiiiiiiiiiiiliiliiiiil,@function
_ZL15flash_attn_tileILi256ELi256ELi1ELi4ELb0EEvPKcS1_S1_S1_S1_PKiPfP15HIP_vector_typeIfLj2EEffffjfiS5_IjLj3EEiiiiiiiiiiiliiliiiiil: ; @_ZL15flash_attn_tileILi256ELi256ELi1ELi4ELb0EEvPKcS1_S1_S1_S1_PKiPfP15HIP_vector_typeIfLj2EEffffjfiS5_IjLj3EEiiiiiiiiiiiliiliiiiil
; %bb.0:
	s_clause 0x1
	s_load_b128 s[20:23], s[0:1], 0x5c
	s_load_b64 s[30:31], s[0:1], 0x80
	s_lshr_b32 s5, ttmp7, 16
	s_load_b64 s[36:37], s[0:1], 0xb8
	s_mov_b64 s[34:35], 0
	s_wait_kmcnt 0x0
	s_ashr_i32 s2, s23, 31
	s_delay_alu instid0(SALU_CYCLE_1) | instskip(NEXT) | instid1(SALU_CYCLE_1)
	s_lshr_b32 s2, s2, 30
	s_add_co_i32 s2, s23, s2
	s_delay_alu instid0(SALU_CYCLE_1) | instskip(NEXT) | instid1(SALU_CYCLE_1)
	s_ashr_i32 s2, s2, 2
	s_cvt_f32_u32 s3, s2
	s_sub_co_i32 s4, 0, s2
	s_delay_alu instid0(SALU_CYCLE_2) | instskip(NEXT) | instid1(TRANS32_DEP_1)
	v_rcp_iflag_f32_e32 v1, s3
	v_readfirstlane_b32 s3, v1
	s_mul_f32 s3, s3, 0x4f7ffffe
	s_wait_alu 0xfffe
	s_delay_alu instid0(SALU_CYCLE_2) | instskip(SKIP_1) | instid1(SALU_CYCLE_2)
	s_cvt_u32_f32 s3, s3
	s_wait_alu 0xfffe
	s_mul_i32 s4, s4, s3
	s_delay_alu instid0(SALU_CYCLE_1) | instskip(NEXT) | instid1(SALU_CYCLE_1)
	s_mul_hi_u32 s4, s3, s4
	s_add_co_i32 s3, s3, s4
	s_wait_alu 0xfffe
	s_mul_hi_u32 s3, s5, s3
	s_wait_alu 0xfffe
	s_mul_i32 s4, s3, s2
	s_add_co_i32 s6, s3, 1
	s_sub_co_i32 s4, s5, s4
	s_delay_alu instid0(SALU_CYCLE_1)
	s_sub_co_i32 s7, s4, s2
	s_cmp_ge_u32 s4, s2
	s_cselect_b32 s3, s6, s3
	s_cselect_b32 s4, s7, s4
	s_wait_alu 0xfffe
	s_add_co_i32 s6, s3, 1
	s_cmp_ge_u32 s4, s2
	s_cselect_b32 s28, s6, s3
	s_abs_i32 s2, s31
	s_abs_i32 s7, s23
	s_wait_alu 0xfffe
	s_cvt_f32_u32 s3, s2
	s_sub_co_i32 s4, 0, s2
	s_lshl_b32 s5, s5, 2
	s_mul_i32 s6, s28, s23
	s_wait_alu 0xfffe
	v_rcp_iflag_f32_e32 v1, s3
	s_sub_co_i32 s33, s5, s6
	s_delay_alu instid0(TRANS32_DEP_1) | instskip(SKIP_2) | instid1(SALU_CYCLE_2)
	v_readfirstlane_b32 s3, v1
	s_mul_f32 s3, s3, 0x4f7ffffe
	s_wait_alu 0xfffe
	s_cvt_u32_f32 s3, s3
	s_wait_alu 0xfffe
	s_delay_alu instid0(SALU_CYCLE_2) | instskip(NEXT) | instid1(SALU_CYCLE_1)
	s_mul_i32 s4, s4, s3
	s_mul_hi_u32 s4, s3, s4
	s_delay_alu instid0(SALU_CYCLE_1)
	s_add_co_i32 s3, s3, s4
	s_xor_b32 s4, s23, s31
	s_wait_alu 0xfffe
	s_mul_hi_u32 s3, s7, s3
	s_ashr_i32 s24, s4, 31
	s_wait_alu 0xfffe
	s_mul_i32 s5, s3, s2
	s_delay_alu instid0(SALU_CYCLE_1)
	s_sub_co_i32 s4, s7, s5
	s_add_co_i32 s5, s3, 1
	s_sub_co_i32 s6, s4, s2
	s_cmp_ge_u32 s4, s2
	s_cselect_b32 s3, s5, s3
	s_cselect_b32 s4, s6, s4
	s_wait_alu 0xfffe
	s_add_co_i32 s5, s3, 1
	s_cmp_ge_u32 s4, s2
	s_cselect_b32 s2, s5, s3
	s_load_b512 s[4:19], s[0:1], 0x0
	s_xor_b32 s2, s2, s24
	s_mov_b32 s3, 0
	s_wait_alu 0xfffe
	s_sub_co_i32 s40, s2, s24
	s_delay_alu instid0(SALU_CYCLE_1) | instskip(NEXT) | instid1(SALU_CYCLE_1)
	s_abs_i32 s31, s40
	s_cvt_f32_u32 s2, s31
	s_wait_alu 0xfffe
	s_delay_alu instid0(SALU_CYCLE_2) | instskip(SKIP_2) | instid1(TRANS32_DEP_1)
	v_rcp_iflag_f32_e32 v1, s2
	s_wait_kmcnt 0x0
	s_cmp_eq_u64 s[10:11], 0
	v_readfirstlane_b32 s2, v1
	s_cbranch_scc1 .LBB23_2
; %bb.1:
	s_abs_i32 s26, s36
	s_delay_alu instid0(SALU_CYCLE_1) | instskip(NEXT) | instid1(SALU_CYCLE_3)
	s_cvt_f32_u32 s24, s26
	v_rcp_iflag_f32_e32 v1, s24
	s_delay_alu instid0(TRANS32_DEP_1) | instskip(SKIP_2) | instid1(SALU_CYCLE_2)
	v_readfirstlane_b32 s24, v1
	s_mul_f32 s24, s24, 0x4f7ffffe
	s_wait_alu 0xfffe
	s_cvt_u32_f32 s27, s24
	s_sub_co_i32 s24, 0, s26
	s_wait_alu 0xfffe
	s_delay_alu instid0(SALU_CYCLE_1) | instskip(SKIP_4) | instid1(SALU_CYCLE_1)
	s_mul_i32 s24, s24, s27
	s_wait_alu 0xfffe
	s_mul_hi_u32 s29, s27, s24
	s_load_b64 s[24:25], s[0:1], 0xc8
	s_add_co_i32 s27, s27, s29
	s_mul_hi_u32 s27, s28, s27
	s_delay_alu instid0(SALU_CYCLE_1) | instskip(NEXT) | instid1(SALU_CYCLE_1)
	s_mul_i32 s27, s27, s26
	s_sub_co_i32 s27, s28, s27
	s_delay_alu instid0(SALU_CYCLE_1) | instskip(SKIP_2) | instid1(SALU_CYCLE_1)
	s_sub_co_i32 s29, s27, s26
	s_cmp_ge_u32 s27, s26
	s_cselect_b32 s27, s29, s27
	s_sub_co_i32 s29, s27, s26
	s_cmp_ge_u32 s27, s26
	s_cselect_b32 s26, s29, s27
	s_delay_alu instid0(SALU_CYCLE_1)
	s_ashr_i32 s27, s26, 31
	s_wait_kmcnt 0x0
	s_mul_u64 s[24:25], s[24:25], s[26:27]
	s_wait_alu 0xfffe
	s_add_nc_u64 s[34:35], s[10:11], s[24:25]
.LBB23_2:
	v_lshrrev_b32_e32 v1, 10, v0
	s_load_b96 s[24:26], s[0:1], 0x70
	v_bfe_u32 v69, v0, 10, 2
	v_and_b32_e32 v33, 0x3ff, v0
	s_delay_alu instid0(VALU_DEP_3) | instskip(NEXT) | instid1(VALU_DEP_2)
	v_bfe_u32 v1, v1, 2, 8
	v_lshlrev_b32_e32 v70, 3, v33
	s_delay_alu instid0(VALU_DEP_2) | instskip(NEXT) | instid1(VALU_DEP_1)
	v_add_nc_u32_e32 v32, ttmp9, v1
	v_mul_hi_u32 v1, s20, v32
	s_wait_kmcnt 0x0
	s_mov_b32 s20, s25
	s_mul_i32 s10, s33, s25
	s_delay_alu instid0(VALU_DEP_1) | instskip(NEXT) | instid1(VALU_DEP_1)
	v_add_nc_u32_e32 v1, v32, v1
	v_lshrrev_b32_e32 v1, s21, v1
	s_ashr_i32 s21, s25, 31
	s_ashr_i32 s25, s24, 31
	s_wait_alu 0xfffe
	s_lshr_b64 s[38:39], s[20:21], 2
	s_lshr_b32 s11, s21, 2
	v_mul_lo_u32 v1, v1, s22
	v_mad_co_u64_u32 v[2:3], null, s38, v69, 0
	s_lshr_b64 s[38:39], s[24:25], 2
	s_mul_i32 s20, s28, s26
	s_wait_alu 0xfffe
	s_ashr_i32 s21, s20, 31
	s_wait_alu 0xfffe
	s_add_nc_u64 s[4:5], s[4:5], s[20:21]
	v_sub_nc_u32_e32 v1, v32, v1
	s_delay_alu instid0(VALU_DEP_1) | instskip(NEXT) | instid1(VALU_DEP_1)
	v_mad_co_u64_u32 v[4:5], null, s38, v1, 0
	v_mad_co_u64_u32 v[6:7], null, s11, v69, v[3:4]
	s_lshr_b32 s11, s25, 2
	s_wait_alu 0xfffe
	v_mad_co_u64_u32 v[7:8], null, s11, v1, v[5:6]
	v_mov_b32_e32 v3, v6
	s_ashr_i32 s11, s10, 31
	s_cmp_eq_u64 s[14:15], 0
	s_wait_alu 0xfffe
	s_add_nc_u64 s[4:5], s[4:5], s[10:11]
	v_lshlrev_b32_e32 v6, 4, v33
	v_lshlrev_b64_e32 v[2:3], 2, v[2:3]
	v_mov_b32_e32 v5, v7
	s_delay_alu instid0(VALU_DEP_2) | instskip(NEXT) | instid1(VALU_DEP_2)
	v_add_co_u32 v2, vcc_lo, s4, v2
	v_lshlrev_b64_e32 v[4:5], 2, v[4:5]
	s_delay_alu instid0(VALU_DEP_4) | instskip(SKIP_4) | instid1(VALU_DEP_2)
	v_add_co_ci_u32_e64 v3, null, s5, v3, vcc_lo
	s_load_b32 s4, s[0:1], 0x40
	v_add_co_u32 v2, vcc_lo, v2, v4
	s_wait_alu 0xfffd
	v_add_co_ci_u32_e64 v3, null, v3, v5, vcc_lo
	v_add_co_u32 v7, vcc_lo, v2, v6
	s_wait_alu 0xfffd
	s_delay_alu instid0(VALU_DEP_2) | instskip(SKIP_4) | instid1(VALU_DEP_1)
	v_add_co_ci_u32_e64 v8, null, 0, v3, vcc_lo
	s_clause 0x1
	global_load_b128 v[3:6], v[7:8], off
	global_load_b128 v[7:10], v[7:8], off offset:512
	v_bfe_u32 v2, v0, 10, 10
	v_lshlrev_b32_e32 v0, 9, v2
	s_delay_alu instid0(VALU_DEP_1)
	v_add_nc_u32_e32 v71, 0x4200, v0
	s_wait_loadcnt 0x1
	s_wait_kmcnt 0x0
	v_fma_mixlo_f16 v3, s4, v3, 0
	v_fma_mixlo_f16 v4, s4, v4, 0
	s_wait_loadcnt 0x0
	v_fma_mixlo_f16 v7, s4, v7, 0
	v_fma_mixlo_f16 v8, s4, v8, 0
	;; [unrolled: 1-line block ×6, first 2 shown]
	v_lshlrev_b32_e32 v4, 16, v4
	v_and_b32_e32 v3, 0xffff, v3
	v_lshlrev_b32_e32 v8, 16, v8
	v_and_b32_e32 v7, 0xffff, v7
	v_lshlrev_b32_e32 v6, 16, v6
	v_and_b32_e32 v5, 0xffff, v5
	v_lshlrev_b32_e32 v10, 16, v10
	v_and_b32_e32 v9, 0xffff, v9
	v_or_b32_e32 v3, v4, v3
	v_or_b32_e32 v7, v8, v7
	v_add_nc_u32_e32 v8, v71, v70
	v_or3_b32 v4, v6, v5, 0
	v_or3_b32 v6, v10, v9, 0
	;; [unrolled: 1-line block ×4, first 2 shown]
	ds_store_2addr_b64 v8, v[3:4], v[5:6] offset1:32
	s_wait_dscnt 0x0
	s_barrier_signal -1
	s_barrier_wait -1
	global_inv scope:SCOPE_SE
	s_cbranch_scc1 .LBB23_4
; %bb.3:
	s_load_b32 s4, s[0:1], 0xd0
	s_mov_b32 s5, 0
	s_wait_kmcnt 0x0
	s_mul_i32 s4, s4, s28
	s_wait_alu 0xfffe
	s_add_co_i32 s4, s4, ttmp9
	s_wait_alu 0xfffe
	s_lshl_b64 s[4:5], s[4:5], 2
	s_wait_alu 0xfffe
	s_add_nc_u64 s[4:5], s[14:15], s[4:5]
	s_load_b32 s30, s[4:5], 0x0
.LBB23_4:
	s_and_b32 s4, ttmp7, 0xffff
	v_lshlrev_b32_e32 v68, 2, v33
	v_mbcnt_lo_u32_b32 v72, -1, 0
	s_wait_alu 0xfffe
	s_lshl_b32 s10, s4, 5
	s_wait_kmcnt 0x0
	s_wait_alu 0xfffe
	s_cmp_lt_i32 s10, s30
	s_cbranch_scc1 .LBB23_7
; %bb.5:
	v_mbcnt_lo_u32_b32 v3, -1, 0
	v_mov_b32_e32 v79, 32
	s_delay_alu instid0(VALU_DEP_2)
	v_xor_b32_e32 v84, 16, v3
	v_xor_b32_e32 v83, 8, v3
	;; [unrolled: 1-line block ×5, first 2 shown]
	s_mov_b32 s29, 0
	s_cbranch_execz .LBB23_8
; %bb.6:
	v_dual_mov_b32 v91, 0 :: v_dual_mov_b32 v110, 0
	v_mov_b32_e32 v34, 0xfeffffff
	v_mov_b32_e32 v96, 0
	;; [unrolled: 1-line block ×4, first 2 shown]
	s_branch .LBB23_11
.LBB23_7:
                                        ; implicit-def: $vgpr3
                                        ; implicit-def: $vgpr79
                                        ; implicit-def: $vgpr84
                                        ; implicit-def: $vgpr83
                                        ; implicit-def: $vgpr82
                                        ; implicit-def: $vgpr81
                                        ; implicit-def: $vgpr80
	s_mov_b32 s29, 0
.LBB23_8:
	s_mul_f32 s2, s2, 0x4f7ffffe
	s_clause 0x1
	s_load_b128 s[24:27], s[0:1], 0x98
	s_load_b64 s[38:39], s[0:1], 0x8c
	s_sub_co_i32 s11, 0, s31
	s_mov_b32 s15, s3
	s_cvt_u32_f32 s5, s2
	s_abs_i32 s2, s33
	s_ashr_i32 s21, s40, 31
	s_load_b64 s[40:41], s[0:1], 0xa8
	s_mul_i32 s11, s11, s5
	s_ashr_i32 s20, s33, 31
	s_wait_alu 0xfffe
	s_mul_hi_u32 s11, s5, s11
	v_dual_mov_b32 v110, 0 :: v_dual_lshlrev_b32 v73, 2, v68
	s_wait_alu 0xfffe
	s_add_co_i32 s14, s5, s11
	s_ashr_i32 s5, s37, 1
	s_mul_u64 s[14:15], s[2:3], s[14:15]
	s_xor_b32 s11, s20, s21
	s_mul_i32 s3, s15, s31
	s_add_co_i32 s21, s15, 1
	s_wait_alu 0xfffe
	s_sub_co_i32 s2, s2, s3
	s_wait_kmcnt 0x0
	s_ashr_i32 s14, s26, 2
	s_ashr_i32 s20, s38, 2
	s_wait_alu 0xfffe
	s_sub_co_i32 s3, s2, s31
	s_cmp_ge_u32 s2, s31
	v_mul_lo_u32 v3, s20, v2
	s_cselect_b32 s15, s21, s15
	s_wait_alu 0xfffe
	s_cselect_b32 s2, s3, s2
	s_add_co_i32 s3, s15, 1
	s_wait_alu 0xfffe
	s_cmp_ge_u32 s2, s31
	v_mul_lo_u32 v11, s14, v2
	s_cselect_b32 s15, s3, s15
	s_mul_u64 s[2:3], s[24:25], s[28:29]
	s_mul_u64 s[24:25], s[40:41], s[28:29]
	s_wait_alu 0xfffe
	s_add_nc_u64 s[2:3], s[6:7], s[2:3]
	s_xor_b32 s6, s15, s11
	s_add_nc_u64 s[8:9], s[8:9], s[24:25]
	s_sub_co_i32 s7, s6, s11
	s_and_b32 s21, s38, -4
	s_mul_i32 s6, s7, s39
	s_mul_i32 s24, s7, s27
	s_ashr_i32 s7, s6, 31
	s_wait_alu 0xfffe
	v_add_nc_u32_e32 v5, s21, v3
	s_add_nc_u64 s[6:7], s[2:3], s[6:7]
	s_and_b32 s2, s26, -4
	v_mad_co_u64_u32 v[35:36], null, v1, s5, v[33:34]
	s_wait_alu 0xfffe
	v_dual_mov_b32 v34, 0xfeffffff :: v_dual_add_nc_u32 v19, s2, v11
	v_dual_mov_b32 v96, 0 :: v_dual_add_nc_u32 v7, s21, v5
	v_mad_u32_u24 v74, 0x210, v2, v73
	s_delay_alu instid0(VALU_DEP_3) | instskip(SKIP_1) | instid1(VALU_DEP_4)
	v_add_nc_u32_e32 v23, s2, v19
	v_ashrrev_i32_e32 v4, 31, v3
	v_add_nc_u32_e32 v9, s21, v7
	v_ashrrev_i32_e32 v6, 31, v5
	v_ashrrev_i32_e32 v8, 31, v7
	v_add_nc_u32_e32 v25, s2, v23
	v_lshl_add_u32 v90, v2, 6, 0x4a00
	v_add_nc_u32_e32 v13, s21, v9
	v_ashrrev_i32_e32 v10, 31, v9
	v_lshl_add_u32 v31, v2, 9, v73
	v_add_nc_u32_e32 v1, s2, v25
	v_ashrrev_i32_e32 v12, 31, v11
	v_add_nc_u32_e32 v15, s21, v13
	v_ashrrev_i32_e32 v14, 31, v13
	v_ashrrev_i32_e32 v20, 31, v19
	v_add_nc_u32_e32 v27, s2, v1
	v_ashrrev_i32_e32 v24, 31, v23
	v_add_nc_u32_e32 v17, s21, v15
	v_ashrrev_i32_e32 v16, 31, v15
	v_ashrrev_i32_e32 v26, 31, v25
	;; [unrolled: 5-line block ×3, first 2 shown]
	v_add_nc_u32_e32 v66, s2, v29
	v_ashrrev_i32_e32 v30, 31, v29
	v_ashrrev_i32_e32 v22, 31, v21
	v_lshlrev_b64_e32 v[36:37], 2, v[3:4]
	v_lshlrev_b64_e32 v[38:39], 2, v[5:6]
	v_ashrrev_i32_e32 v67, 31, v66
	v_lshlrev_b64_e32 v[40:41], 2, v[7:8]
	v_lshlrev_b64_e32 v[42:43], 2, v[9:10]
	;; [unrolled: 1-line block ×14, first 2 shown]
	v_dual_mov_b32 v86, 0 :: v_dual_add_nc_u32 v75, 0x840, v74
	v_dual_mov_b32 v79, 32 :: v_dual_add_nc_u32 v76, 0x1080, v74
	;; [unrolled: 1-line block ×4, first 2 shown]
	v_add_nc_u32_e32 v85, 0x2940, v74
	v_add_nc_u32_e32 v87, 0x3180, v74
	;; [unrolled: 1-line block ×3, first 2 shown]
	v_mul_u32_u24_e32 v89, 0x210, v33
	v_lshl_add_u32 v93, v33, 1, v90
	v_add_nc_u32_e32 v94, v0, v73
	v_add_nc_u32_e32 v95, 0x800, v31
	;; [unrolled: 1-line block ×8, first 2 shown]
	v_xor_b32_e32 v84, 16, v72
	v_xor_b32_e32 v83, 8, v72
	;; [unrolled: 1-line block ×5, first 2 shown]
	v_add_nc_u32_e32 v103, 0x800, v70
	v_add_nc_u32_e32 v104, 0x1000, v70
	v_add_nc_u32_e32 v105, 0x1800, v70
	v_add_nc_u32_e32 v106, 0x2000, v70
	v_add_nc_u32_e32 v107, 0x2800, v70
	v_add_nc_u32_e32 v108, 0x3000, v70
	v_add_nc_u32_e32 v109, 0x3800, v70
	s_ashr_i32 s25, s24, 31
	s_ashr_i32 s21, s20, 31
	s_wait_alu 0xfffe
	s_add_nc_u64 s[8:9], s[8:9], s[24:25]
	s_ashr_i32 s15, s14, 31
	s_add_nc_u64 s[24:25], s[0:1], 0xd0
.LBB23_9:                               ; =>This Inner Loop Header: Depth=1
	s_ashr_i32 s11, s10, 31
	v_mov_b32_e32 v115, 0
	s_wait_alu 0xfffe
	s_mul_u64 s[2:3], s[10:11], s[20:21]
	v_dual_mov_b32 v116, v34 :: v_dual_add_nc_u32 v111, s10, v35
	s_wait_alu 0xfffe
	s_lshl_b64 s[2:3], s[2:3], 2
	s_wait_alu 0xfffe
	s_add_nc_u64 s[2:3], s[6:7], s[2:3]
	v_ashrrev_i32_e32 v112, 31, v111
	s_wait_alu 0xfffe
	v_add_co_u32 v0, vcc_lo, s2, v36
	s_wait_alu 0xfffd
	v_add_co_ci_u32_e64 v1, null, s3, v37, vcc_lo
	v_add_co_u32 v2, vcc_lo, s2, v38
	s_wait_alu 0xfffd
	v_add_co_ci_u32_e64 v3, null, s3, v39, vcc_lo
	;; [unrolled: 3-line block ×16, first 2 shown]
	s_clause 0x7
	global_load_b128 v[0:3], v[0:1], off
	global_load_b128 v[4:7], v[4:5], off
	;; [unrolled: 1-line block ×8, first 2 shown]
	v_lshlrev_b64_e32 v[111:112], 1, v[111:112]
	s_mul_u64 s[2:3], s[10:11], s[14:15]
	s_wait_loadcnt 0x7
	ds_store_b128 v74, v[0:3]
	s_wait_loadcnt 0x6
	ds_store_b128 v75, v[4:7]
	;; [unrolled: 2-line block ×8, first 2 shown]
	s_wait_dscnt 0x0
	s_barrier_signal -1
	s_barrier_wait -1
	global_inv scope:SCOPE_SE
	ds_load_b128 v[0:3], v89
	ds_load_b128 v[4:7], v71
	s_wait_dscnt 0x0
	;;#ASMSTART
	v_dot2_f32_f16 v115, v0, v4, v115
	;;#ASMEND
	;;#ASMSTART
	v_dot2_f32_f16 v115, v1, v5, v115
	;;#ASMEND
	;;#ASMSTART
	v_dot2_f32_f16 v115, v2, v6, v115
	;;#ASMEND
	;;#ASMSTART
	v_dot2_f32_f16 v115, v3, v7, v115
	;;#ASMEND
	ds_load_b128 v[0:3], v89 offset:16
	ds_load_b128 v[4:7], v71 offset:16
	s_wait_dscnt 0x0
	;;#ASMSTART
	v_dot2_f32_f16 v115, v0, v4, v115
	;;#ASMEND
	;;#ASMSTART
	v_dot2_f32_f16 v115, v1, v5, v115
	;;#ASMEND
	;;#ASMSTART
	v_dot2_f32_f16 v115, v2, v6, v115
	;;#ASMEND
	;;#ASMSTART
	v_dot2_f32_f16 v115, v3, v7, v115
	;;#ASMEND
	ds_load_b128 v[0:3], v89 offset:32
	ds_load_b128 v[4:7], v71 offset:32
	s_wait_dscnt 0x0
	;;#ASMSTART
	v_dot2_f32_f16 v115, v0, v4, v115
	;;#ASMEND
	;;#ASMSTART
	v_dot2_f32_f16 v115, v1, v5, v115
	;;#ASMEND
	;;#ASMSTART
	v_dot2_f32_f16 v115, v2, v6, v115
	;;#ASMEND
	;;#ASMSTART
	v_dot2_f32_f16 v115, v3, v7, v115
	;;#ASMEND
	ds_load_b128 v[0:3], v89 offset:48
	ds_load_b128 v[4:7], v71 offset:48
	s_wait_dscnt 0x0
	;;#ASMSTART
	v_dot2_f32_f16 v115, v0, v4, v115
	;;#ASMEND
	;;#ASMSTART
	v_dot2_f32_f16 v115, v1, v5, v115
	;;#ASMEND
	;;#ASMSTART
	v_dot2_f32_f16 v115, v2, v6, v115
	;;#ASMEND
	;;#ASMSTART
	v_dot2_f32_f16 v115, v3, v7, v115
	;;#ASMEND
	ds_load_b128 v[0:3], v89 offset:64
	ds_load_b128 v[4:7], v71 offset:64
	s_wait_dscnt 0x0
	;;#ASMSTART
	v_dot2_f32_f16 v115, v0, v4, v115
	;;#ASMEND
	;;#ASMSTART
	v_dot2_f32_f16 v115, v1, v5, v115
	;;#ASMEND
	;;#ASMSTART
	v_dot2_f32_f16 v115, v2, v6, v115
	;;#ASMEND
	;;#ASMSTART
	v_dot2_f32_f16 v115, v3, v7, v115
	;;#ASMEND
	ds_load_b128 v[0:3], v89 offset:80
	ds_load_b128 v[4:7], v71 offset:80
	s_wait_dscnt 0x0
	;;#ASMSTART
	v_dot2_f32_f16 v115, v0, v4, v115
	;;#ASMEND
	;;#ASMSTART
	v_dot2_f32_f16 v115, v1, v5, v115
	;;#ASMEND
	;;#ASMSTART
	v_dot2_f32_f16 v115, v2, v6, v115
	;;#ASMEND
	;;#ASMSTART
	v_dot2_f32_f16 v115, v3, v7, v115
	;;#ASMEND
	ds_load_b128 v[0:3], v89 offset:96
	ds_load_b128 v[4:7], v71 offset:96
	s_wait_dscnt 0x0
	;;#ASMSTART
	v_dot2_f32_f16 v115, v0, v4, v115
	;;#ASMEND
	;;#ASMSTART
	v_dot2_f32_f16 v115, v1, v5, v115
	;;#ASMEND
	;;#ASMSTART
	v_dot2_f32_f16 v115, v2, v6, v115
	;;#ASMEND
	;;#ASMSTART
	v_dot2_f32_f16 v115, v3, v7, v115
	;;#ASMEND
	ds_load_b128 v[0:3], v89 offset:112
	ds_load_b128 v[4:7], v71 offset:112
	s_wait_dscnt 0x0
	;;#ASMSTART
	v_dot2_f32_f16 v115, v0, v4, v115
	;;#ASMEND
	;;#ASMSTART
	v_dot2_f32_f16 v115, v1, v5, v115
	;;#ASMEND
	;;#ASMSTART
	v_dot2_f32_f16 v115, v2, v6, v115
	;;#ASMEND
	;;#ASMSTART
	v_dot2_f32_f16 v115, v3, v7, v115
	;;#ASMEND
	ds_load_b128 v[0:3], v89 offset:128
	ds_load_b128 v[4:7], v71 offset:128
	s_wait_dscnt 0x0
	;;#ASMSTART
	v_dot2_f32_f16 v115, v0, v4, v115
	;;#ASMEND
	;;#ASMSTART
	v_dot2_f32_f16 v115, v1, v5, v115
	;;#ASMEND
	;;#ASMSTART
	v_dot2_f32_f16 v115, v2, v6, v115
	;;#ASMEND
	;;#ASMSTART
	v_dot2_f32_f16 v115, v3, v7, v115
	;;#ASMEND
	ds_load_b128 v[0:3], v89 offset:144
	ds_load_b128 v[4:7], v71 offset:144
	s_wait_dscnt 0x0
	;;#ASMSTART
	v_dot2_f32_f16 v115, v0, v4, v115
	;;#ASMEND
	;;#ASMSTART
	v_dot2_f32_f16 v115, v1, v5, v115
	;;#ASMEND
	;;#ASMSTART
	v_dot2_f32_f16 v115, v2, v6, v115
	;;#ASMEND
	;;#ASMSTART
	v_dot2_f32_f16 v115, v3, v7, v115
	;;#ASMEND
	ds_load_b128 v[0:3], v89 offset:160
	ds_load_b128 v[4:7], v71 offset:160
	s_wait_dscnt 0x0
	;;#ASMSTART
	v_dot2_f32_f16 v115, v0, v4, v115
	;;#ASMEND
	;;#ASMSTART
	v_dot2_f32_f16 v115, v1, v5, v115
	;;#ASMEND
	;;#ASMSTART
	v_dot2_f32_f16 v115, v2, v6, v115
	;;#ASMEND
	;;#ASMSTART
	v_dot2_f32_f16 v115, v3, v7, v115
	;;#ASMEND
	ds_load_b128 v[0:3], v89 offset:176
	ds_load_b128 v[4:7], v71 offset:176
	s_wait_dscnt 0x0
	;;#ASMSTART
	v_dot2_f32_f16 v115, v0, v4, v115
	;;#ASMEND
	;;#ASMSTART
	v_dot2_f32_f16 v115, v1, v5, v115
	;;#ASMEND
	;;#ASMSTART
	v_dot2_f32_f16 v115, v2, v6, v115
	;;#ASMEND
	;;#ASMSTART
	v_dot2_f32_f16 v115, v3, v7, v115
	;;#ASMEND
	ds_load_b128 v[0:3], v89 offset:192
	ds_load_b128 v[4:7], v71 offset:192
	s_wait_dscnt 0x0
	;;#ASMSTART
	v_dot2_f32_f16 v115, v0, v4, v115
	;;#ASMEND
	;;#ASMSTART
	v_dot2_f32_f16 v115, v1, v5, v115
	;;#ASMEND
	;;#ASMSTART
	v_dot2_f32_f16 v115, v2, v6, v115
	;;#ASMEND
	;;#ASMSTART
	v_dot2_f32_f16 v115, v3, v7, v115
	;;#ASMEND
	ds_load_b128 v[0:3], v89 offset:208
	ds_load_b128 v[4:7], v71 offset:208
	s_wait_dscnt 0x0
	;;#ASMSTART
	v_dot2_f32_f16 v115, v0, v4, v115
	;;#ASMEND
	;;#ASMSTART
	v_dot2_f32_f16 v115, v1, v5, v115
	;;#ASMEND
	;;#ASMSTART
	v_dot2_f32_f16 v115, v2, v6, v115
	;;#ASMEND
	;;#ASMSTART
	v_dot2_f32_f16 v115, v3, v7, v115
	;;#ASMEND
	ds_load_b128 v[0:3], v89 offset:224
	ds_load_b128 v[4:7], v71 offset:224
	s_wait_dscnt 0x0
	;;#ASMSTART
	v_dot2_f32_f16 v115, v0, v4, v115
	;;#ASMEND
	;;#ASMSTART
	v_dot2_f32_f16 v115, v1, v5, v115
	;;#ASMEND
	;;#ASMSTART
	v_dot2_f32_f16 v115, v2, v6, v115
	;;#ASMEND
	;;#ASMSTART
	v_dot2_f32_f16 v115, v3, v7, v115
	;;#ASMEND
	ds_load_b128 v[0:3], v89 offset:240
	ds_load_b128 v[4:7], v71 offset:240
	s_wait_dscnt 0x0
	;;#ASMSTART
	v_dot2_f32_f16 v115, v0, v4, v115
	;;#ASMEND
	;;#ASMSTART
	v_dot2_f32_f16 v115, v1, v5, v115
	;;#ASMEND
	;;#ASMSTART
	v_dot2_f32_f16 v115, v2, v6, v115
	;;#ASMEND
	;;#ASMSTART
	v_dot2_f32_f16 v115, v3, v7, v115
	;;#ASMEND
	ds_load_b128 v[0:3], v89 offset:256
	ds_load_b128 v[4:7], v71 offset:256
	s_wait_dscnt 0x0
	;;#ASMSTART
	v_dot2_f32_f16 v115, v0, v4, v115
	;;#ASMEND
	;;#ASMSTART
	v_dot2_f32_f16 v115, v1, v5, v115
	;;#ASMEND
	;;#ASMSTART
	v_dot2_f32_f16 v115, v2, v6, v115
	;;#ASMEND
	;;#ASMSTART
	v_dot2_f32_f16 v115, v3, v7, v115
	;;#ASMEND
	ds_load_b128 v[0:3], v89 offset:272
	ds_load_b128 v[4:7], v71 offset:272
	s_wait_dscnt 0x0
	;;#ASMSTART
	v_dot2_f32_f16 v115, v0, v4, v115
	;;#ASMEND
	;;#ASMSTART
	v_dot2_f32_f16 v115, v1, v5, v115
	;;#ASMEND
	;;#ASMSTART
	v_dot2_f32_f16 v115, v2, v6, v115
	;;#ASMEND
	;;#ASMSTART
	v_dot2_f32_f16 v115, v3, v7, v115
	;;#ASMEND
	ds_load_b128 v[0:3], v89 offset:288
	ds_load_b128 v[4:7], v71 offset:288
	s_wait_dscnt 0x0
	;;#ASMSTART
	v_dot2_f32_f16 v115, v0, v4, v115
	;;#ASMEND
	;;#ASMSTART
	v_dot2_f32_f16 v115, v1, v5, v115
	;;#ASMEND
	;;#ASMSTART
	v_dot2_f32_f16 v115, v2, v6, v115
	;;#ASMEND
	;;#ASMSTART
	v_dot2_f32_f16 v115, v3, v7, v115
	;;#ASMEND
	ds_load_b128 v[0:3], v89 offset:304
	ds_load_b128 v[4:7], v71 offset:304
	s_wait_dscnt 0x0
	;;#ASMSTART
	v_dot2_f32_f16 v115, v0, v4, v115
	;;#ASMEND
	;;#ASMSTART
	v_dot2_f32_f16 v115, v1, v5, v115
	;;#ASMEND
	;;#ASMSTART
	v_dot2_f32_f16 v115, v2, v6, v115
	;;#ASMEND
	;;#ASMSTART
	v_dot2_f32_f16 v115, v3, v7, v115
	;;#ASMEND
	ds_load_b128 v[0:3], v89 offset:320
	ds_load_b128 v[4:7], v71 offset:320
	s_wait_dscnt 0x0
	;;#ASMSTART
	v_dot2_f32_f16 v115, v0, v4, v115
	;;#ASMEND
	;;#ASMSTART
	v_dot2_f32_f16 v115, v1, v5, v115
	;;#ASMEND
	;;#ASMSTART
	v_dot2_f32_f16 v115, v2, v6, v115
	;;#ASMEND
	;;#ASMSTART
	v_dot2_f32_f16 v115, v3, v7, v115
	;;#ASMEND
	ds_load_b128 v[0:3], v89 offset:336
	ds_load_b128 v[4:7], v71 offset:336
	s_wait_dscnt 0x0
	;;#ASMSTART
	v_dot2_f32_f16 v115, v0, v4, v115
	;;#ASMEND
	;;#ASMSTART
	v_dot2_f32_f16 v115, v1, v5, v115
	;;#ASMEND
	;;#ASMSTART
	v_dot2_f32_f16 v115, v2, v6, v115
	;;#ASMEND
	;;#ASMSTART
	v_dot2_f32_f16 v115, v3, v7, v115
	;;#ASMEND
	ds_load_b128 v[0:3], v89 offset:352
	ds_load_b128 v[4:7], v71 offset:352
	s_wait_dscnt 0x0
	;;#ASMSTART
	v_dot2_f32_f16 v115, v0, v4, v115
	;;#ASMEND
	;;#ASMSTART
	v_dot2_f32_f16 v115, v1, v5, v115
	;;#ASMEND
	;;#ASMSTART
	v_dot2_f32_f16 v115, v2, v6, v115
	;;#ASMEND
	;;#ASMSTART
	v_dot2_f32_f16 v115, v3, v7, v115
	;;#ASMEND
	ds_load_b128 v[0:3], v89 offset:368
	ds_load_b128 v[4:7], v71 offset:368
	s_wait_dscnt 0x0
	;;#ASMSTART
	v_dot2_f32_f16 v115, v0, v4, v115
	;;#ASMEND
	;;#ASMSTART
	v_dot2_f32_f16 v115, v1, v5, v115
	;;#ASMEND
	;;#ASMSTART
	v_dot2_f32_f16 v115, v2, v6, v115
	;;#ASMEND
	;;#ASMSTART
	v_dot2_f32_f16 v115, v3, v7, v115
	;;#ASMEND
	ds_load_b128 v[0:3], v89 offset:384
	ds_load_b128 v[4:7], v71 offset:384
	s_wait_dscnt 0x0
	;;#ASMSTART
	v_dot2_f32_f16 v115, v0, v4, v115
	;;#ASMEND
	;;#ASMSTART
	v_dot2_f32_f16 v115, v1, v5, v115
	;;#ASMEND
	;;#ASMSTART
	v_dot2_f32_f16 v115, v2, v6, v115
	;;#ASMEND
	;;#ASMSTART
	v_dot2_f32_f16 v115, v3, v7, v115
	;;#ASMEND
	ds_load_b128 v[0:3], v89 offset:400
	ds_load_b128 v[4:7], v71 offset:400
	s_wait_dscnt 0x0
	;;#ASMSTART
	v_dot2_f32_f16 v115, v0, v4, v115
	;;#ASMEND
	;;#ASMSTART
	v_dot2_f32_f16 v115, v1, v5, v115
	;;#ASMEND
	;;#ASMSTART
	v_dot2_f32_f16 v115, v2, v6, v115
	;;#ASMEND
	;;#ASMSTART
	v_dot2_f32_f16 v115, v3, v7, v115
	;;#ASMEND
	ds_load_b128 v[0:3], v89 offset:416
	ds_load_b128 v[4:7], v71 offset:416
	s_wait_dscnt 0x0
	;;#ASMSTART
	v_dot2_f32_f16 v115, v0, v4, v115
	;;#ASMEND
	;;#ASMSTART
	v_dot2_f32_f16 v115, v1, v5, v115
	;;#ASMEND
	;;#ASMSTART
	v_dot2_f32_f16 v115, v2, v6, v115
	;;#ASMEND
	;;#ASMSTART
	v_dot2_f32_f16 v115, v3, v7, v115
	;;#ASMEND
	ds_load_b128 v[0:3], v89 offset:432
	ds_load_b128 v[4:7], v71 offset:432
	s_wait_dscnt 0x0
	;;#ASMSTART
	v_dot2_f32_f16 v115, v0, v4, v115
	;;#ASMEND
	;;#ASMSTART
	v_dot2_f32_f16 v115, v1, v5, v115
	;;#ASMEND
	;;#ASMSTART
	v_dot2_f32_f16 v115, v2, v6, v115
	;;#ASMEND
	;;#ASMSTART
	v_dot2_f32_f16 v115, v3, v7, v115
	;;#ASMEND
	ds_load_b128 v[0:3], v89 offset:448
	ds_load_b128 v[4:7], v71 offset:448
	s_wait_dscnt 0x0
	;;#ASMSTART
	v_dot2_f32_f16 v115, v0, v4, v115
	;;#ASMEND
	;;#ASMSTART
	v_dot2_f32_f16 v115, v1, v5, v115
	;;#ASMEND
	;;#ASMSTART
	v_dot2_f32_f16 v115, v2, v6, v115
	;;#ASMEND
	;;#ASMSTART
	v_dot2_f32_f16 v115, v3, v7, v115
	;;#ASMEND
	ds_load_b128 v[0:3], v89 offset:464
	ds_load_b128 v[4:7], v71 offset:464
	s_wait_dscnt 0x0
	;;#ASMSTART
	v_dot2_f32_f16 v115, v0, v4, v115
	;;#ASMEND
	;;#ASMSTART
	v_dot2_f32_f16 v115, v1, v5, v115
	;;#ASMEND
	;;#ASMSTART
	v_dot2_f32_f16 v115, v2, v6, v115
	;;#ASMEND
	;;#ASMSTART
	v_dot2_f32_f16 v115, v3, v7, v115
	;;#ASMEND
	ds_load_b128 v[0:3], v89 offset:480
	ds_load_b128 v[4:7], v71 offset:480
	s_wait_dscnt 0x0
	;;#ASMSTART
	v_dot2_f32_f16 v115, v0, v4, v115
	;;#ASMEND
	;;#ASMSTART
	v_dot2_f32_f16 v115, v1, v5, v115
	;;#ASMEND
	;;#ASMSTART
	v_dot2_f32_f16 v115, v2, v6, v115
	;;#ASMEND
	;;#ASMSTART
	v_dot2_f32_f16 v115, v3, v7, v115
	;;#ASMEND
	ds_load_b128 v[0:3], v89 offset:496
	ds_load_b128 v[4:7], v71 offset:496
	v_add_co_u32 v111, vcc_lo, s34, v111
	s_wait_alu 0xfffd
	v_add_co_ci_u32_e64 v112, null, s35, v112, vcc_lo
	s_wait_dscnt 0x0
	;;#ASMSTART
	v_dot2_f32_f16 v115, v0, v4, v115
	;;#ASMEND
	;;#ASMSTART
	v_dot2_f32_f16 v115, v1, v5, v115
	;;#ASMEND
	;; [unrolled: 3-line block ×4, first 2 shown]
	global_load_u16 v31, v[111:112], off
	v_cmp_gt_i32_e32 vcc_lo, 32, v84
	v_mov_b32_e32 v0, v110
	s_wait_alu 0xfffe
	s_lshl_b64 s[2:3], s[2:3], 2
	s_wait_loadcnt 0x0
	s_wait_alu 0xfffe
	s_add_nc_u64 s[2:3], s[8:9], s[2:3]
	s_wait_alu 0xfffd
	v_cndmask_b32_e32 v1, v72, v84, vcc_lo
	v_cmp_gt_i32_e32 vcc_lo, 32, v83
	s_barrier_signal -1
	s_barrier_wait -1
	global_inv scope:SCOPE_SE
	v_lshlrev_b32_e32 v34, 2, v1
	s_wait_alu 0xfffd
	v_cndmask_b32_e32 v2, v72, v83, vcc_lo
	v_cmp_gt_i32_e32 vcc_lo, 32, v82
	s_delay_alu instid0(VALU_DEP_2) | instskip(SKIP_4) | instid1(VALU_DEP_2)
	v_lshlrev_b32_e32 v110, 2, v2
	s_wait_alu 0xfffd
	v_cndmask_b32_e32 v3, v72, v82, vcc_lo
	v_cmp_gt_i32_e32 vcc_lo, 32, v81
	s_wait_alu 0xfffd
	v_dual_cndmask_b32 v4, v72, v81 :: v_dual_lshlrev_b32 v117, 2, v3
	v_cmp_gt_i32_e32 vcc_lo, 32, v80
	s_delay_alu instid0(VALU_DEP_2)
	v_lshlrev_b32_e32 v118, 2, v4
	s_wait_alu 0xfffd
	v_cndmask_b32_e32 v5, v72, v80, vcc_lo
	s_wait_alu 0xfffe
	v_add_co_u32 v1, vcc_lo, s2, v52
	s_wait_alu 0xfffd
	v_add_co_ci_u32_e64 v2, null, s3, v53, vcc_lo
	v_add_co_u32 v3, vcc_lo, s2, v54
	s_wait_alu 0xfffd
	v_add_co_ci_u32_e64 v4, null, s3, v55, vcc_lo
	;; [unrolled: 3-line block ×8, first 2 shown]
	v_add_co_u32 v1, vcc_lo, v1, v73
	v_lshlrev_b32_e32 v119, 2, v5
	s_wait_alu 0xfffd
	v_add_co_ci_u32_e64 v2, null, 0, v2, vcc_lo
	v_add_co_u32 v5, vcc_lo, v3, v73
	s_wait_alu 0xfffd
	v_add_co_ci_u32_e64 v6, null, 0, v4, vcc_lo
	v_add_co_u32 v9, vcc_lo, v7, v73
	;; [unrolled: 3-line block ×7, first 2 shown]
	s_wait_alu 0xfffd
	v_add_co_ci_u32_e64 v30, null, 0, v28, vcc_lo
	s_clause 0x7
	global_load_b128 v[1:4], v[1:2], off
	global_load_b128 v[5:8], v[5:6], off
	;; [unrolled: 1-line block ×8, first 2 shown]
	v_max_num_f32_e32 v29, v116, v116
	v_cvt_f32_f16_e32 v30, v31
	s_delay_alu instid0(VALU_DEP_1) | instskip(NEXT) | instid1(VALU_DEP_1)
	v_add_f32_e32 v30, v115, v30
	v_add_f32_e32 v31, 0x40051340, v30
	s_delay_alu instid0(VALU_DEP_1) | instskip(SKIP_3) | instid1(VALU_DEP_1)
	v_max_num_f32_e32 v29, v29, v31
	ds_bpermute_b32 v31, v34, v29
	s_wait_dscnt 0x0
	v_max_num_f32_e32 v31, v31, v31
	v_max_num_f32_e32 v29, v29, v31
	ds_bpermute_b32 v31, v110, v29
	s_wait_dscnt 0x0
	v_max_num_f32_e32 v31, v31, v31
	s_delay_alu instid0(VALU_DEP_1) | instskip(SKIP_3) | instid1(VALU_DEP_1)
	v_max_num_f32_e32 v29, v29, v31
	ds_bpermute_b32 v31, v117, v29
	s_wait_dscnt 0x0
	v_max_num_f32_e32 v31, v31, v31
	v_max_num_f32_e32 v29, v29, v31
	ds_bpermute_b32 v31, v118, v29
	s_wait_dscnt 0x0
	v_max_num_f32_e32 v31, v31, v31
	s_delay_alu instid0(VALU_DEP_1) | instskip(SKIP_3) | instid1(VALU_DEP_1)
	v_max_num_f32_e32 v29, v29, v31
	ds_bpermute_b32 v31, v119, v29
	s_wait_dscnt 0x0
	v_max_num_f32_e32 v31, v31, v31
	v_max_num_f32_e32 v34, v29, v31
	s_delay_alu instid0(VALU_DEP_1) | instskip(NEXT) | instid1(VALU_DEP_1)
	v_sub_f32_e32 v29, v30, v34
	v_dual_mul_f32 v31, 0x3fb8aa3b, v29 :: v_dual_sub_f32 v30, v116, v34
	v_cmp_ngt_f32_e32 vcc_lo, 0xc2ce8ed0, v29
	s_delay_alu instid0(VALU_DEP_2) | instskip(NEXT) | instid1(VALU_DEP_3)
	v_fma_f32 v115, 0x3fb8aa3b, v29, -v31
	v_mul_f32_e32 v110, 0x3fb8aa3b, v30
	v_rndne_f32_e32 v118, v31
	v_cmp_ngt_f32_e64 s2, 0xc2ce8ed0, v30
	s_delay_alu instid0(VALU_DEP_4) | instskip(NEXT) | instid1(VALU_DEP_4)
	v_fmac_f32_e32 v115, 0x32a5705f, v29
	v_fma_f32 v116, 0x3fb8aa3b, v30, -v110
	v_rndne_f32_e32 v117, v110
	v_sub_f32_e32 v31, v31, v118
	v_cvt_i32_f32_e32 v118, v118
	s_delay_alu instid0(VALU_DEP_4) | instskip(NEXT) | instid1(VALU_DEP_3)
	v_fmac_f32_e32 v116, 0x32a5705f, v30
	v_dual_sub_f32 v110, v110, v117 :: v_dual_add_f32 v31, v31, v115
	v_cvt_i32_f32_e32 v117, v117
	s_delay_alu instid0(VALU_DEP_2) | instskip(NEXT) | instid1(VALU_DEP_3)
	v_add_f32_e32 v110, v110, v116
	v_exp_f32_e32 v31, v31
	s_delay_alu instid0(VALU_DEP_1) | instskip(NEXT) | instid1(TRANS32_DEP_2)
	v_exp_f32_e32 v110, v110
	v_ldexp_f32 v31, v31, v118
	s_delay_alu instid0(TRANS32_DEP_1) | instskip(SKIP_1) | instid1(VALU_DEP_2)
	v_ldexp_f32 v110, v110, v117
	s_wait_alu 0xfffd
	v_cndmask_b32_e32 v31, 0, v31, vcc_lo
	v_cmp_nlt_f32_e32 vcc_lo, 0x42b17218, v29
	s_wait_alu 0xf1ff
	v_cndmask_b32_e64 v110, 0, v110, s2
	v_cmp_nlt_f32_e64 s2, 0x42b17218, v30
	s_wait_alu 0xf1ff
	s_delay_alu instid0(VALU_DEP_1) | instskip(SKIP_2) | instid1(VALU_DEP_2)
	v_cndmask_b32_e64 v29, 0x7f800000, v110, s2
	s_wait_alu 0xfffd
	v_cndmask_b32_e32 v110, 0x7f800000, v31, vcc_lo
	v_cvt_f16_f32_e32 v30, v29
	s_delay_alu instid0(VALU_DEP_2)
	v_cvt_f16_f32_e32 v31, v110
	ds_store_b16 v93, v31
	s_wait_loadcnt 0x7
	ds_store_b128 v94, v[1:4]
	s_wait_loadcnt 0x6
	ds_store_b128 v95, v[5:8]
	;; [unrolled: 2-line block ×8, first 2 shown]
	v_and_b32_e32 v30, 0xffff, v30
	s_wait_dscnt 0x0
	s_barrier_signal -1
	s_barrier_wait -1
	global_inv scope:SCOPE_SE
	ds_load_2addr_b64 v[1:4], v70 offset1:32
	ds_load_b128 v[5:8], v90
	ds_load_b128 v[9:12], v90 offset:16
	ds_load_b128 v[13:16], v90 offset:32
	ds_load_b128 v[17:20], v90 offset:48
	ds_load_2addr_b64 v[21:24], v70 offset0:64 offset1:96
	ds_load_2addr_b64 v[25:28], v70 offset0:128 offset1:160
	ds_load_2addr_b64 v[111:114], v70 offset0:192 offset1:224
	ds_load_2addr_b64 v[115:118], v103 offset1:32
	ds_load_2addr_b64 v[119:122], v103 offset0:64 offset1:96
	ds_load_2addr_b64 v[123:126], v103 offset0:128 offset1:160
	ds_load_2addr_b64 v[127:130], v103 offset0:192 offset1:224
	ds_load_2addr_b64 v[131:134], v104 offset1:32
	;; [unrolled: 4-line block ×7, first 2 shown]
	ds_load_2addr_b64 v[215:218], v109 offset0:64 offset1:96
	s_wait_dscnt 0x20
	v_and_b32_e32 v222, 0xffff, v5
	v_mul_u32_u24_e32 v30, 0x10001, v30
	v_lshrrev_b32_e32 v31, 16, v5
	v_dual_fmac_f32 v110, v0, v29 :: v_dual_and_b32 v223, 0xffff, v6
	s_delay_alu instid0(VALU_DEP_4) | instskip(NEXT) | instid1(VALU_DEP_4)
	v_mul_u32_u24_e32 v222, 0x10001, v222
	v_pk_mul_f16 v92, v92, v30
	v_pk_mul_f16 v86, v86, v30
	v_mul_u32_u24_e32 v0, 0x10001, v31
	v_lshrrev_b32_e32 v219, 16, v6
	v_pk_mul_f16 v238, v1, v222
	v_pk_fma_f16 v92, v3, v222, v92
	v_pk_fma_f16 v86, v4, v222, v86
	v_pk_mul_f16 v222, v2, v222
	v_mul_u32_u24_e32 v31, 0x10001, v223
	v_pk_fma_f16 v29, v91, v30, v238
	s_wait_dscnt 0x1c
	v_pk_fma_f16 v23, v23, v0, v92
	v_pk_fma_f16 v24, v24, v0, v86
	;; [unrolled: 1-line block ×3, first 2 shown]
	v_and_b32_e32 v224, 0xffff, v7
	v_pk_fma_f16 v21, v21, v0, v29
	s_wait_dscnt 0x1b
	v_pk_fma_f16 v23, v27, v31, v23
	v_pk_fma_f16 v24, v28, v31, v24
	;; [unrolled: 1-line block ×3, first 2 shown]
	v_mul_u32_u24_e32 v22, 0x10001, v219
	v_pk_fma_f16 v21, v25, v31, v21
	v_lshrrev_b32_e32 v220, 16, v7
	v_mul_u32_u24_e32 v25, 0x10001, v224
	v_pk_fma_f16 v0, v26, v31, v0
	s_wait_dscnt 0x1a
	v_pk_fma_f16 v23, v113, v22, v23
	v_pk_fma_f16 v24, v114, v22, v24
	;; [unrolled: 1-line block ×3, first 2 shown]
	v_and_b32_e32 v225, 0xffff, v8
	v_pk_fma_f16 v0, v112, v22, v0
	v_mul_u32_u24_e32 v22, 0x10001, v220
	s_wait_dscnt 0x19
	v_pk_fma_f16 v23, v117, v25, v23
	v_pk_fma_f16 v24, v118, v25, v24
	v_pk_fma_f16 v21, v115, v25, v21
	v_pk_fma_f16 v0, v116, v25, v0
	v_lshrrev_b32_e32 v221, 16, v8
	v_mul_u32_u24_e32 v25, 0x10001, v225
	s_wait_dscnt 0x18
	v_pk_fma_f16 v23, v121, v22, v23
	v_pk_fma_f16 v24, v122, v22, v24
	v_pk_fma_f16 v21, v119, v22, v21
	v_pk_fma_f16 v0, v120, v22, v0
	v_lshrrev_b32_e32 v226, 16, v9
	v_and_b32_e32 v9, 0xffff, v9
	v_mul_u32_u24_e32 v22, 0x10001, v221
	s_wait_dscnt 0x17
	v_pk_fma_f16 v23, v125, v25, v23
	v_pk_fma_f16 v24, v126, v25, v24
	v_pk_fma_f16 v21, v123, v25, v21
	v_pk_fma_f16 v0, v124, v25, v0
	v_mul_u32_u24_e32 v9, 0x10001, v9
	s_wait_dscnt 0x16
	v_pk_fma_f16 v23, v129, v22, v23
	v_pk_fma_f16 v24, v130, v22, v24
	v_pk_fma_f16 v21, v127, v22, v21
	v_pk_fma_f16 v0, v128, v22, v0
	v_lshrrev_b32_e32 v227, 16, v10
	v_and_b32_e32 v10, 0xffff, v10
	v_mul_u32_u24_e32 v22, 0x10001, v226
	s_wait_dscnt 0x15
	v_pk_fma_f16 v23, v133, v9, v23
	v_pk_fma_f16 v24, v134, v9, v24
	v_pk_fma_f16 v21, v131, v9, v21
	v_pk_fma_f16 v0, v132, v9, v0
	;; [unrolled: 14-line block ×10, first 2 shown]
	v_mul_u32_u24_e32 v9, 0x10001, v18
	s_wait_dscnt 0x4
	v_pk_fma_f16 v10, v201, v13, v10
	v_pk_fma_f16 v11, v202, v13, v11
	;; [unrolled: 1-line block ×4, first 2 shown]
	v_lshrrev_b32_e32 v236, 16, v19
	v_and_b32_e32 v19, 0xffff, v19
	ds_load_2addr_b64 v[5:8], v109 offset0:128 offset1:160
	v_mul_u32_u24_e32 v13, 0x10001, v235
	s_wait_dscnt 0x4
	v_pk_fma_f16 v10, v205, v9, v10
	v_pk_fma_f16 v11, v206, v9, v11
	;; [unrolled: 1-line block ×4, first 2 shown]
	ds_load_2addr_b64 v[1:4], v109 offset0:192 offset1:224
	s_wait_loadcnt_dscnt 0x0
	s_barrier_signal -1
	s_barrier_wait -1
	global_inv scope:SCOPE_SE
	s_load_b32 s2, s[24:25], 0x4
	v_mul_u32_u24_e32 v9, 0x10001, v19
	v_pk_fma_f16 v10, v209, v13, v10
	v_pk_fma_f16 v11, v210, v13, v11
	;; [unrolled: 1-line block ×4, first 2 shown]
	v_lshrrev_b32_e32 v237, 16, v20
	v_and_b32_e32 v20, 0xffff, v20
	v_mul_u32_u24_e32 v13, 0x10001, v236
	v_pk_fma_f16 v10, v213, v9, v10
	v_pk_fma_f16 v11, v214, v9, v11
	v_pk_fma_f16 v12, v211, v9, v12
	v_pk_fma_f16 v0, v212, v9, v0
	v_mul_u32_u24_e32 v9, 0x10001, v20
	v_pk_fma_f16 v10, v217, v13, v10
	v_pk_fma_f16 v11, v218, v13, v11
	v_pk_fma_f16 v12, v215, v13, v12
	v_pk_fma_f16 v0, v216, v13, v0
	;; [unrolled: 5-line block ×3, first 2 shown]
	s_wait_kmcnt 0x0
	s_lshl_b32 s2, s2, 5
	v_pk_fma_f16 v92, v3, v13, v7
	v_pk_fma_f16 v86, v4, v13, v8
	;; [unrolled: 1-line block ×4, first 2 shown]
	s_wait_alu 0xfffe
	s_add_co_i32 s10, s2, s10
	s_wait_alu 0xfffe
	s_cmp_ge_i32 s10, s30
	s_cbranch_scc0 .LBB23_9
; %bb.10:
	v_mov_b32_e32 v3, v72
.LBB23_11:
	v_cmp_lt_i32_e32 vcc_lo, v84, v79
	s_cmp_lg_u64 s[12:13], 0
	s_cselect_b32 s2, -1, 0
	s_cmp_eq_u32 s4, 0
	s_wait_alu 0xfffd
	v_cndmask_b32_e32 v0, v3, v84, vcc_lo
	v_cmp_lt_i32_e32 vcc_lo, v83, v79
	s_cselect_b32 s3, -1, 0
	s_wait_alu 0xfffe
	s_and_b32 s2, s3, s2
	s_wait_alu 0xfffd
	v_cndmask_b32_e32 v1, v3, v83, vcc_lo
	v_cmp_lt_i32_e32 vcc_lo, v82, v79
	s_delay_alu instid0(VALU_DEP_2)
	v_lshlrev_b32_e32 v1, 2, v1
	v_lshlrev_b32_e32 v0, 2, v0
	s_wait_alu 0xfffd
	v_cndmask_b32_e32 v2, v3, v82, vcc_lo
	v_cmp_lt_i32_e32 vcc_lo, v81, v79
	ds_bpermute_b32 v0, v0, v110
	v_lshlrev_b32_e32 v2, 2, v2
	s_wait_dscnt 0x0
	v_add_f32_e32 v0, v110, v0
	ds_bpermute_b32 v1, v1, v0
	s_wait_dscnt 0x0
	v_add_f32_e32 v0, v0, v1
	ds_bpermute_b32 v1, v2, v0
	s_wait_alu 0xfffd
	v_cndmask_b32_e32 v2, v3, v81, vcc_lo
	v_cmp_lt_i32_e32 vcc_lo, v80, v79
	s_delay_alu instid0(VALU_DEP_2)
	v_lshlrev_b32_e32 v2, 2, v2
	s_wait_dscnt 0x0
	v_add_f32_e32 v0, v0, v1
	ds_bpermute_b32 v1, v2, v0
	s_wait_alu 0xfffd
	v_cndmask_b32_e32 v2, v3, v80, vcc_lo
	s_wait_alu 0xfffe
	s_and_b32 vcc_lo, exec_lo, s2
	s_wait_dscnt 0x0
	s_delay_alu instid0(VALU_DEP_1)
	v_dual_add_f32 v1, v0, v1 :: v_dual_lshlrev_b32 v2, 2, v2
	v_add_nc_u32_e32 v0, s33, v69
	ds_bpermute_b32 v2, v2, v1
	s_wait_dscnt 0x0
	v_add_f32_e32 v35, v1, v2
	s_wait_alu 0xfffe
	s_cbranch_vccz .LBB23_13
; %bb.12:
	v_ashrrev_i32_e32 v1, 31, v0
	s_delay_alu instid0(VALU_DEP_1) | instskip(NEXT) | instid1(VALU_DEP_1)
	v_lshlrev_b64_e32 v[1:2], 2, v[0:1]
	v_add_co_u32 v1, vcc_lo, s12, v1
	s_wait_alu 0xfffd
	s_delay_alu instid0(VALU_DEP_2) | instskip(SKIP_3) | instid1(VALU_DEP_1)
	v_add_co_ci_u32_e64 v2, null, s13, v2, vcc_lo
	global_load_b32 v1, v[1:2], off
	s_wait_loadcnt 0x0
	v_dual_max_num_f32 v2, v34, v34 :: v_dual_max_num_f32 v3, v1, v1
	v_max_num_f32_e32 v2, v2, v3
	s_delay_alu instid0(VALU_DEP_1) | instskip(NEXT) | instid1(VALU_DEP_1)
	v_sub_f32_e32 v1, v1, v2
	v_mul_f32_e32 v7, 0x3fb8aa3b, v1
	v_sub_f32_e32 v3, v34, v2
	v_mov_b32_e32 v34, v2
	s_delay_alu instid0(VALU_DEP_3) | instskip(NEXT) | instid1(VALU_DEP_3)
	v_rndne_f32_e32 v9, v7
	v_mul_f32_e32 v4, 0x3fb8aa3b, v3
	s_delay_alu instid0(VALU_DEP_1) | instskip(SKIP_1) | instid1(VALU_DEP_1)
	v_fma_f32 v5, 0x3fb8aa3b, v3, -v4
	v_rndne_f32_e32 v6, v4
	v_dual_fmac_f32 v5, 0x32a5705f, v3 :: v_dual_sub_f32 v4, v4, v6
	v_cvt_i32_f32_e32 v6, v6
	s_delay_alu instid0(VALU_DEP_2) | instskip(SKIP_2) | instid1(VALU_DEP_3)
	v_add_f32_e32 v4, v4, v5
	v_cmp_ngt_f32_e32 vcc_lo, 0xc2ce8ed0, v3
	v_sub_f32_e32 v5, v7, v9
	v_exp_f32_e32 v4, v4
	s_delay_alu instid0(TRANS32_DEP_1) | instskip(SKIP_2) | instid1(VALU_DEP_2)
	v_ldexp_f32 v4, v4, v6
	v_cvt_i32_f32_e32 v6, v9
	s_wait_alu 0xfffd
	v_cndmask_b32_e32 v4, 0, v4, vcc_lo
	v_fma_f32 v8, 0x3fb8aa3b, v1, -v7
	v_cmp_nlt_f32_e32 vcc_lo, 0x42b17218, v3
	s_wait_alu 0xfffd
	s_delay_alu instid0(VALU_DEP_3) | instskip(NEXT) | instid1(VALU_DEP_3)
	v_cndmask_b32_e32 v3, 0x7f800000, v4, vcc_lo
	v_fmac_f32_e32 v8, 0x32a5705f, v1
	v_cmp_ngt_f32_e32 vcc_lo, 0xc2ce8ed0, v1
	s_delay_alu instid0(VALU_DEP_2) | instskip(NEXT) | instid1(VALU_DEP_1)
	v_add_f32_e32 v5, v5, v8
	v_exp_f32_e32 v5, v5
	s_delay_alu instid0(TRANS32_DEP_1) | instskip(SKIP_1) | instid1(VALU_DEP_1)
	v_ldexp_f32 v5, v5, v6
	s_wait_alu 0xfffd
	v_cndmask_b32_e32 v4, 0, v5, vcc_lo
	v_cvt_f16_f32_e32 v5, v3
	v_cmp_nlt_f32_e32 vcc_lo, 0x42b17218, v1
	s_wait_alu 0xfffd
	s_delay_alu instid0(VALU_DEP_3) | instskip(NEXT) | instid1(VALU_DEP_1)
	v_cndmask_b32_e32 v1, 0x7f800000, v4, vcc_lo
	v_dual_fmac_f32 v1, v35, v3 :: v_dual_and_b32 v4, 0xffff, v5
	s_delay_alu instid0(VALU_DEP_1) | instskip(NEXT) | instid1(VALU_DEP_2)
	v_mul_u32_u24_e32 v3, 0x10001, v4
	v_mov_b32_e32 v35, v1
	s_delay_alu instid0(VALU_DEP_2)
	v_pk_mul_f16 v91, v91, v3
	v_pk_mul_f16 v96, v96, v3
	;; [unrolled: 1-line block ×4, first 2 shown]
.LBB23_13:
	s_delay_alu instid0(VALU_DEP_1)
	v_div_scale_f32 v3, null, v35, v35, 1.0
	s_load_b32 s1, s[0:1], 0xd4
	v_mad_co_u64_u32 v[1:2], null, s28, s22, v[32:33]
	v_rcp_f32_e32 v5, v3
	v_div_scale_f32 v4, vcc_lo, 1.0, v35, 1.0
	v_cvt_f32_f16_e32 v7, v96
	v_lshrrev_b32_e32 v9, 16, v91
	v_lshrrev_b32_e32 v6, 16, v96
	v_mad_co_u64_u32 v[0:1], null, v1, s23, v[0:1]
	v_lshrrev_b32_e32 v10, 16, v86
	s_delay_alu instid0(VALU_DEP_4) | instskip(NEXT) | instid1(TRANS32_DEP_1)
	v_cvt_f32_f16_e32 v16, v9
	v_fma_f32 v2, -v3, v5, 1.0
	v_cvt_f32_f16_e32 v6, v6
	v_lshrrev_b32_e32 v11, 16, v92
	v_cvt_f32_f16_e32 v13, v91
	v_cvt_f32_f16_e32 v14, v86
	v_dual_fmac_f32 v5, v2, v5 :: v_dual_mov_b32 v2, 0
	s_wait_kmcnt 0x0
	v_mad_co_u64_u32 v[0:1], null, s1, v0, s[4:5]
	s_cmp_lg_u32 s1, 1
	v_mul_f32_e32 v8, v4, v5
	s_cselect_b32 s1, -1, 0
	v_cvt_f32_f16_e32 v15, v92
	v_cvt_f32_f16_e32 v17, v11
	v_cmp_eq_u32_e64 s0, 0, v33
	v_fma_f32 v1, -v3, v8, v4
	s_wait_alu 0xfffe
	s_and_b32 s0, s0, s1
	s_delay_alu instid0(VALU_DEP_1) | instskip(SKIP_1) | instid1(VALU_DEP_2)
	v_fmac_f32_e32 v8, v1, v5
	v_lshl_add_u32 v1, v0, 8, v68
	v_fma_f32 v9, -v3, v8, v4
	s_delay_alu instid0(VALU_DEP_2) | instskip(SKIP_1) | instid1(VALU_DEP_2)
	v_lshlrev_b64_e32 v[3:4], 2, v[1:2]
	s_wait_alu 0xfffd
	v_div_fmas_f32 v5, v9, v5, v8
	v_cvt_f32_f16_e32 v8, v10
	s_delay_alu instid0(VALU_DEP_3) | instskip(SKIP_3) | instid1(VALU_DEP_1)
	v_add_co_u32 v9, vcc_lo, s16, v3
	s_wait_alu 0xfffd
	v_add_co_ci_u32_e64 v10, null, s17, v4, vcc_lo
	v_div_fixup_f32 v5, v5, v35, 1.0
	v_cndmask_b32_e64 v5, v5, 1.0, s1
	s_delay_alu instid0(VALU_DEP_1) | instskip(NEXT) | instid1(VALU_DEP_1)
	v_dual_mul_f32 v4, v5, v6 :: v_dual_add_nc_u32 v1, 0x80, v1
	v_lshlrev_b64_e32 v[1:2], 2, v[1:2]
	v_mul_f32_e32 v3, v5, v7
	v_mul_f32_e32 v8, v5, v8
	;; [unrolled: 1-line block ×4, first 2 shown]
	v_add_co_u32 v11, vcc_lo, s16, v1
	s_wait_alu 0xfffd
	v_add_co_ci_u32_e64 v12, null, s17, v2, vcc_lo
	v_mul_f32_e32 v2, v5, v16
	v_mul_f32_e32 v1, v5, v13
	v_mul_f32_e32 v5, v5, v15
	s_clause 0x1
	global_store_b128 v[9:10], v[1:4], off
	global_store_b128 v[11:12], v[5:8], off
	s_wait_alu 0xfffe
	s_and_saveexec_b32 s1, s0
	s_cbranch_execz .LBB23_15
; %bb.14:
	v_ashrrev_i32_e32 v1, 31, v0
	s_delay_alu instid0(VALU_DEP_1) | instskip(NEXT) | instid1(VALU_DEP_1)
	v_lshlrev_b64_e32 v[0:1], 3, v[0:1]
	v_add_co_u32 v0, vcc_lo, s18, v0
	s_wait_alu 0xfffd
	s_delay_alu instid0(VALU_DEP_2)
	v_add_co_ci_u32_e64 v1, null, s19, v1, vcc_lo
	global_store_b64 v[0:1], v[34:35], off
.LBB23_15:
	s_nop 0
	s_sendmsg sendmsg(MSG_DEALLOC_VGPRS)
	s_endpgm
	.section	.rodata,"a",@progbits
	.p2align	6, 0x0
	.amdhsa_kernel _ZL15flash_attn_tileILi256ELi256ELi1ELi4ELb0EEvPKcS1_S1_S1_S1_PKiPfP15HIP_vector_typeIfLj2EEffffjfiS5_IjLj3EEiiiiiiiiiiiliiliiiiil
		.amdhsa_group_segment_fixed_size 19200
		.amdhsa_private_segment_fixed_size 0
		.amdhsa_kernarg_size 464
		.amdhsa_user_sgpr_count 2
		.amdhsa_user_sgpr_dispatch_ptr 0
		.amdhsa_user_sgpr_queue_ptr 0
		.amdhsa_user_sgpr_kernarg_segment_ptr 1
		.amdhsa_user_sgpr_dispatch_id 0
		.amdhsa_user_sgpr_private_segment_size 0
		.amdhsa_wavefront_size32 1
		.amdhsa_uses_dynamic_stack 0
		.amdhsa_enable_private_segment 0
		.amdhsa_system_sgpr_workgroup_id_x 1
		.amdhsa_system_sgpr_workgroup_id_y 1
		.amdhsa_system_sgpr_workgroup_id_z 1
		.amdhsa_system_sgpr_workgroup_info 0
		.amdhsa_system_vgpr_workitem_id 1
		.amdhsa_next_free_vgpr 239
		.amdhsa_next_free_sgpr 42
		.amdhsa_reserve_vcc 1
		.amdhsa_float_round_mode_32 0
		.amdhsa_float_round_mode_16_64 0
		.amdhsa_float_denorm_mode_32 3
		.amdhsa_float_denorm_mode_16_64 3
		.amdhsa_fp16_overflow 0
		.amdhsa_workgroup_processor_mode 1
		.amdhsa_memory_ordered 1
		.amdhsa_forward_progress 1
		.amdhsa_inst_pref_size 58
		.amdhsa_round_robin_scheduling 0
		.amdhsa_exception_fp_ieee_invalid_op 0
		.amdhsa_exception_fp_denorm_src 0
		.amdhsa_exception_fp_ieee_div_zero 0
		.amdhsa_exception_fp_ieee_overflow 0
		.amdhsa_exception_fp_ieee_underflow 0
		.amdhsa_exception_fp_ieee_inexact 0
		.amdhsa_exception_int_div_zero 0
	.end_amdhsa_kernel
	.section	.text._ZL15flash_attn_tileILi256ELi256ELi1ELi4ELb0EEvPKcS1_S1_S1_S1_PKiPfP15HIP_vector_typeIfLj2EEffffjfiS5_IjLj3EEiiiiiiiiiiiliiliiiiil,"axG",@progbits,_ZL15flash_attn_tileILi256ELi256ELi1ELi4ELb0EEvPKcS1_S1_S1_S1_PKiPfP15HIP_vector_typeIfLj2EEffffjfiS5_IjLj3EEiiiiiiiiiiiliiliiiiil,comdat
.Lfunc_end23:
	.size	_ZL15flash_attn_tileILi256ELi256ELi1ELi4ELb0EEvPKcS1_S1_S1_S1_PKiPfP15HIP_vector_typeIfLj2EEffffjfiS5_IjLj3EEiiiiiiiiiiiliiliiiiil, .Lfunc_end23-_ZL15flash_attn_tileILi256ELi256ELi1ELi4ELb0EEvPKcS1_S1_S1_S1_PKiPfP15HIP_vector_typeIfLj2EEffffjfiS5_IjLj3EEiiiiiiiiiiiliiliiiiil
                                        ; -- End function
	.set _ZL15flash_attn_tileILi256ELi256ELi1ELi4ELb0EEvPKcS1_S1_S1_S1_PKiPfP15HIP_vector_typeIfLj2EEffffjfiS5_IjLj3EEiiiiiiiiiiiliiliiiiil.num_vgpr, 239
	.set _ZL15flash_attn_tileILi256ELi256ELi1ELi4ELb0EEvPKcS1_S1_S1_S1_PKiPfP15HIP_vector_typeIfLj2EEffffjfiS5_IjLj3EEiiiiiiiiiiiliiliiiiil.num_agpr, 0
	.set _ZL15flash_attn_tileILi256ELi256ELi1ELi4ELb0EEvPKcS1_S1_S1_S1_PKiPfP15HIP_vector_typeIfLj2EEffffjfiS5_IjLj3EEiiiiiiiiiiiliiliiiiil.numbered_sgpr, 42
	.set _ZL15flash_attn_tileILi256ELi256ELi1ELi4ELb0EEvPKcS1_S1_S1_S1_PKiPfP15HIP_vector_typeIfLj2EEffffjfiS5_IjLj3EEiiiiiiiiiiiliiliiiiil.num_named_barrier, 0
	.set _ZL15flash_attn_tileILi256ELi256ELi1ELi4ELb0EEvPKcS1_S1_S1_S1_PKiPfP15HIP_vector_typeIfLj2EEffffjfiS5_IjLj3EEiiiiiiiiiiiliiliiiiil.private_seg_size, 0
	.set _ZL15flash_attn_tileILi256ELi256ELi1ELi4ELb0EEvPKcS1_S1_S1_S1_PKiPfP15HIP_vector_typeIfLj2EEffffjfiS5_IjLj3EEiiiiiiiiiiiliiliiiiil.uses_vcc, 1
	.set _ZL15flash_attn_tileILi256ELi256ELi1ELi4ELb0EEvPKcS1_S1_S1_S1_PKiPfP15HIP_vector_typeIfLj2EEffffjfiS5_IjLj3EEiiiiiiiiiiiliiliiiiil.uses_flat_scratch, 0
	.set _ZL15flash_attn_tileILi256ELi256ELi1ELi4ELb0EEvPKcS1_S1_S1_S1_PKiPfP15HIP_vector_typeIfLj2EEffffjfiS5_IjLj3EEiiiiiiiiiiiliiliiiiil.has_dyn_sized_stack, 0
	.set _ZL15flash_attn_tileILi256ELi256ELi1ELi4ELb0EEvPKcS1_S1_S1_S1_PKiPfP15HIP_vector_typeIfLj2EEffffjfiS5_IjLj3EEiiiiiiiiiiiliiliiiiil.has_recursion, 0
	.set _ZL15flash_attn_tileILi256ELi256ELi1ELi4ELb0EEvPKcS1_S1_S1_S1_PKiPfP15HIP_vector_typeIfLj2EEffffjfiS5_IjLj3EEiiiiiiiiiiiliiliiiiil.has_indirect_call, 0
	.section	.AMDGPU.csdata,"",@progbits
; Kernel info:
; codeLenInByte = 7340
; TotalNumSgprs: 44
; NumVgprs: 239
; ScratchSize: 0
; MemoryBound: 0
; FloatMode: 240
; IeeeMode: 1
; LDSByteSize: 19200 bytes/workgroup (compile time only)
; SGPRBlocks: 0
; VGPRBlocks: 29
; NumSGPRsForWavesPerEU: 44
; NumVGPRsForWavesPerEU: 239
; Occupancy: 6
; WaveLimiterHint : 1
; COMPUTE_PGM_RSRC2:SCRATCH_EN: 0
; COMPUTE_PGM_RSRC2:USER_SGPR: 2
; COMPUTE_PGM_RSRC2:TRAP_HANDLER: 0
; COMPUTE_PGM_RSRC2:TGID_X_EN: 1
; COMPUTE_PGM_RSRC2:TGID_Y_EN: 1
; COMPUTE_PGM_RSRC2:TGID_Z_EN: 1
; COMPUTE_PGM_RSRC2:TIDIG_COMP_CNT: 1
	.section	.text._ZL33flash_attn_stream_k_fixup_uniformILi256ELi1ELi4EEvPfPK15HIP_vector_typeIfLj2EEiiiiiiS1_IjLj3EES5_S5_,"axG",@progbits,_ZL33flash_attn_stream_k_fixup_uniformILi256ELi1ELi4EEvPfPK15HIP_vector_typeIfLj2EEiiiiiiS1_IjLj3EES5_S5_,comdat
	.globl	_ZL33flash_attn_stream_k_fixup_uniformILi256ELi1ELi4EEvPfPK15HIP_vector_typeIfLj2EEiiiiiiS1_IjLj3EES5_S5_ ; -- Begin function _ZL33flash_attn_stream_k_fixup_uniformILi256ELi1ELi4EEvPfPK15HIP_vector_typeIfLj2EEiiiiiiS1_IjLj3EES5_S5_
	.p2align	8
	.type	_ZL33flash_attn_stream_k_fixup_uniformILi256ELi1ELi4EEvPfPK15HIP_vector_typeIfLj2EEiiiiiiS1_IjLj3EES5_S5_,@function
_ZL33flash_attn_stream_k_fixup_uniformILi256ELi1ELi4EEvPfPK15HIP_vector_typeIfLj2EEiiiiiiS1_IjLj3EES5_S5_: ; @_ZL33flash_attn_stream_k_fixup_uniformILi256ELi1ELi4EEvPfPK15HIP_vector_typeIfLj2EEiiiiiiS1_IjLj3EES5_S5_
; %bb.0:
	s_clause 0x1
	s_load_b256 s[4:11], s[0:1], 0x1c
	s_load_b128 s[16:19], s[0:1], 0x3c
	s_wait_kmcnt 0x0
	s_mul_hi_u32 s2, s7, ttmp9
	s_delay_alu instid0(SALU_CYCLE_1) | instskip(NEXT) | instid1(SALU_CYCLE_1)
	s_add_co_i32 s2, ttmp9, s2
	s_lshr_b32 s12, s2, s8
	s_delay_alu instid0(SALU_CYCLE_1) | instskip(SKIP_2) | instid1(SALU_CYCLE_1)
	s_mul_i32 s2, s12, s9
	s_load_b64 s[8:9], s[0:1], 0x10
	s_sub_co_i32 s2, ttmp9, s2
	s_mul_hi_u32 s3, s2, s10
	s_and_b32 s10, ttmp7, 0xffff
	s_add_co_i32 s3, s2, s3
	s_delay_alu instid0(SALU_CYCLE_1) | instskip(NEXT) | instid1(SALU_CYCLE_1)
	s_lshr_b32 s11, s3, s11
	s_mul_i32 s3, s11, s16
	s_delay_alu instid0(SALU_CYCLE_1) | instskip(NEXT) | instid1(SALU_CYCLE_1)
	s_sub_co_i32 s2, s2, s3
	s_mul_hi_u32 s3, s2, s17
	s_delay_alu instid0(SALU_CYCLE_1) | instskip(NEXT) | instid1(SALU_CYCLE_1)
	s_add_co_i32 s3, s2, s3
	s_lshr_b32 s3, s3, s18
	s_delay_alu instid0(SALU_CYCLE_1)
	s_mul_i32 s7, s3, s19
	s_lshl_b32 s14, s3, 2
	s_sub_co_i32 s13, s2, s7
	s_lshr_b32 s7, ttmp7, 16
	s_add_co_i32 s13, s13, s10
	s_wait_kmcnt 0x0
	s_cmp_lt_i32 s13, s8
	s_cselect_b32 s2, -1, 0
	s_add_co_i32 s14, s14, s7
	s_delay_alu instid0(SALU_CYCLE_1) | instskip(SKIP_1) | instid1(SALU_CYCLE_1)
	s_cmp_lt_i32 s14, s5
	s_cselect_b32 s3, -1, 0
	s_and_b32 s2, s2, s3
	s_delay_alu instid0(SALU_CYCLE_1)
	s_and_not1_b32 vcc_lo, exec_lo, s2
	s_cbranch_vccnz .LBB24_6
; %bb.1:
	s_mul_i32 s12, s12, s8
	s_mul_i32 s11, s11, s5
	s_add_co_i32 s5, s13, s12
	s_load_b128 s[0:3], s[0:1], 0x0
	s_add_co_i32 s8, s14, s11
	s_mul_i32 s5, s5, s9
	s_delay_alu instid0(SALU_CYCLE_1) | instskip(NEXT) | instid1(SALU_CYCLE_1)
	s_add_co_i32 s8, s8, s5
	v_lshl_or_b32 v1, s8, 8, v0
	s_mul_i32 s8, s6, ttmp9
	s_wait_alu 0xfffe
	s_add_co_i32 s9, s8, s6
	s_delay_alu instid0(VALU_DEP_1) | instskip(SKIP_2) | instid1(VALU_DEP_1)
	v_ashrrev_i32_e32 v2, 31, v1
	s_wait_alu 0xfffe
	s_add_co_i32 s5, s9, -2
	v_lshlrev_b64_e32 v[1:2], 2, v[1:2]
	s_wait_kmcnt 0x0
	s_delay_alu instid0(VALU_DEP_1) | instskip(NEXT) | instid1(VALU_DEP_1)
	v_add_co_u32 v1, vcc_lo, s0, v1
	v_add_co_ci_u32_e64 v2, null, s1, v2, vcc_lo
	s_add_co_i32 s0, s10, s9
	s_wait_alu 0xfffe
	s_lshl_b32 s0, s0, 2
	global_load_b32 v5, v[1:2], off
	s_wait_alu 0xfffe
	s_add_co_i32 s0, s0, s7
	s_wait_alu 0xfffe
	s_add_co_i32 s0, s0, -4
	s_wait_alu 0xfffe
	s_ashr_i32 s1, s0, 31
	s_wait_alu 0xfffe
	s_lshl_b64 s[0:1], s[0:1], 3
	s_cmp_lt_i32 s5, s8
	s_wait_alu 0xfffe
	s_add_nc_u64 s[0:1], s[2:3], s[0:1]
	s_load_b32 s11, s[0:1], 0x4
	s_cbranch_scc1 .LBB24_4
; %bb.2:
	s_load_b32 s0, s[0:1], 0x0
	s_add_co_i32 s1, ttmp9, 1
	s_lshl_b32 s5, s7, 8
	s_wait_alu 0xfffe
	s_mul_i32 s1, s6, s1
	s_lshl_b32 s6, s10, 10
	s_wait_alu 0xfffe
	s_lshl_b32 s1, s1, 10
	s_add_co_i32 s5, s5, s6
	s_lshl_b32 s12, s4, 4
	s_wait_alu 0xfffe
	s_add_co_i32 s5, s5, s1
	s_add_co_i32 s1, s10, s4
	v_or_b32_e32 v0, s5, v0
	s_wait_alu 0xfffe
	s_add_co_i32 s1, s1, s9
	s_ashr_i32 s13, s12, 31
	s_wait_alu 0xfffe
	s_lshl_b32 s1, s1, 2
	s_wait_kmcnt 0x0
	v_dual_mov_b32 v6, s11 :: v_dual_add_nc_u32 v3, 0xfffff800, v0
	s_lshl_b64 s[4:5], s[12:13], 2
	s_wait_alu 0xfffe
	s_add_co_i32 s6, s7, s1
	s_add_nc_u64 s[4:5], s[2:3], s[4:5]
	s_add_co_i32 s1, s9, -1
	s_add_co_i32 s6, s6, -8
.LBB24_3:                               ; =>This Inner Loop Header: Depth=1
	v_ashrrev_i32_e32 v4, 31, v3
	s_ashr_i32 s7, s6, 31
	v_mov_b32_e32 v10, v6
	s_lshl_b64 s[10:11], s[6:7], 3
	s_wait_loadcnt 0x0
	v_mov_b32_e32 v9, v5
	v_lshlrev_b64_e32 v[7:8], 2, v[3:4]
	s_wait_alu 0xfffe
	s_add_nc_u64 s[10:11], s[2:3], s[10:11]
	v_max_num_f32_e64 v4, s0, s0
	s_load_b64 s[10:11], s[10:11], 0x0
	v_add_nc_u32_e32 v3, 0xfffffc00, v3
	v_add_co_u32 v7, vcc_lo, s4, v7
	s_wait_alu 0xfffd
	v_add_co_ci_u32_e64 v8, null, s5, v8, vcc_lo
	v_readfirstlane_b32 s7, v4
	global_load_b32 v0, v[7:8], off
	s_wait_kmcnt 0x0
	v_max_num_f32_e64 v4, s10, s10
	s_delay_alu instid0(VALU_DEP_1) | instskip(SKIP_1) | instid1(SALU_CYCLE_3)
	v_readfirstlane_b32 s9, v4
	s_max_num_f32 s7, s7, s9
	s_sub_f32 s0, s0, s7
	s_sub_f32 s9, s10, s7
	s_wait_alu 0xfffe
	s_delay_alu instid0(SALU_CYCLE_1) | instskip(NEXT) | instid1(SALU_CYCLE_1)
	s_mul_f32 s10, s0, 0x3fb8aa3b
	s_mul_f32 s12, s9, 0x3fb8aa3b
	s_wait_alu 0xfffe
	s_delay_alu instid0(SALU_CYCLE_1)
	s_xor_b32 s13, s10, 0x80000000
	s_rndne_f32 s14, s10
	s_fmamk_f32 s13, s0, 0x3fb8aa3b, s13
	s_cmp_nlt_f32 s0, 0xc2ce8ed0
	s_rndne_f32 s15, s12
	s_wait_alu 0xfffe
	s_sub_f32 s10, s10, s14
	s_fmamk_f32 s13, s0, 0x32a5705f, s13
	s_cvt_i32_f32 s14, s14
	s_cselect_b32 vcc_lo, -1, 0
	s_cmp_ngt_f32 s0, 0x42b17218
	s_wait_alu 0xfffe
	s_add_f32 s10, s10, s13
	s_sub_f32 s13, s12, s15
	s_wait_alu 0xfffe
	s_delay_alu instid0(SALU_CYCLE_1) | instskip(SKIP_1) | instid1(TRANS32_DEP_1)
	v_s_exp_f32 s10, s10
	s_wait_alu 0xf1ff
	v_ldexp_f32 v4, s10, s14
	s_cvt_i32_f32 s10, s15
	s_delay_alu instid0(VALU_DEP_1) | instskip(SKIP_3) | instid1(VALU_DEP_1)
	v_cndmask_b32_e32 v4, 0, v4, vcc_lo
	s_cselect_b32 vcc_lo, -1, 0
	s_cmp_ge_f32 s0, 0xc1a00000
	s_wait_alu 0xfffe
	v_cndmask_b32_e32 v4, 0x7f800000, v4, vcc_lo
	s_cselect_b32 vcc_lo, -1, 0
	s_xor_b32 s0, s12, 0x80000000
	s_cmp_nlt_f32 s9, 0xc2ce8ed0
	s_wait_alu 0xfffe
	s_fmamk_f32 s0, s9, 0x3fb8aa3b, s0
	s_wait_alu 0xfffe
	s_delay_alu instid0(SALU_CYCLE_2) | instskip(SKIP_1) | instid1(SALU_CYCLE_2)
	s_fmamk_f32 s0, s9, 0x32a5705f, s0
	s_wait_alu 0xfffe
	s_add_f32 s0, s13, s0
	s_wait_alu 0xfffe
	s_delay_alu instid0(SALU_CYCLE_2) | instskip(SKIP_1) | instid1(TRANS32_DEP_1)
	v_s_exp_f32 s0, s0
	s_wait_alu 0xf1ff
	v_ldexp_f32 v7, s0, s10
	s_cselect_b32 s0, -1, 0
	s_cmp_ngt_f32 s9, 0x42b17218
	s_wait_alu 0xfffe
	s_delay_alu instid0(VALU_DEP_1) | instskip(SKIP_3) | instid1(VALU_DEP_1)
	v_cndmask_b32_e64 v7, 0, v7, s0
	s_cselect_b32 s0, -1, 0
	s_cmp_ge_f32 s9, 0xc1a00000
	s_wait_alu 0xfffe
	v_cndmask_b32_e64 v7, 0x7f800000, v7, s0
	s_cselect_b32 s0, -1, 0
	s_add_co_i32 s1, s1, -1
	s_add_co_i32 s6, s6, -4
	s_wait_alu 0xfffe
	s_cmp_le_i32 s1, s8
	v_cndmask_b32_e64 v7, 0, v7, s0
	s_mov_b32 s0, s7
	s_wait_loadcnt 0x0
	s_delay_alu instid0(VALU_DEP_1) | instskip(NEXT) | instid1(VALU_DEP_1)
	v_dual_mul_f32 v5, v0, v7 :: v_dual_cndmask_b32 v4, 0, v4
	v_dual_mul_f32 v8, s11, v7 :: v_dual_fmac_f32 v5, v9, v4
	s_delay_alu instid0(VALU_DEP_1) | instskip(NEXT) | instid1(VALU_DEP_1)
	v_mov_b32_e32 v6, v8
	v_fmac_f32_e32 v6, v10, v4
	s_cbranch_scc0 .LBB24_3
	s_branch .LBB24_5
.LBB24_4:
	s_wait_kmcnt 0x0
	v_mov_b32_e32 v6, s11
.LBB24_5:
	s_wait_loadcnt 0x0
	s_delay_alu instid0(VALU_DEP_1) | instskip(NEXT) | instid1(VALU_DEP_1)
	v_div_scale_f32 v0, null, v6, v6, v5
	v_rcp_f32_e32 v3, v0
	s_delay_alu instid0(TRANS32_DEP_1) | instskip(NEXT) | instid1(VALU_DEP_1)
	v_fma_f32 v4, -v0, v3, 1.0
	v_fmac_f32_e32 v3, v4, v3
	v_div_scale_f32 v4, vcc_lo, v5, v6, v5
	s_delay_alu instid0(VALU_DEP_1) | instskip(NEXT) | instid1(VALU_DEP_1)
	v_mul_f32_e32 v7, v4, v3
	v_fma_f32 v8, -v0, v7, v4
	s_delay_alu instid0(VALU_DEP_1) | instskip(NEXT) | instid1(VALU_DEP_1)
	v_fmac_f32_e32 v7, v8, v3
	v_fma_f32 v0, -v0, v7, v4
	s_wait_alu 0xfffd
	s_delay_alu instid0(VALU_DEP_1) | instskip(NEXT) | instid1(VALU_DEP_1)
	v_div_fmas_f32 v0, v0, v3, v7
	v_div_fixup_f32 v0, v0, v6, v5
	global_store_b32 v[1:2], v0, off
.LBB24_6:
	s_endpgm
	.section	.rodata,"a",@progbits
	.p2align	6, 0x0
	.amdhsa_kernel _ZL33flash_attn_stream_k_fixup_uniformILi256ELi1ELi4EEvPfPK15HIP_vector_typeIfLj2EEiiiiiiS1_IjLj3EES5_S5_
		.amdhsa_group_segment_fixed_size 0
		.amdhsa_private_segment_fixed_size 0
		.amdhsa_kernarg_size 76
		.amdhsa_user_sgpr_count 2
		.amdhsa_user_sgpr_dispatch_ptr 0
		.amdhsa_user_sgpr_queue_ptr 0
		.amdhsa_user_sgpr_kernarg_segment_ptr 1
		.amdhsa_user_sgpr_dispatch_id 0
		.amdhsa_user_sgpr_private_segment_size 0
		.amdhsa_wavefront_size32 1
		.amdhsa_uses_dynamic_stack 0
		.amdhsa_enable_private_segment 0
		.amdhsa_system_sgpr_workgroup_id_x 1
		.amdhsa_system_sgpr_workgroup_id_y 1
		.amdhsa_system_sgpr_workgroup_id_z 1
		.amdhsa_system_sgpr_workgroup_info 0
		.amdhsa_system_vgpr_workitem_id 0
		.amdhsa_next_free_vgpr 11
		.amdhsa_next_free_sgpr 20
		.amdhsa_reserve_vcc 1
		.amdhsa_float_round_mode_32 0
		.amdhsa_float_round_mode_16_64 0
		.amdhsa_float_denorm_mode_32 3
		.amdhsa_float_denorm_mode_16_64 3
		.amdhsa_fp16_overflow 0
		.amdhsa_workgroup_processor_mode 1
		.amdhsa_memory_ordered 1
		.amdhsa_forward_progress 1
		.amdhsa_inst_pref_size 9
		.amdhsa_round_robin_scheduling 0
		.amdhsa_exception_fp_ieee_invalid_op 0
		.amdhsa_exception_fp_denorm_src 0
		.amdhsa_exception_fp_ieee_div_zero 0
		.amdhsa_exception_fp_ieee_overflow 0
		.amdhsa_exception_fp_ieee_underflow 0
		.amdhsa_exception_fp_ieee_inexact 0
		.amdhsa_exception_int_div_zero 0
	.end_amdhsa_kernel
	.section	.text._ZL33flash_attn_stream_k_fixup_uniformILi256ELi1ELi4EEvPfPK15HIP_vector_typeIfLj2EEiiiiiiS1_IjLj3EES5_S5_,"axG",@progbits,_ZL33flash_attn_stream_k_fixup_uniformILi256ELi1ELi4EEvPfPK15HIP_vector_typeIfLj2EEiiiiiiS1_IjLj3EES5_S5_,comdat
.Lfunc_end24:
	.size	_ZL33flash_attn_stream_k_fixup_uniformILi256ELi1ELi4EEvPfPK15HIP_vector_typeIfLj2EEiiiiiiS1_IjLj3EES5_S5_, .Lfunc_end24-_ZL33flash_attn_stream_k_fixup_uniformILi256ELi1ELi4EEvPfPK15HIP_vector_typeIfLj2EEiiiiiiS1_IjLj3EES5_S5_
                                        ; -- End function
	.set _ZL33flash_attn_stream_k_fixup_uniformILi256ELi1ELi4EEvPfPK15HIP_vector_typeIfLj2EEiiiiiiS1_IjLj3EES5_S5_.num_vgpr, 11
	.set _ZL33flash_attn_stream_k_fixup_uniformILi256ELi1ELi4EEvPfPK15HIP_vector_typeIfLj2EEiiiiiiS1_IjLj3EES5_S5_.num_agpr, 0
	.set _ZL33flash_attn_stream_k_fixup_uniformILi256ELi1ELi4EEvPfPK15HIP_vector_typeIfLj2EEiiiiiiS1_IjLj3EES5_S5_.numbered_sgpr, 20
	.set _ZL33flash_attn_stream_k_fixup_uniformILi256ELi1ELi4EEvPfPK15HIP_vector_typeIfLj2EEiiiiiiS1_IjLj3EES5_S5_.num_named_barrier, 0
	.set _ZL33flash_attn_stream_k_fixup_uniformILi256ELi1ELi4EEvPfPK15HIP_vector_typeIfLj2EEiiiiiiS1_IjLj3EES5_S5_.private_seg_size, 0
	.set _ZL33flash_attn_stream_k_fixup_uniformILi256ELi1ELi4EEvPfPK15HIP_vector_typeIfLj2EEiiiiiiS1_IjLj3EES5_S5_.uses_vcc, 1
	.set _ZL33flash_attn_stream_k_fixup_uniformILi256ELi1ELi4EEvPfPK15HIP_vector_typeIfLj2EEiiiiiiS1_IjLj3EES5_S5_.uses_flat_scratch, 0
	.set _ZL33flash_attn_stream_k_fixup_uniformILi256ELi1ELi4EEvPfPK15HIP_vector_typeIfLj2EEiiiiiiS1_IjLj3EES5_S5_.has_dyn_sized_stack, 0
	.set _ZL33flash_attn_stream_k_fixup_uniformILi256ELi1ELi4EEvPfPK15HIP_vector_typeIfLj2EEiiiiiiS1_IjLj3EES5_S5_.has_recursion, 0
	.set _ZL33flash_attn_stream_k_fixup_uniformILi256ELi1ELi4EEvPfPK15HIP_vector_typeIfLj2EEiiiiiiS1_IjLj3EES5_S5_.has_indirect_call, 0
	.section	.AMDGPU.csdata,"",@progbits
; Kernel info:
; codeLenInByte = 1120
; TotalNumSgprs: 22
; NumVgprs: 11
; ScratchSize: 0
; MemoryBound: 0
; FloatMode: 240
; IeeeMode: 1
; LDSByteSize: 0 bytes/workgroup (compile time only)
; SGPRBlocks: 0
; VGPRBlocks: 1
; NumSGPRsForWavesPerEU: 22
; NumVGPRsForWavesPerEU: 11
; Occupancy: 16
; WaveLimiterHint : 0
; COMPUTE_PGM_RSRC2:SCRATCH_EN: 0
; COMPUTE_PGM_RSRC2:USER_SGPR: 2
; COMPUTE_PGM_RSRC2:TRAP_HANDLER: 0
; COMPUTE_PGM_RSRC2:TGID_X_EN: 1
; COMPUTE_PGM_RSRC2:TGID_Y_EN: 1
; COMPUTE_PGM_RSRC2:TGID_Z_EN: 1
; COMPUTE_PGM_RSRC2:TIDIG_COMP_CNT: 0
	.section	.text._ZL33flash_attn_stream_k_fixup_generalILi256ELi1ELi4EEvPfPK15HIP_vector_typeIfLj2EEiiiiS1_IjLj3EES5_S5_S5_,"axG",@progbits,_ZL33flash_attn_stream_k_fixup_generalILi256ELi1ELi4EEvPfPK15HIP_vector_typeIfLj2EEiiiiS1_IjLj3EES5_S5_S5_,comdat
	.globl	_ZL33flash_attn_stream_k_fixup_generalILi256ELi1ELi4EEvPfPK15HIP_vector_typeIfLj2EEiiiiS1_IjLj3EES5_S5_S5_ ; -- Begin function _ZL33flash_attn_stream_k_fixup_generalILi256ELi1ELi4EEvPfPK15HIP_vector_typeIfLj2EEiiiiS1_IjLj3EES5_S5_S5_
	.p2align	8
	.type	_ZL33flash_attn_stream_k_fixup_generalILi256ELi1ELi4EEvPfPK15HIP_vector_typeIfLj2EEiiiiS1_IjLj3EES5_S5_S5_,@function
_ZL33flash_attn_stream_k_fixup_generalILi256ELi1ELi4EEvPfPK15HIP_vector_typeIfLj2EEiiiiS1_IjLj3EES5_S5_S5_: ; @_ZL33flash_attn_stream_k_fixup_generalILi256ELi1ELi4EEvPfPK15HIP_vector_typeIfLj2EEiiiiS1_IjLj3EES5_S5_S5_
; %bb.0:
	s_clause 0x1
	s_load_b128 s[4:7], s[0:1], 0x10
	s_load_b32 s16, s[0:1], 0x50
	s_mov_b32 s2, ttmp9
	s_ashr_i32 s3, ttmp9, 31
	s_mov_b32 s17, 0
	s_delay_alu instid0(SALU_CYCLE_1) | instskip(SKIP_3) | instid1(SALU_CYCLE_1)
	s_mov_b32 s8, s17
	s_wait_kmcnt 0x0
	s_ashr_i32 s19, s7, 31
	s_mov_b32 s18, s7
	s_mul_u64 s[2:3], s[18:19], s[2:3]
	s_delay_alu instid0(SALU_CYCLE_1) | instskip(NEXT) | instid1(SALU_CYCLE_1)
	s_mov_b32 s9, s3
	s_cmp_lg_u64 s[8:9], 0
	s_cbranch_scc0 .LBB25_21
; %bb.1:
	s_add_nc_u64 s[8:9], s[16:17], 0
	s_mov_b32 s15, s17
	s_xor_b64 s[8:9], s[8:9], 0
	s_mov_b32 s23, s17
	s_cvt_f32_u32 s7, s8
	s_cvt_f32_u32 s10, s9
	s_sub_nc_u64 s[12:13], 0, s[8:9]
	s_delay_alu instid0(SALU_CYCLE_2) | instskip(NEXT) | instid1(SALU_CYCLE_3)
	s_fmamk_f32 s7, s10, 0x4f800000, s7
	v_s_rcp_f32 s7, s7
	s_delay_alu instid0(TRANS32_DEP_1) | instskip(SKIP_1) | instid1(SALU_CYCLE_2)
	s_mul_f32 s7, s7, 0x5f7ffffc
	s_wait_alu 0xfffe
	s_mul_f32 s10, s7, 0x2f800000
	s_delay_alu instid0(SALU_CYCLE_3) | instskip(NEXT) | instid1(SALU_CYCLE_3)
	s_trunc_f32 s10, s10
	s_fmamk_f32 s7, s10, 0xcf800000, s7
	s_cvt_u32_f32 s11, s10
	s_wait_alu 0xfffe
	s_delay_alu instid0(SALU_CYCLE_1) | instskip(NEXT) | instid1(SALU_CYCLE_3)
	s_cvt_u32_f32 s10, s7
	s_mul_u64 s[20:21], s[12:13], s[10:11]
	s_delay_alu instid0(SALU_CYCLE_1)
	s_mul_hi_u32 s25, s10, s21
	s_mul_i32 s24, s10, s21
	s_mul_hi_u32 s14, s10, s20
	s_mul_i32 s22, s11, s20
	s_add_nc_u64 s[14:15], s[14:15], s[24:25]
	s_mul_hi_u32 s7, s11, s20
	s_mul_hi_u32 s26, s11, s21
	s_add_co_u32 s14, s14, s22
	s_wait_alu 0xfffe
	s_add_co_ci_u32 s22, s15, s7
	s_mul_i32 s20, s11, s21
	s_add_co_ci_u32 s21, s26, 0
	s_delay_alu instid0(SALU_CYCLE_1)
	s_add_nc_u64 s[14:15], s[22:23], s[20:21]
	s_mov_b32 s21, s17
	s_add_co_u32 s10, s10, s14
	s_cselect_b32 s7, -1, 0
	s_wait_alu 0xfffe
	s_cmp_lg_u32 s7, 0
	s_add_co_ci_u32 s11, s11, s15
	s_mov_b32 s15, s17
	s_mul_u64 s[12:13], s[12:13], s[10:11]
	s_delay_alu instid0(SALU_CYCLE_1)
	s_mul_hi_u32 s23, s10, s13
	s_mul_i32 s22, s10, s13
	s_mul_hi_u32 s14, s10, s12
	s_mul_i32 s20, s11, s12
	s_add_nc_u64 s[14:15], s[14:15], s[22:23]
	s_mul_hi_u32 s7, s11, s12
	s_mul_hi_u32 s24, s11, s13
	s_mul_i32 s12, s11, s13
	s_add_co_u32 s13, s14, s20
	s_wait_alu 0xfffe
	s_add_co_ci_u32 s20, s15, s7
	s_add_co_ci_u32 s13, s24, 0
	s_mov_b32 s15, s17
	s_add_nc_u64 s[12:13], s[20:21], s[12:13]
	s_delay_alu instid0(SALU_CYCLE_1) | instskip(SKIP_1) | instid1(SALU_CYCLE_1)
	s_add_co_u32 s7, s10, s12
	s_cselect_b32 s10, -1, 0
	s_cmp_lg_u32 s10, 0
	s_add_co_ci_u32 s20, s11, s13
	s_ashr_i32 s10, s3, 31
	s_delay_alu instid0(SALU_CYCLE_1) | instskip(NEXT) | instid1(SALU_CYCLE_1)
	s_mov_b32 s11, s10
	s_add_nc_u64 s[12:13], s[2:3], s[10:11]
	s_delay_alu instid0(SALU_CYCLE_1) | instskip(NEXT) | instid1(SALU_CYCLE_1)
	s_xor_b64 s[12:13], s[12:13], s[10:11]
	s_mul_hi_u32 s23, s12, s20
	s_mul_i32 s22, s12, s20
	s_wait_alu 0xfffe
	s_mul_hi_u32 s14, s12, s7
	s_mul_hi_u32 s24, s13, s7
	s_mul_i32 s7, s13, s7
	s_add_nc_u64 s[14:15], s[14:15], s[22:23]
	s_mul_hi_u32 s3, s13, s20
	s_wait_alu 0xfffe
	s_add_co_u32 s7, s14, s7
	s_mul_i32 s22, s13, s20
	s_add_co_ci_u32 s20, s15, s24
	s_add_co_ci_u32 s23, s3, 0
	s_delay_alu instid0(SALU_CYCLE_1) | instskip(NEXT) | instid1(SALU_CYCLE_1)
	s_add_nc_u64 s[14:15], s[20:21], s[22:23]
	s_mul_u64 s[20:21], s[8:9], s[14:15]
	s_delay_alu instid0(SALU_CYCLE_1)
	s_sub_co_u32 s3, s12, s20
	s_cselect_b32 s7, -1, 0
	s_sub_co_i32 s12, s13, s21
	s_wait_alu 0xfffe
	s_cmp_lg_u32 s7, 0
	s_sub_co_ci_u32 s12, s12, s9
	s_sub_co_u32 s20, s3, s8
	s_cselect_b32 s22, -1, 0
	s_delay_alu instid0(SALU_CYCLE_1) | instskip(SKIP_2) | instid1(SALU_CYCLE_1)
	s_cmp_lg_u32 s22, 0
	s_add_nc_u64 s[22:23], s[14:15], 1
	s_sub_co_ci_u32 s12, s12, 0
	s_cmp_ge_u32 s12, s9
	s_cselect_b32 s24, -1, 0
	s_cmp_ge_u32 s20, s8
	s_cselect_b32 s20, -1, 0
	s_cmp_eq_u32 s12, s9
	s_cselect_b32 s12, s20, s24
	s_add_nc_u64 s[24:25], s[14:15], 2
	s_cmp_lg_u32 s12, 0
	s_cselect_b32 s12, s24, s22
	s_cselect_b32 s20, s25, s23
	s_cmp_lg_u32 s7, 0
	s_sub_co_ci_u32 s7, s13, s21
	s_wait_alu 0xfffe
	s_cmp_ge_u32 s7, s9
	s_cselect_b32 s13, -1, 0
	s_cmp_ge_u32 s3, s8
	s_cselect_b32 s3, -1, 0
	s_cmp_eq_u32 s7, s9
	s_cselect_b32 s3, s3, s13
	s_delay_alu instid0(SALU_CYCLE_1) | instskip(SKIP_4) | instid1(SALU_CYCLE_1)
	s_cmp_lg_u32 s3, 0
	s_mov_b32 s3, s17
	s_cselect_b32 s9, s20, s15
	s_cselect_b32 s8, s12, s14
	s_xor_b64 s[10:11], s[10:11], 0
	s_xor_b64 s[8:9], s[8:9], s[10:11]
	s_delay_alu instid0(SALU_CYCLE_1)
	s_sub_nc_u64 s[20:21], s[8:9], s[10:11]
	s_and_not1_b32 vcc_lo, exec_lo, s3
	s_cbranch_vccnz .LBB25_3
.LBB25_2:
	v_cvt_f32_u32_e32 v1, s16
	s_sub_co_i32 s7, 0, s16
	s_delay_alu instid0(VALU_DEP_1) | instskip(NEXT) | instid1(TRANS32_DEP_1)
	v_rcp_iflag_f32_e32 v1, v1
	v_mul_f32_e32 v1, 0x4f7ffffe, v1
	s_delay_alu instid0(VALU_DEP_1) | instskip(NEXT) | instid1(VALU_DEP_1)
	v_cvt_u32_f32_e32 v1, v1
	v_readfirstlane_b32 s3, v1
	s_wait_alu 0xfffe
	s_mul_i32 s7, s7, s3
	s_wait_alu 0xfffe
	s_mul_hi_u32 s7, s3, s7
	s_wait_alu 0xfffe
	s_add_co_i32 s3, s3, s7
	s_delay_alu instid0(SALU_CYCLE_1) | instskip(NEXT) | instid1(SALU_CYCLE_1)
	s_mul_hi_u32 s3, s2, s3
	s_mul_i32 s7, s3, s16
	s_wait_alu 0xfffe
	s_sub_co_i32 s2, s2, s7
	s_add_co_i32 s7, s3, 1
	s_sub_co_i32 s8, s2, s16
	s_cmp_ge_u32 s2, s16
	s_wait_alu 0xfffe
	s_cselect_b32 s3, s7, s3
	s_cselect_b32 s2, s8, s2
	s_add_co_i32 s7, s3, 1
	s_cmp_ge_u32 s2, s16
	s_wait_alu 0xfffe
	s_cselect_b32 s20, s7, s3
.LBB25_3:
	s_add_co_i32 s2, ttmp9, 1
	s_mov_b32 s8, 0
	s_ashr_i32 s3, s2, 31
	s_delay_alu instid0(SALU_CYCLE_1) | instskip(NEXT) | instid1(SALU_CYCLE_1)
	s_mul_u64 s[2:3], s[18:19], s[2:3]
	s_mov_b32 s9, s3
	s_delay_alu instid0(SALU_CYCLE_1)
	s_cmp_lg_u64 s[8:9], 0
	s_cbranch_scc0 .LBB25_22
; %bb.4:
	s_add_nc_u64 s[10:11], s[16:17], 0
	s_mov_b32 s23, s8
	s_xor_b64 s[10:11], s[10:11], 0
	s_mov_b32 s27, s8
	s_cvt_f32_u32 s7, s10
	s_cvt_f32_u32 s9, s11
	s_sub_nc_u64 s[14:15], 0, s[10:11]
	s_wait_alu 0xfffe
	s_delay_alu instid0(SALU_CYCLE_1) | instskip(SKIP_1) | instid1(SALU_CYCLE_2)
	s_fmamk_f32 s7, s9, 0x4f800000, s7
	s_wait_alu 0xfffe
	v_s_rcp_f32 s7, s7
	s_delay_alu instid0(TRANS32_DEP_1) | instskip(SKIP_1) | instid1(SALU_CYCLE_2)
	s_mul_f32 s7, s7, 0x5f7ffffc
	s_wait_alu 0xfffe
	s_mul_f32 s9, s7, 0x2f800000
	s_delay_alu instid0(SALU_CYCLE_3) | instskip(NEXT) | instid1(SALU_CYCLE_3)
	s_trunc_f32 s9, s9
	s_fmamk_f32 s7, s9, 0xcf800000, s7
	s_cvt_u32_f32 s13, s9
	s_wait_alu 0xfffe
	s_delay_alu instid0(SALU_CYCLE_1) | instskip(NEXT) | instid1(SALU_CYCLE_3)
	s_cvt_u32_f32 s12, s7
	s_mul_u64 s[24:25], s[14:15], s[12:13]
	s_delay_alu instid0(SALU_CYCLE_1)
	s_mul_hi_u32 s29, s12, s25
	s_mul_i32 s28, s12, s25
	s_mul_hi_u32 s22, s12, s24
	s_mul_i32 s9, s13, s24
	s_add_nc_u64 s[22:23], s[22:23], s[28:29]
	s_mul_hi_u32 s7, s13, s24
	s_mul_hi_u32 s21, s13, s25
	s_add_co_u32 s9, s22, s9
	s_wait_alu 0xfffe
	s_add_co_ci_u32 s26, s23, s7
	s_mul_i32 s24, s13, s25
	s_add_co_ci_u32 s25, s21, 0
	s_delay_alu instid0(SALU_CYCLE_1)
	s_add_nc_u64 s[22:23], s[26:27], s[24:25]
	s_mov_b32 s25, s8
	s_add_co_u32 s12, s12, s22
	s_cselect_b32 s7, -1, 0
	s_wait_alu 0xfffe
	s_cmp_lg_u32 s7, 0
	s_add_co_ci_u32 s13, s13, s23
	s_mov_b32 s23, s8
	s_mul_u64 s[14:15], s[14:15], s[12:13]
	s_delay_alu instid0(SALU_CYCLE_1)
	s_mul_hi_u32 s27, s12, s15
	s_mul_i32 s26, s12, s15
	s_mul_hi_u32 s22, s12, s14
	s_mul_i32 s9, s13, s14
	s_add_nc_u64 s[22:23], s[22:23], s[26:27]
	s_mul_hi_u32 s7, s13, s14
	s_mul_hi_u32 s21, s13, s15
	s_add_co_u32 s9, s22, s9
	s_wait_alu 0xfffe
	s_add_co_ci_u32 s24, s23, s7
	s_mul_i32 s14, s13, s15
	s_add_co_ci_u32 s15, s21, 0
	s_mov_b32 s23, s8
	s_add_nc_u64 s[14:15], s[24:25], s[14:15]
	s_delay_alu instid0(SALU_CYCLE_1) | instskip(SKIP_1) | instid1(SALU_CYCLE_1)
	s_add_co_u32 s7, s12, s14
	s_cselect_b32 s9, -1, 0
	s_cmp_lg_u32 s9, 0
	s_add_co_ci_u32 s9, s13, s15
	s_ashr_i32 s12, s3, 31
	s_delay_alu instid0(SALU_CYCLE_1) | instskip(NEXT) | instid1(SALU_CYCLE_1)
	s_mov_b32 s13, s12
	s_add_nc_u64 s[14:15], s[2:3], s[12:13]
	s_delay_alu instid0(SALU_CYCLE_1) | instskip(NEXT) | instid1(SALU_CYCLE_1)
	s_xor_b64 s[14:15], s[14:15], s[12:13]
	s_mul_hi_u32 s27, s14, s9
	s_mul_i32 s26, s14, s9
	s_wait_alu 0xfffe
	s_mul_hi_u32 s22, s14, s7
	s_mul_hi_u32 s21, s15, s7
	s_mul_i32 s7, s15, s7
	s_add_nc_u64 s[22:23], s[22:23], s[26:27]
	s_mul_hi_u32 s3, s15, s9
	s_wait_alu 0xfffe
	s_add_co_u32 s7, s22, s7
	s_add_co_ci_u32 s24, s23, s21
	s_mul_i32 s26, s15, s9
	s_add_co_ci_u32 s27, s3, 0
	s_delay_alu instid0(SALU_CYCLE_1) | instskip(NEXT) | instid1(SALU_CYCLE_1)
	s_add_nc_u64 s[22:23], s[24:25], s[26:27]
	s_mul_u64 s[24:25], s[10:11], s[22:23]
	s_add_nc_u64 s[26:27], s[22:23], 1
	s_sub_co_u32 s3, s14, s24
	s_cselect_b32 s7, -1, 0
	s_sub_co_i32 s9, s15, s25
	s_wait_alu 0xfffe
	s_cmp_lg_u32 s7, 0
	s_add_nc_u64 s[28:29], s[22:23], 2
	s_sub_co_ci_u32 s9, s9, s11
	s_sub_co_u32 s14, s3, s10
	s_cselect_b32 s21, -1, 0
	s_delay_alu instid0(SALU_CYCLE_1) | instskip(SKIP_1) | instid1(SALU_CYCLE_1)
	s_cmp_lg_u32 s21, 0
	s_sub_co_ci_u32 s9, s9, 0
	s_cmp_ge_u32 s9, s11
	s_cselect_b32 s21, -1, 0
	s_cmp_ge_u32 s14, s10
	s_cselect_b32 s14, -1, 0
	s_cmp_eq_u32 s9, s11
	s_cselect_b32 s9, s14, s21
	s_delay_alu instid0(SALU_CYCLE_1)
	s_cmp_lg_u32 s9, 0
	s_cselect_b32 s9, s28, s26
	s_cselect_b32 s14, s29, s27
	s_cmp_lg_u32 s7, 0
	s_sub_co_ci_u32 s7, s15, s25
	s_wait_alu 0xfffe
	s_cmp_ge_u32 s7, s11
	s_cselect_b32 s15, -1, 0
	s_cmp_ge_u32 s3, s10
	s_cselect_b32 s3, -1, 0
	s_cmp_eq_u32 s7, s11
	s_cselect_b32 s3, s3, s15
	s_delay_alu instid0(SALU_CYCLE_1) | instskip(SKIP_3) | instid1(SALU_CYCLE_1)
	s_cmp_lg_u32 s3, 0
	s_cselect_b32 s11, s14, s23
	s_cselect_b32 s10, s9, s22
	s_xor_b64 s[12:13], s[12:13], 0
	s_xor_b64 s[10:11], s[10:11], s[12:13]
	s_delay_alu instid0(SALU_CYCLE_1)
	s_sub_nc_u64 s[10:11], s[10:11], s[12:13]
	s_load_b96 s[12:14], s[0:1], 0x44
	s_and_not1_b32 vcc_lo, exec_lo, s8
	s_cbranch_vccnz .LBB25_6
.LBB25_5:
	v_cvt_f32_u32_e32 v1, s16
	s_sub_co_i32 s7, 0, s16
	s_delay_alu instid0(VALU_DEP_1) | instskip(NEXT) | instid1(TRANS32_DEP_1)
	v_rcp_iflag_f32_e32 v1, v1
	v_mul_f32_e32 v1, 0x4f7ffffe, v1
	s_delay_alu instid0(VALU_DEP_1) | instskip(NEXT) | instid1(VALU_DEP_1)
	v_cvt_u32_f32_e32 v1, v1
	v_readfirstlane_b32 s3, v1
	s_wait_alu 0xfffe
	s_mul_i32 s7, s7, s3
	s_wait_alu 0xfffe
	s_mul_hi_u32 s7, s3, s7
	s_wait_alu 0xfffe
	s_add_co_i32 s3, s3, s7
	s_delay_alu instid0(SALU_CYCLE_1) | instskip(NEXT) | instid1(SALU_CYCLE_1)
	s_mul_hi_u32 s3, s2, s3
	s_mul_i32 s7, s3, s16
	s_wait_alu 0xfffe
	s_sub_co_i32 s2, s2, s7
	s_add_co_i32 s7, s3, 1
	s_sub_co_i32 s8, s2, s16
	s_cmp_ge_u32 s2, s16
	s_wait_alu 0xfffe
	s_cselect_b32 s3, s7, s3
	s_cselect_b32 s2, s8, s2
	s_add_co_i32 s7, s3, 1
	s_cmp_ge_u32 s2, s16
	s_wait_alu 0xfffe
	s_cselect_b32 s10, s7, s3
.LBB25_6:
	s_mov_b32 s21, 0
	s_wait_kmcnt 0x0
	s_mov_b32 s22, s12
	s_mov_b32 s23, s21
	s_cmp_eq_u32 s20, s10
	s_mul_u64 s[2:3], s[20:21], s[22:23]
	s_cselect_b32 s7, -1, 0
	s_add_co_i32 s2, s3, s20
	s_mov_b32 s11, s21
	s_lshr_b32 s12, s2, s13
	s_mul_u64 s[2:3], s[10:11], s[22:23]
	s_mul_i32 s2, s12, s14
	s_delay_alu instid0(SALU_CYCLE_1) | instskip(SKIP_2) | instid1(SALU_CYCLE_1)
	s_cmp_eq_u32 s2, s20
	s_cselect_b32 s2, -1, 0
	s_add_co_i32 s3, s3, s10
	s_lshr_b32 s3, s3, s13
	s_delay_alu instid0(SALU_CYCLE_1)
	s_cmp_eq_u32 s12, s3
	s_mul_i32 s3, s3, s14
	s_cselect_b32 s8, -1, 0
	s_cmp_lg_u32 s3, s10
	s_cselect_b32 s3, -1, 0
	s_wait_alu 0xfffe
	s_or_b32 s2, s7, s2
	s_and_b32 s3, s8, s3
	s_delay_alu instid0(SALU_CYCLE_1) | instskip(NEXT) | instid1(SALU_CYCLE_1)
	s_or_b32 s2, s2, s3
	s_and_b32 vcc_lo, exec_lo, s2
	s_cbranch_vccnz .LBB25_24
; %bb.7:
	s_load_b256 s[24:31], s[0:1], 0x20
	s_mov_b32 s3, s21
	s_load_b32 s7, s[0:1], 0x40
	s_and_b32 s15, ttmp7, 0xffff
	s_wait_kmcnt 0x0
	s_mov_b32 s2, s24
	s_delay_alu instid0(SALU_CYCLE_1) | instskip(NEXT) | instid1(SALU_CYCLE_1)
	s_mul_u64 s[2:3], s[20:21], s[2:3]
	s_add_co_i32 s2, s3, s20
	s_delay_alu instid0(SALU_CYCLE_1) | instskip(NEXT) | instid1(SALU_CYCLE_1)
	s_lshr_b32 s2, s2, s25
	s_mul_i32 s3, s2, s26
	s_delay_alu instid0(SALU_CYCLE_1) | instskip(NEXT) | instid1(SALU_CYCLE_1)
	s_sub_co_i32 s8, s20, s3
	s_mul_hi_u32 s3, s8, s27
	s_delay_alu instid0(SALU_CYCLE_1) | instskip(NEXT) | instid1(SALU_CYCLE_1)
	s_add_co_i32 s3, s8, s3
	s_lshr_b32 s3, s3, s28
	s_delay_alu instid0(SALU_CYCLE_1) | instskip(NEXT) | instid1(SALU_CYCLE_1)
	s_mul_i32 s9, s3, s29
	s_sub_co_i32 s8, s8, s9
	s_delay_alu instid0(SALU_CYCLE_1) | instskip(NEXT) | instid1(SALU_CYCLE_1)
	s_mul_hi_u32 s9, s8, s30
	s_add_co_i32 s9, s8, s9
	s_delay_alu instid0(SALU_CYCLE_1)
	s_lshr_b32 s24, s9, s31
	s_mov_b32 s9, s21
	s_mul_i32 s7, s24, s7
	s_lshr_b32 s21, ttmp7, 16
	s_wait_alu 0xfffe
	s_sub_co_i32 s8, s8, s7
	s_lshl_b32 s24, s24, 2
	s_mul_u64 s[10:11], s[8:9], s[22:23]
	s_delay_alu instid0(SALU_CYCLE_1)
	s_add_co_i32 s7, s8, s11
	s_wait_alu 0xfffe
	s_lshr_b32 s7, s7, s13
	s_wait_alu 0xfffe
	s_add_co_i32 s7, s7, s15
	s_wait_alu 0xfffe
	s_cmp_lt_i32 s7, s4
	s_cselect_b32 s8, -1, 0
	s_add_co_i32 s24, s24, s21
	s_delay_alu instid0(SALU_CYCLE_1) | instskip(SKIP_1) | instid1(SALU_CYCLE_1)
	s_cmp_lt_i32 s24, s6
	s_cselect_b32 s9, -1, 0
	s_and_b32 s8, s8, s9
	s_delay_alu instid0(SALU_CYCLE_1)
	s_and_not1_b32 vcc_lo, exec_lo, s8
	s_cbranch_vccnz .LBB25_24
; %bb.8:
	s_mul_i32 s2, s2, s4
	s_load_b128 s[8:11], s[0:1], 0x0
	s_mul_i32 s3, s3, s6
	s_add_co_i32 s0, s7, s2
	s_add_co_i32 s1, s24, s3
	s_mul_i32 s0, s0, s5
	v_cvt_f32_u32_e32 v4, s16
	s_add_co_i32 s1, s1, s0
	s_add_co_i32 s34, ttmp9, -1
	v_lshl_or_b32 v1, s1, 8, v0
	s_add_nc_u64 s[0:1], s[16:17], 0
	v_rcp_iflag_f32_e32 v4, v4
	s_wait_alu 0xfffe
	s_xor_b64 s[6:7], s[0:1], 0
	s_add_co_i32 s0, s15, ttmp9
	v_ashrrev_i32_e32 v2, 31, v1
	s_wait_alu 0xfffe
	s_cvt_f32_u32 s1, s6
	s_cvt_f32_u32 s2, s7
	s_lshl_b32 s0, s0, 2
	v_lshl_or_b32 v0, s21, 8, v0
	v_lshlrev_b64_e32 v[1:2], 2, v[1:2]
	s_wait_alu 0xfffe
	s_add_co_i32 s0, s0, s21
	s_fmamk_f32 s2, s2, 0x4f800000, s1
	s_wait_alu 0xfffe
	s_ashr_i32 s1, s0, 31
	s_sub_nc_u64 s[30:31], 0, s[6:7]
	s_wait_alu 0xfffe
	s_lshl_b64 s[0:1], s[0:1], 3
	s_wait_kmcnt 0x0
	v_add_co_u32 v1, vcc_lo, s8, v1
	s_delay_alu instid0(VALU_DEP_1)
	v_add_co_ci_u32_e64 v2, null, s9, v2, vcc_lo
	v_s_rcp_f32 s2, s2
	s_wait_alu 0xfffe
	s_add_nc_u64 s[0:1], s[10:11], s[0:1]
	s_mov_b32 s8, 0
	global_load_b32 v3, v[1:2], off
	s_load_b64 s[26:27], s[0:1], 0x0
	v_mul_f32_e32 v4, 0x4f7ffffe, v4
	s_lshl_b32 s0, s16, 4
	s_mul_f32 s2, s2, 0x5f7ffffc
	s_wait_alu 0xfffe
	s_delay_alu instid0(SALU_CYCLE_2) | instskip(SKIP_1) | instid1(SALU_CYCLE_2)
	s_mul_f32 s1, s2, 0x2f800000
	s_wait_alu 0xfffe
	s_trunc_f32 s3, s1
	s_mov_b32 s1, s8
	s_wait_alu 0xfffe
	s_lshl_b64 s[0:1], s[0:1], 2
	s_fmamk_f32 s2, s3, 0xcf800000, s2
	s_cvt_u32_f32 s29, s3
	s_wait_alu 0xfffe
	s_add_nc_u64 s[24:25], s[10:11], s[0:1]
	s_cvt_u32_f32 s28, s2
	s_wait_kmcnt 0x0
	v_mov_b32_e32 v5, s27
	v_cvt_u32_f32_e32 v4, v4
.LBB25_9:                               ; =>This Inner Loop Header: Depth=1
	s_wait_alu 0xfffe
	s_ashr_i32 s35, s34, 31
	s_mov_b32 s2, -1
	s_wait_alu 0xfffe
	s_mul_u64 s[0:1], s[34:35], s[18:19]
                                        ; implicit-def: $sgpr38_sgpr39
	s_wait_alu 0xfffe
	s_mov_b32 s9, s1
	s_wait_alu 0xfffe
	s_cmp_lg_u64 s[8:9], 0
	s_cbranch_scc0 .LBB25_11
; %bb.10:                               ;   in Loop: Header=BB25_9 Depth=1
	s_mul_u64 s[2:3], s[30:31], s[28:29]
	s_mov_b32 s37, s8
	s_wait_alu 0xfffe
	s_mul_hi_u32 s5, s28, s3
	s_mul_i32 s4, s28, s3
	s_mul_hi_u32 s36, s28, s2
	s_mul_hi_u32 s9, s29, s2
	s_wait_alu 0xfffe
	s_add_nc_u64 s[4:5], s[36:37], s[4:5]
	s_mul_i32 s2, s29, s2
	s_mul_hi_u32 s17, s29, s3
	s_wait_alu 0xfffe
	s_add_co_u32 s2, s4, s2
	s_add_co_ci_u32 s2, s5, s9
	s_add_co_ci_u32 s5, s17, 0
	s_mul_i32 s4, s29, s3
	s_mov_b32 s3, s8
	s_mov_b32 s39, s8
	s_wait_alu 0xfffe
	s_add_nc_u64 s[2:3], s[2:3], s[4:5]
	s_wait_alu 0xfffe
	s_add_co_u32 s2, s28, s2
	s_cselect_b32 s4, -1, 0
	s_wait_alu 0xfffe
	s_cmp_lg_u32 s4, 0
	s_add_co_ci_u32 s3, s29, s3
	s_wait_alu 0xfffe
	s_mul_u64 s[4:5], s[30:31], s[2:3]
	s_wait_alu 0xfffe
	s_mul_hi_u32 s37, s2, s5
	s_mul_i32 s36, s2, s5
	s_mul_hi_u32 s38, s2, s4
	s_mul_hi_u32 s9, s3, s4
	s_mul_i32 s4, s3, s4
	s_wait_alu 0xfffe
	s_add_nc_u64 s[36:37], s[38:39], s[36:37]
	s_mul_hi_u32 s17, s3, s5
	s_wait_alu 0xfffe
	s_add_co_u32 s4, s36, s4
	s_add_co_ci_u32 s4, s37, s9
	s_add_co_ci_u32 s37, s17, 0
	s_mul_i32 s36, s3, s5
	s_mov_b32 s5, s8
	s_wait_alu 0xfffe
	s_add_nc_u64 s[4:5], s[4:5], s[36:37]
	s_mov_b32 s37, s8
	s_wait_alu 0xfffe
	s_add_co_u32 s9, s2, s4
	s_cselect_b32 s2, -1, 0
	s_wait_alu 0xfffe
	s_cmp_lg_u32 s2, 0
	s_add_co_ci_u32 s17, s3, s5
	s_ashr_i32 s2, s1, 31
	s_wait_alu 0xfffe
	s_mov_b32 s3, s2
	s_wait_alu 0xfffe
	s_add_nc_u64 s[4:5], s[0:1], s[2:3]
	s_wait_alu 0xfffe
	s_xor_b64 s[4:5], s[4:5], s[2:3]
	s_wait_alu 0xfffe
	s_mul_hi_u32 s39, s4, s17
	s_mul_i32 s38, s4, s17
	s_mul_hi_u32 s36, s4, s9
	s_mul_i32 s27, s5, s9
	s_wait_alu 0xfffe
	s_add_nc_u64 s[36:37], s[36:37], s[38:39]
	s_mul_hi_u32 s9, s5, s9
	s_mul_hi_u32 s1, s5, s17
	s_wait_alu 0xfffe
	s_add_co_u32 s27, s36, s27
	s_add_co_ci_u32 s36, s37, s9
	s_add_co_ci_u32 s39, s1, 0
	s_mul_i32 s38, s5, s17
	s_mov_b32 s37, s8
	s_wait_alu 0xfffe
	s_add_nc_u64 s[36:37], s[36:37], s[38:39]
	s_wait_alu 0xfffe
	s_mul_u64 s[38:39], s[6:7], s[36:37]
	s_add_nc_u64 s[40:41], s[36:37], 1
	s_wait_alu 0xfffe
	s_sub_co_u32 s1, s4, s38
	s_cselect_b32 s4, -1, 0
	s_sub_co_i32 s9, s5, s39
	s_wait_alu 0xfffe
	s_cmp_lg_u32 s4, 0
	s_add_nc_u64 s[42:43], s[36:37], 2
	s_sub_co_ci_u32 s9, s9, s7
	s_sub_co_u32 s17, s1, s6
	s_cselect_b32 s27, -1, 0
	s_wait_alu 0xfffe
	s_cmp_lg_u32 s27, 0
	s_sub_co_ci_u32 s9, s9, 0
	s_wait_alu 0xfffe
	s_cmp_ge_u32 s9, s7
	s_cselect_b32 s27, -1, 0
	s_cmp_ge_u32 s17, s6
	s_cselect_b32 s17, -1, 0
	s_cmp_eq_u32 s9, s7
	s_wait_alu 0xfffe
	s_cselect_b32 s9, s17, s27
	s_wait_alu 0xfffe
	s_cmp_lg_u32 s9, 0
	s_cselect_b32 s9, s42, s40
	s_cselect_b32 s17, s43, s41
	s_cmp_lg_u32 s4, 0
	s_sub_co_ci_u32 s4, s5, s39
	s_wait_alu 0xfffe
	s_cmp_ge_u32 s4, s7
	s_cselect_b32 s5, -1, 0
	s_cmp_ge_u32 s1, s6
	s_cselect_b32 s1, -1, 0
	s_cmp_eq_u32 s4, s7
	s_wait_alu 0xfffe
	s_cselect_b32 s1, s1, s5
	s_wait_alu 0xfffe
	s_cmp_lg_u32 s1, 0
	s_cselect_b32 s5, s17, s37
	s_cselect_b32 s4, s9, s36
	s_xor_b64 s[2:3], s[2:3], 0
	s_wait_alu 0xfffe
	s_xor_b64 s[4:5], s[4:5], s[2:3]
	s_wait_alu 0xfffe
	s_sub_nc_u64 s[38:39], s[4:5], s[2:3]
	s_mov_b32 s2, 0
.LBB25_11:                              ;   in Loop: Header=BB25_9 Depth=1
	s_wait_alu 0xfffe
	s_and_not1_b32 vcc_lo, exec_lo, s2
	s_wait_alu 0xfffe
	s_cbranch_vccnz .LBB25_13
; %bb.12:                               ;   in Loop: Header=BB25_9 Depth=1
	v_readfirstlane_b32 s1, v4
	s_sub_co_i32 s2, 0, s16
	s_wait_alu 0xfffe
	s_mul_i32 s2, s2, s1
	s_wait_alu 0xfffe
	s_mul_hi_u32 s2, s1, s2
	s_wait_alu 0xfffe
	s_add_co_i32 s1, s1, s2
	s_wait_alu 0xfffe
	s_mul_hi_u32 s1, s0, s1
	s_wait_alu 0xfffe
	s_mul_i32 s2, s1, s16
	s_wait_alu 0xfffe
	s_sub_co_i32 s0, s0, s2
	s_add_co_i32 s2, s1, 1
	s_wait_alu 0xfffe
	s_sub_co_i32 s3, s0, s16
	s_cmp_ge_u32 s0, s16
	s_cselect_b32 s1, s2, s1
	s_wait_alu 0xfffe
	s_cselect_b32 s0, s3, s0
	s_add_co_i32 s2, s1, 1
	s_wait_alu 0xfffe
	s_cmp_ge_u32 s0, s16
	s_cselect_b32 s38, s2, s1
.LBB25_13:                              ;   in Loop: Header=BB25_9 Depth=1
	v_readfirstlane_b32 s9, v0
	s_wait_alu 0xfffe
	s_cmp_lg_u32 s20, s38
	s_mov_b32 s0, -1
                                        ; implicit-def: $sgpr27
                                        ; implicit-def: $vgpr6
                                        ; implicit-def: $vgpr7
                                        ; implicit-def: $sgpr17
                                        ; implicit-def: $sgpr33
	s_cbranch_scc1 .LBB25_16
; %bb.14:                               ;   in Loop: Header=BB25_9 Depth=1
	s_wait_alu 0xfffe
	s_and_not1_b32 vcc_lo, exec_lo, s0
	s_wait_alu 0xfffe
	s_cbranch_vccz .LBB25_19
.LBB25_15:                              ;   in Loop: Header=BB25_9 Depth=1
	s_and_not1_b32 vcc_lo, exec_lo, s27
	s_wait_alu 0xfffe
	s_cbranch_vccnz .LBB25_20
	s_branch .LBB25_23
.LBB25_16:                              ;   in Loop: Header=BB25_9 Depth=1
	s_add_co_i32 s40, s34, s15
	s_mov_b32 s1, s8
	s_wait_alu 0xfffe
	s_add_co_i32 s0, s40, s16
	v_max_num_f32_e64 v6, s26, s26
	s_wait_alu 0xfffe
	s_lshl_b32 s0, s0, 2
	s_mov_b32 s39, s8
	s_wait_alu 0xfffe
	s_add_co_i32 s0, s0, s21
	s_mul_u64 s[42:43], s[38:39], s[22:23]
	s_wait_alu 0xfffe
	s_lshl_b64 s[0:1], s[0:1], 3
	s_mov_b32 s33, s20
	s_wait_alu 0xfffe
	s_add_nc_u64 s[0:1], s[10:11], s[0:1]
	s_load_b64 s[36:37], s[0:1], 0x0
	v_readfirstlane_b32 s0, v6
	s_wait_kmcnt 0x0
	v_max_num_f32_e64 v7, s36, s36
	s_delay_alu instid0(VALU_DEP_1) | instskip(SKIP_2) | instid1(SALU_CYCLE_2)
	v_readfirstlane_b32 s1, v7
	s_max_num_f32 s9, s0, s1
	s_wait_alu 0xfffe
	s_sub_f32 s35, s26, s9
	s_sub_f32 s36, s36, s9
	s_wait_alu 0xfffe
	s_delay_alu instid0(SALU_CYCLE_1)
	s_cmp_nlt_f32 s35, 0xc2ce8ed0
	s_cselect_b32 s0, -1, 0
	s_cmp_ngt_f32 s35, 0x42b17218
	s_cselect_b32 s1, -1, 0
	s_cmp_ge_f32 s35, 0xc1a00000
	s_cselect_b32 s2, -1, 0
	s_cmp_nlt_f32 s36, 0xc2ce8ed0
	s_cselect_b32 s3, -1, 0
	s_cmp_ngt_f32 s36, 0x42b17218
	s_cselect_b32 s4, -1, 0
	s_cmp_ge_f32 s36, 0xc1a00000
	s_cselect_b32 s5, -1, 0
	s_add_co_i32 s17, s43, s38
	s_wait_alu 0xfffe
	s_lshr_b32 s17, s17, s13
	s_wait_alu 0xfffe
	s_mul_i32 s27, s17, s14
	s_wait_alu 0xfffe
	s_cmp_eq_u32 s27, s38
	s_cselect_b32 s27, -1, 0
	s_cmp_lt_u32 s17, s12
	s_cselect_b32 s17, -1, 0
	s_wait_alu 0xfffe
	s_or_b32 s17, s17, s27
	s_mov_b32 s27, -1
	s_wait_alu 0xfffe
	s_and_b32 vcc_lo, exec_lo, s17
	s_mov_b32 s17, s34
	s_wait_alu 0xfffe
	s_cbranch_vccnz .LBB25_18
; %bb.17:                               ;   in Loop: Header=BB25_9 Depth=1
	s_add_co_i32 s17, s34, -1
	s_mov_b32 s27, 0
	s_mov_b32 s33, s38
.LBB25_18:                              ;   in Loop: Header=BB25_9 Depth=1
	v_lshl_add_u32 v6, s40, 10, v0
	s_mul_f32 s38, s36, 0x3fb8aa3b
	s_mul_f32 s39, s35, 0x3fb8aa3b
	s_wait_alu 0xfffe
	s_delay_alu instid0(SALU_CYCLE_1)
	s_xor_b32 s40, s38, 0x80000000
	v_ashrrev_i32_e32 v7, 31, v6
	s_rndne_f32 s41, s38
	s_wait_alu 0xfffe
	s_fmamk_f32 s40, s36, 0x3fb8aa3b, s40
	s_xor_b32 s42, s39, 0x80000000
	s_rndne_f32 s43, s39
	v_lshlrev_b64_e32 v[6:7], 2, v[6:7]
	s_sub_f32 s38, s38, s41
	s_wait_alu 0xfffe
	s_fmamk_f32 s36, s36, 0x32a5705f, s40
	s_fmamk_f32 s40, s35, 0x3fb8aa3b, s42
	s_sub_f32 s39, s39, s43
	v_add_co_u32 v6, vcc_lo, s24, v6
	s_wait_alu 0xfffd
	v_add_co_ci_u32_e64 v7, null, s25, v7, vcc_lo
	s_wait_alu 0xfffe
	s_add_f32 s36, s38, s36
	s_fmamk_f32 s35, s35, 0x32a5705f, s40
	s_cvt_i32_f32 s38, s41
	global_load_b32 v6, v[6:7], off
	s_wait_alu 0xfffe
	v_s_exp_f32 s36, s36
	s_add_f32 s35, s39, s35
	s_wait_alu 0xfffe
	s_delay_alu instid0(SALU_CYCLE_2) | instskip(NEXT) | instid1(TRANS32_DEP_2)
	v_s_exp_f32 s35, s35
	v_ldexp_f32 v7, s36, s38
	s_cvt_i32_f32 s36, s43
	s_wait_alu 0xf1fe
	s_delay_alu instid0(TRANS32_DEP_1) | instid1(SALU_CYCLE_2)
	v_ldexp_f32 v8, s35, s36
	s_delay_alu instid0(VALU_DEP_2) | instskip(NEXT) | instid1(VALU_DEP_2)
	v_cndmask_b32_e64 v7, 0, v7, s3
	v_cndmask_b32_e64 v8, 0, v8, s0
	s_delay_alu instid0(VALU_DEP_2) | instskip(NEXT) | instid1(VALU_DEP_2)
	v_cndmask_b32_e64 v7, 0x7f800000, v7, s4
	v_cndmask_b32_e64 v8, 0x7f800000, v8, s1
	;; [unrolled: 3-line block ×3, first 2 shown]
	s_wait_loadcnt 0x0
	s_delay_alu instid0(VALU_DEP_2) | instskip(SKIP_1) | instid1(VALU_DEP_1)
	v_mul_f32_e32 v6, v6, v7
	v_mul_f32_e32 v7, s37, v7
	v_fmac_f32_e32 v7, v5, v8
	s_delay_alu instid0(VALU_DEP_3)
	v_fmac_f32_e32 v6, v3, v8
	s_cbranch_execnz .LBB25_15
.LBB25_19:                              ;   in Loop: Header=BB25_9 Depth=1
	s_wait_loadcnt 0x0
	v_dual_mov_b32 v7, v5 :: v_dual_mov_b32 v6, v3
	s_add_co_i32 s17, s34, -1
	s_mov_b32 s33, s20
	s_mov_b32 s9, s26
	s_cbranch_execz .LBB25_23
.LBB25_20:                              ;   in Loop: Header=BB25_9 Depth=1
	v_mov_b32_e32 v5, v7
	s_wait_loadcnt 0x0
	v_mov_b32_e32 v3, v6
	s_mov_b32 s20, s33
	s_wait_alu 0xfffe
	s_mov_b32 s34, s17
	s_mov_b32 s26, s9
	s_branch .LBB25_9
.LBB25_21:
                                        ; implicit-def: $sgpr20_sgpr21
	s_branch .LBB25_2
.LBB25_22:
                                        ; implicit-def: $sgpr10_sgpr11
	s_load_b96 s[12:14], s[0:1], 0x44
	s_branch .LBB25_5
.LBB25_23:
	v_div_scale_f32 v0, null, v7, v7, v6
	s_wait_loadcnt 0x0
	s_delay_alu instid0(VALU_DEP_1) | instskip(NEXT) | instid1(TRANS32_DEP_1)
	v_rcp_f32_e32 v3, v0
	v_fma_f32 v4, -v0, v3, 1.0
	s_delay_alu instid0(VALU_DEP_1) | instskip(SKIP_1) | instid1(VALU_DEP_1)
	v_fmac_f32_e32 v3, v4, v3
	v_div_scale_f32 v4, vcc_lo, v6, v7, v6
	v_mul_f32_e32 v5, v4, v3
	s_delay_alu instid0(VALU_DEP_1) | instskip(NEXT) | instid1(VALU_DEP_1)
	v_fma_f32 v8, -v0, v5, v4
	v_fmac_f32_e32 v5, v8, v3
	s_delay_alu instid0(VALU_DEP_1) | instskip(SKIP_1) | instid1(VALU_DEP_1)
	v_fma_f32 v0, -v0, v5, v4
	s_wait_alu 0xfffd
	v_div_fmas_f32 v0, v0, v3, v5
	s_delay_alu instid0(VALU_DEP_1)
	v_div_fixup_f32 v0, v0, v7, v6
	global_store_b32 v[1:2], v0, off
.LBB25_24:
	s_endpgm
	.section	.rodata,"a",@progbits
	.p2align	6, 0x0
	.amdhsa_kernel _ZL33flash_attn_stream_k_fixup_generalILi256ELi1ELi4EEvPfPK15HIP_vector_typeIfLj2EEiiiiS1_IjLj3EES5_S5_S5_
		.amdhsa_group_segment_fixed_size 0
		.amdhsa_private_segment_fixed_size 0
		.amdhsa_kernarg_size 336
		.amdhsa_user_sgpr_count 2
		.amdhsa_user_sgpr_dispatch_ptr 0
		.amdhsa_user_sgpr_queue_ptr 0
		.amdhsa_user_sgpr_kernarg_segment_ptr 1
		.amdhsa_user_sgpr_dispatch_id 0
		.amdhsa_user_sgpr_private_segment_size 0
		.amdhsa_wavefront_size32 1
		.amdhsa_uses_dynamic_stack 0
		.amdhsa_enable_private_segment 0
		.amdhsa_system_sgpr_workgroup_id_x 1
		.amdhsa_system_sgpr_workgroup_id_y 1
		.amdhsa_system_sgpr_workgroup_id_z 1
		.amdhsa_system_sgpr_workgroup_info 0
		.amdhsa_system_vgpr_workitem_id 0
		.amdhsa_next_free_vgpr 9
		.amdhsa_next_free_sgpr 44
		.amdhsa_reserve_vcc 1
		.amdhsa_float_round_mode_32 0
		.amdhsa_float_round_mode_16_64 0
		.amdhsa_float_denorm_mode_32 3
		.amdhsa_float_denorm_mode_16_64 3
		.amdhsa_fp16_overflow 0
		.amdhsa_workgroup_processor_mode 1
		.amdhsa_memory_ordered 1
		.amdhsa_forward_progress 1
		.amdhsa_inst_pref_size 28
		.amdhsa_round_robin_scheduling 0
		.amdhsa_exception_fp_ieee_invalid_op 0
		.amdhsa_exception_fp_denorm_src 0
		.amdhsa_exception_fp_ieee_div_zero 0
		.amdhsa_exception_fp_ieee_overflow 0
		.amdhsa_exception_fp_ieee_underflow 0
		.amdhsa_exception_fp_ieee_inexact 0
		.amdhsa_exception_int_div_zero 0
	.end_amdhsa_kernel
	.section	.text._ZL33flash_attn_stream_k_fixup_generalILi256ELi1ELi4EEvPfPK15HIP_vector_typeIfLj2EEiiiiS1_IjLj3EES5_S5_S5_,"axG",@progbits,_ZL33flash_attn_stream_k_fixup_generalILi256ELi1ELi4EEvPfPK15HIP_vector_typeIfLj2EEiiiiS1_IjLj3EES5_S5_S5_,comdat
.Lfunc_end25:
	.size	_ZL33flash_attn_stream_k_fixup_generalILi256ELi1ELi4EEvPfPK15HIP_vector_typeIfLj2EEiiiiS1_IjLj3EES5_S5_S5_, .Lfunc_end25-_ZL33flash_attn_stream_k_fixup_generalILi256ELi1ELi4EEvPfPK15HIP_vector_typeIfLj2EEiiiiS1_IjLj3EES5_S5_S5_
                                        ; -- End function
	.set _ZL33flash_attn_stream_k_fixup_generalILi256ELi1ELi4EEvPfPK15HIP_vector_typeIfLj2EEiiiiS1_IjLj3EES5_S5_S5_.num_vgpr, 9
	.set _ZL33flash_attn_stream_k_fixup_generalILi256ELi1ELi4EEvPfPK15HIP_vector_typeIfLj2EEiiiiS1_IjLj3EES5_S5_S5_.num_agpr, 0
	.set _ZL33flash_attn_stream_k_fixup_generalILi256ELi1ELi4EEvPfPK15HIP_vector_typeIfLj2EEiiiiS1_IjLj3EES5_S5_S5_.numbered_sgpr, 44
	.set _ZL33flash_attn_stream_k_fixup_generalILi256ELi1ELi4EEvPfPK15HIP_vector_typeIfLj2EEiiiiS1_IjLj3EES5_S5_S5_.num_named_barrier, 0
	.set _ZL33flash_attn_stream_k_fixup_generalILi256ELi1ELi4EEvPfPK15HIP_vector_typeIfLj2EEiiiiS1_IjLj3EES5_S5_S5_.private_seg_size, 0
	.set _ZL33flash_attn_stream_k_fixup_generalILi256ELi1ELi4EEvPfPK15HIP_vector_typeIfLj2EEiiiiS1_IjLj3EES5_S5_S5_.uses_vcc, 1
	.set _ZL33flash_attn_stream_k_fixup_generalILi256ELi1ELi4EEvPfPK15HIP_vector_typeIfLj2EEiiiiS1_IjLj3EES5_S5_S5_.uses_flat_scratch, 0
	.set _ZL33flash_attn_stream_k_fixup_generalILi256ELi1ELi4EEvPfPK15HIP_vector_typeIfLj2EEiiiiS1_IjLj3EES5_S5_S5_.has_dyn_sized_stack, 0
	.set _ZL33flash_attn_stream_k_fixup_generalILi256ELi1ELi4EEvPfPK15HIP_vector_typeIfLj2EEiiiiS1_IjLj3EES5_S5_S5_.has_recursion, 0
	.set _ZL33flash_attn_stream_k_fixup_generalILi256ELi1ELi4EEvPfPK15HIP_vector_typeIfLj2EEiiiiS1_IjLj3EES5_S5_S5_.has_indirect_call, 0
	.section	.AMDGPU.csdata,"",@progbits
; Kernel info:
; codeLenInByte = 3556
; TotalNumSgprs: 46
; NumVgprs: 9
; ScratchSize: 0
; MemoryBound: 0
; FloatMode: 240
; IeeeMode: 1
; LDSByteSize: 0 bytes/workgroup (compile time only)
; SGPRBlocks: 0
; VGPRBlocks: 1
; NumSGPRsForWavesPerEU: 46
; NumVGPRsForWavesPerEU: 9
; Occupancy: 16
; WaveLimiterHint : 0
; COMPUTE_PGM_RSRC2:SCRATCH_EN: 0
; COMPUTE_PGM_RSRC2:USER_SGPR: 2
; COMPUTE_PGM_RSRC2:TRAP_HANDLER: 0
; COMPUTE_PGM_RSRC2:TGID_X_EN: 1
; COMPUTE_PGM_RSRC2:TGID_Y_EN: 1
; COMPUTE_PGM_RSRC2:TGID_Z_EN: 1
; COMPUTE_PGM_RSRC2:TIDIG_COMP_CNT: 0
	.section	.text._ZL15flash_attn_tileILi256ELi256ELi16ELi2ELb0EEvPKcS1_S1_S1_S1_PKiPfP15HIP_vector_typeIfLj2EEffffjfiS5_IjLj3EEiiiiiiiiiiiliiliiiiil,"axG",@progbits,_ZL15flash_attn_tileILi256ELi256ELi16ELi2ELb0EEvPKcS1_S1_S1_S1_PKiPfP15HIP_vector_typeIfLj2EEffffjfiS5_IjLj3EEiiiiiiiiiiiliiliiiiil,comdat
	.globl	_ZL15flash_attn_tileILi256ELi256ELi16ELi2ELb0EEvPKcS1_S1_S1_S1_PKiPfP15HIP_vector_typeIfLj2EEffffjfiS5_IjLj3EEiiiiiiiiiiiliiliiiiil ; -- Begin function _ZL15flash_attn_tileILi256ELi256ELi16ELi2ELb0EEvPKcS1_S1_S1_S1_PKiPfP15HIP_vector_typeIfLj2EEffffjfiS5_IjLj3EEiiiiiiiiiiiliiliiiiil
	.p2align	8
	.type	_ZL15flash_attn_tileILi256ELi256ELi16ELi2ELb0EEvPKcS1_S1_S1_S1_PKiPfP15HIP_vector_typeIfLj2EEffffjfiS5_IjLj3EEiiiiiiiiiiiliiliiiiil,@function
_ZL15flash_attn_tileILi256ELi256ELi16ELi2ELb0EEvPKcS1_S1_S1_S1_PKiPfP15HIP_vector_typeIfLj2EEffffjfiS5_IjLj3EEiiiiiiiiiiiliiliiiiil: ; @_ZL15flash_attn_tileILi256ELi256ELi16ELi2ELb0EEvPKcS1_S1_S1_S1_PKiPfP15HIP_vector_typeIfLj2EEffffjfiS5_IjLj3EEiiiiiiiiiiiliiliiiiil
; %bb.0:
	s_clause 0x1
	s_load_b128 s[24:27], s[0:1], 0x5c
	s_load_b64 s[52:53], s[0:1], 0x80
	s_lshr_b32 s5, ttmp7, 16
	s_clause 0x1
	s_load_b512 s[36:51], s[0:1], 0x0
	s_load_b64 s[8:9], s[0:1], 0xb8
	s_mov_b64 s[54:55], 0
	s_wait_kmcnt 0x0
	s_lshr_b32 s2, s27, 31
	s_delay_alu instid0(SALU_CYCLE_1) | instskip(NEXT) | instid1(SALU_CYCLE_1)
	s_add_co_i32 s2, s27, s2
	s_ashr_i32 s2, s2, 1
	s_delay_alu instid0(SALU_CYCLE_1) | instskip(SKIP_1) | instid1(SALU_CYCLE_2)
	s_cvt_f32_u32 s3, s2
	s_sub_co_i32 s4, 0, s2
	v_rcp_iflag_f32_e32 v1, s3
	s_delay_alu instid0(TRANS32_DEP_1) | instskip(SKIP_2) | instid1(SALU_CYCLE_2)
	v_readfirstlane_b32 s3, v1
	s_mul_f32 s3, s3, 0x4f7ffffe
	s_wait_alu 0xfffe
	s_cvt_u32_f32 s3, s3
	s_wait_alu 0xfffe
	s_delay_alu instid0(SALU_CYCLE_2) | instskip(NEXT) | instid1(SALU_CYCLE_1)
	s_mul_i32 s4, s4, s3
	s_mul_hi_u32 s4, s3, s4
	s_delay_alu instid0(SALU_CYCLE_1)
	s_add_co_i32 s3, s3, s4
	s_wait_alu 0xfffe
	s_mul_hi_u32 s3, s5, s3
	s_wait_alu 0xfffe
	s_mul_i32 s4, s3, s2
	s_add_co_i32 s6, s3, 1
	s_sub_co_i32 s4, s5, s4
	s_delay_alu instid0(SALU_CYCLE_1)
	s_sub_co_i32 s7, s4, s2
	s_cmp_ge_u32 s4, s2
	s_cselect_b32 s3, s6, s3
	s_cselect_b32 s4, s7, s4
	s_wait_alu 0xfffe
	s_add_co_i32 s6, s3, 1
	s_cmp_ge_u32 s4, s2
	s_cselect_b32 s30, s6, s3
	s_abs_i32 s2, s53
	s_abs_i32 s7, s27
	s_wait_alu 0xfffe
	s_cvt_f32_u32 s3, s2
	s_sub_co_i32 s4, 0, s2
	s_lshl_b32 s5, s5, 1
	s_mul_i32 s6, s30, s27
	s_wait_alu 0xfffe
	v_rcp_iflag_f32_e32 v1, s3
	s_sub_co_i32 s28, s5, s6
	s_delay_alu instid0(TRANS32_DEP_1) | instskip(SKIP_2) | instid1(SALU_CYCLE_2)
	v_readfirstlane_b32 s3, v1
	s_mul_f32 s3, s3, 0x4f7ffffe
	s_wait_alu 0xfffe
	s_cvt_u32_f32 s3, s3
	s_wait_alu 0xfffe
	s_delay_alu instid0(SALU_CYCLE_2) | instskip(NEXT) | instid1(SALU_CYCLE_1)
	s_mul_i32 s4, s4, s3
	s_mul_hi_u32 s4, s3, s4
	s_delay_alu instid0(SALU_CYCLE_1)
	s_add_co_i32 s3, s3, s4
	s_xor_b32 s4, s27, s53
	s_wait_alu 0xfffe
	s_mul_hi_u32 s3, s7, s3
	s_ashr_i32 s4, s4, 31
	s_wait_alu 0xfffe
	s_mul_i32 s5, s3, s2
	s_add_co_i32 s6, s3, 1
	s_sub_co_i32 s5, s7, s5
	s_delay_alu instid0(SALU_CYCLE_1)
	s_sub_co_i32 s7, s5, s2
	s_cmp_ge_u32 s5, s2
	s_cselect_b32 s3, s6, s3
	s_cselect_b32 s5, s7, s5
	s_wait_alu 0xfffe
	s_add_co_i32 s6, s3, 1
	s_cmp_ge_u32 s5, s2
	s_cselect_b32 s2, s6, s3
	s_mov_b32 s3, 0
	s_wait_alu 0xfffe
	s_xor_b32 s2, s2, s4
	s_wait_alu 0xfffe
	s_sub_co_i32 s11, s2, s4
	s_delay_alu instid0(SALU_CYCLE_1) | instskip(SKIP_3) | instid1(SALU_CYCLE_2)
	s_abs_i32 s10, s11
	s_cmp_eq_u64 s[42:43], 0
	s_cvt_f32_u32 s2, s10
	s_wait_alu 0xfffe
	v_rcp_iflag_f32_e32 v1, s2
	s_delay_alu instid0(TRANS32_DEP_1)
	v_readfirstlane_b32 s2, v1
	s_cbranch_scc1 .LBB26_2
; %bb.1:
	s_abs_i32 s6, s8
	s_delay_alu instid0(SALU_CYCLE_1) | instskip(NEXT) | instid1(SALU_CYCLE_3)
	s_cvt_f32_u32 s4, s6
	v_rcp_iflag_f32_e32 v1, s4
	s_delay_alu instid0(TRANS32_DEP_1) | instskip(SKIP_2) | instid1(SALU_CYCLE_2)
	v_readfirstlane_b32 s4, v1
	s_mul_f32 s4, s4, 0x4f7ffffe
	s_wait_alu 0xfffe
	s_cvt_u32_f32 s7, s4
	s_sub_co_i32 s4, 0, s6
	s_wait_alu 0xfffe
	s_delay_alu instid0(SALU_CYCLE_1) | instskip(SKIP_4) | instid1(SALU_CYCLE_1)
	s_mul_i32 s4, s4, s7
	s_wait_alu 0xfffe
	s_mul_hi_u32 s8, s7, s4
	s_load_b64 s[4:5], s[0:1], 0xc8
	s_add_co_i32 s7, s7, s8
	s_mul_hi_u32 s7, s30, s7
	s_delay_alu instid0(SALU_CYCLE_1) | instskip(NEXT) | instid1(SALU_CYCLE_1)
	s_mul_i32 s7, s7, s6
	s_sub_co_i32 s7, s30, s7
	s_delay_alu instid0(SALU_CYCLE_1) | instskip(SKIP_2) | instid1(SALU_CYCLE_1)
	s_sub_co_i32 s8, s7, s6
	s_cmp_ge_u32 s7, s6
	s_cselect_b32 s7, s8, s7
	s_sub_co_i32 s8, s7, s6
	s_cmp_ge_u32 s7, s6
	s_cselect_b32 s6, s8, s7
	s_delay_alu instid0(SALU_CYCLE_1)
	s_ashr_i32 s7, s6, 31
	s_wait_kmcnt 0x0
	s_mul_u64 s[4:5], s[4:5], s[6:7]
	s_wait_alu 0xfffe
	s_add_nc_u64 s[54:55], s[42:43], s[4:5]
.LBB26_2:
	v_bfe_u32 v1, v0, 10, 10
	s_lshl_b32 s33, ttmp9, 4
	s_load_b96 s[4:6], s[0:1], 0x70
	v_and_b32_e32 v79, 0x3ff, v0
	s_delay_alu instid0(VALU_DEP_2) | instskip(NEXT) | instid1(VALU_DEP_2)
	v_lshlrev_b32_e32 v3, 2, v1
	v_lshlrev_b32_e32 v25, 4, v79
	;; [unrolled: 1-line block ×3, first 2 shown]
	s_delay_alu instid0(VALU_DEP_3) | instskip(SKIP_1) | instid1(VALU_DEP_3)
	v_or_b32_e32 v36, 3, v3
	v_or_b32_e32 v35, 2, v3
	v_add_nc_u32_e32 v37, 0x4400, v80
	s_delay_alu instid0(VALU_DEP_3) | instskip(NEXT) | instid1(VALU_DEP_3)
	v_lshrrev_b32_e32 v72, 1, v36
	v_lshrrev_b32_e32 v74, 1, v35
	s_delay_alu instid0(VALU_DEP_3) | instskip(NEXT) | instid1(VALU_DEP_3)
	v_lshl_add_u32 v35, v35, 9, v37
	v_add_nc_u32_e32 v73, s33, v72
	s_delay_alu instid0(VALU_DEP_3)
	v_add_nc_u32_e32 v75, s33, v74
	s_wait_kmcnt 0x0
	s_ashr_i32 s13, s4, 31
	s_mov_b32 s12, s4
	s_lshr_b32 s8, s13, 2
	v_mul_hi_u32 v5, v73, s24
	s_lshr_b64 s[14:15], s[12:13], 2
	v_mul_hi_u32 v4, v75, s24
	s_mul_i32 s4, s30, s6
	s_mul_i32 s6, s28, s5
	s_ashr_i32 s13, s5, 31
	s_and_b32 s12, s5, -4
	s_wait_alu 0xfffe
	s_ashr_i32 s5, s4, 31
	v_add_nc_u32_e32 v5, v73, v5
	s_ashr_i32 s7, s6, 31
	v_add_nc_u32_e32 v4, v75, v4
	s_wait_alu 0xfffe
	s_add_nc_u64 s[4:5], s[36:37], s[4:5]
	v_lshl_add_u32 v36, v36, 9, v37
	v_lshrrev_b32_e32 v5, s25, v5
	s_wait_alu 0xfffe
	s_add_nc_u64 s[4:5], s[4:5], s[6:7]
	v_lshrrev_b32_e32 v6, s25, v4
	s_wait_alu 0xfffe
	s_add_nc_u64 s[6:7], s[4:5], s[12:13]
	s_cmp_eq_u64 s[46:47], 0
	v_mul_lo_u32 v5, v5, s26
	s_delay_alu instid0(VALU_DEP_1) | instskip(NEXT) | instid1(VALU_DEP_1)
	v_sub_nc_u32_e32 v26, v73, v5
	v_mad_co_u64_u32 v[21:22], null, s14, v26, 0
	v_lshlrev_b32_e32 v77, 1, v1
	s_delay_alu instid0(VALU_DEP_1) | instskip(NEXT) | instid1(VALU_DEP_1)
	v_add_nc_u32_e32 v78, s33, v77
	v_mul_hi_u32 v2, v78, s24
	s_delay_alu instid0(VALU_DEP_1) | instskip(NEXT) | instid1(VALU_DEP_1)
	v_add_nc_u32_e32 v2, v78, v2
	v_lshrrev_b32_e32 v2, s25, v2
	s_delay_alu instid0(VALU_DEP_1) | instskip(NEXT) | instid1(VALU_DEP_1)
	v_mul_lo_u32 v2, v2, s26
	v_sub_nc_u32_e32 v0, v78, v2
	s_delay_alu instid0(VALU_DEP_1) | instskip(NEXT) | instid1(VALU_DEP_1)
	v_mad_co_u64_u32 v[2:3], null, s14, v0, 0
	v_mad_co_u64_u32 v[3:4], null, s8, v0, v[3:4]
	v_mul_lo_u32 v4, v6, s26
	s_delay_alu instid0(VALU_DEP_2) | instskip(NEXT) | instid1(VALU_DEP_2)
	v_lshlrev_b64_e32 v[2:3], 2, v[2:3]
	v_sub_nc_u32_e32 v12, v75, v4
	s_delay_alu instid0(VALU_DEP_2) | instskip(NEXT) | instid1(VALU_DEP_1)
	v_add_co_u32 v4, vcc_lo, s4, v2
	v_add_co_ci_u32_e64 v5, null, s5, v3, vcc_lo
	s_delay_alu instid0(VALU_DEP_3) | instskip(NEXT) | instid1(VALU_DEP_3)
	v_mad_co_u64_u32 v[19:20], null, s14, v12, 0
	v_add_co_u32 v7, vcc_lo, v4, v25
	s_wait_alu 0xfffd
	s_delay_alu instid0(VALU_DEP_3)
	v_add_co_ci_u32_e64 v8, null, 0, v5, vcc_lo
	v_add_co_u32 v2, vcc_lo, s6, v2
	s_wait_alu 0xfffd
	v_add_co_ci_u32_e64 v9, null, s7, v3, vcc_lo
	global_load_b128 v[3:6], v[7:8], off
	v_mov_b32_e32 v11, v20
	v_add_co_u32 v15, vcc_lo, v2, v25
	s_wait_alu 0xfffd
	v_add_co_ci_u32_e64 v16, null, 0, v9, vcc_lo
	s_delay_alu instid0(VALU_DEP_3)
	v_mad_co_u64_u32 v[23:24], null, s8, v12, v[11:12]
	v_mov_b32_e32 v2, v22
	s_clause 0x2
	global_load_b128 v[11:14], v[15:16], off
	global_load_b128 v[7:10], v[7:8], off offset:512
	global_load_b128 v[15:18], v[15:16], off offset:512
	v_mov_b32_e32 v20, v23
	s_delay_alu instid0(VALU_DEP_1) | instskip(SKIP_2) | instid1(VALU_DEP_2)
	v_lshlrev_b64_e32 v[19:20], 2, v[19:20]
	s_wait_loadcnt 0x3
	v_mad_co_u64_u32 v[22:23], null, s8, v26, v[2:3]
	v_add_co_u32 v2, vcc_lo, s4, v19
	s_wait_alu 0xfffd
	s_delay_alu instid0(VALU_DEP_3)
	v_add_co_ci_u32_e64 v24, null, s5, v20, vcc_lo
	s_load_b32 s4, s[0:1], 0x40
	v_add_co_u32 v23, vcc_lo, v2, v25
	v_lshlrev_b64_e32 v[19:20], 2, v[21:22]
	s_wait_alu 0xfffd
	v_add_co_ci_u32_e64 v24, null, 0, v24, vcc_lo
	s_delay_alu instid0(VALU_DEP_2) | instskip(SKIP_1) | instid1(VALU_DEP_3)
	v_add_co_u32 v2, vcc_lo, s6, v19
	s_wait_alu 0xfffd
	v_add_co_ci_u32_e64 v26, null, s7, v20, vcc_lo
	global_load_b128 v[19:22], v[23:24], off
	v_add_co_u32 v31, vcc_lo, v2, v25
	s_wait_alu 0xfffd
	v_add_co_ci_u32_e64 v32, null, 0, v26, vcc_lo
	s_clause 0x2
	global_load_b128 v[23:26], v[23:24], off offset:512
	global_load_b128 v[27:30], v[31:32], off
	global_load_b128 v[31:34], v[31:32], off offset:512
	s_wait_kmcnt 0x0
	v_fma_mixlo_f16 v3, s4, v3, 0
	v_fma_mixlo_f16 v4, s4, v4, 0
	;; [unrolled: 1-line block ×4, first 2 shown]
	s_wait_loadcnt 0x5
	v_fma_mixlo_f16 v7, s4, v7, 0
	v_fma_mixlo_f16 v8, s4, v8, 0
	;; [unrolled: 1-line block ×8, first 2 shown]
	s_wait_loadcnt 0x4
	v_fma_mixlo_f16 v15, s4, v15, 0
	v_fma_mixlo_f16 v16, s4, v16, 0
	;; [unrolled: 1-line block ×4, first 2 shown]
	v_lshlrev_b32_e32 v4, 16, v4
	v_and_b32_e32 v3, 0xffff, v3
	v_lshlrev_b32_e32 v6, 16, v6
	v_and_b32_e32 v5, 0xffff, v5
	;; [unrolled: 2-line block ×8, first 2 shown]
	v_or_b32_e32 v3, v4, v3
	v_or3_b32 v4, v6, v5, 0
	v_or_b32_e32 v5, v8, v7
	v_or3_b32 v6, v10, v9, 0
	;; [unrolled: 2-line block ×4, first 2 shown]
	v_lshlrev_b32_e32 v2, 11, v1
	v_or3_b32 v3, 0, 0, v3
	v_or3_b32 v5, 0, 0, v5
	;; [unrolled: 1-line block ×4, first 2 shown]
	v_add_nc_u32_e32 v38, v37, v2
	s_wait_loadcnt 0x3
	v_fma_mixlo_f16 v11, s4, v19, 0
	v_fma_mixlo_f16 v12, s4, v20, 0
	;; [unrolled: 1-line block ×4, first 2 shown]
	s_wait_loadcnt 0x2
	v_fma_mixlo_f16 v15, s4, v23, 0
	v_fma_mixlo_f16 v16, s4, v24, 0
	;; [unrolled: 1-line block ×4, first 2 shown]
	s_wait_loadcnt 0x1
	v_fma_mixlo_f16 v19, s4, v27, 0
	v_fma_mixlo_f16 v20, s4, v28, 0
	s_wait_loadcnt 0x0
	v_fma_mixlo_f16 v23, s4, v31, 0
	v_fma_mixlo_f16 v24, s4, v32, 0
	v_lshlrev_b32_e32 v12, 16, v12
	v_and_b32_e32 v11, 0xffff, v11
	v_lshlrev_b32_e32 v14, 16, v14
	v_and_b32_e32 v13, 0xffff, v13
	;; [unrolled: 2-line block ×3, first 2 shown]
	v_fma_mixlo_f16 v21, s4, v29, 0
	v_fma_mixlo_f16 v22, s4, v30, 0
	;; [unrolled: 1-line block ×4, first 2 shown]
	v_lshlrev_b32_e32 v18, 16, v18
	v_and_b32_e32 v17, 0xffff, v17
	v_lshlrev_b32_e32 v20, 16, v20
	v_and_b32_e32 v19, 0xffff, v19
	;; [unrolled: 2-line block ×3, first 2 shown]
	v_or_b32_e32 v11, v12, v11
	v_or3_b32 v12, v14, v13, 0
	v_or_b32_e32 v13, v16, v15
	v_lshlrev_b32_e32 v22, 16, v22
	v_and_b32_e32 v21, 0xffff, v21
	v_lshlrev_b32_e32 v26, 16, v26
	v_and_b32_e32 v25, 0xffff, v25
	v_or3_b32 v14, v18, v17, 0
	v_or_b32_e32 v15, v20, v19
	v_or_b32_e32 v17, v24, v23
	v_or3_b32 v11, 0, 0, v11
	v_or3_b32 v13, 0, 0, v13
	;; [unrolled: 1-line block ×6, first 2 shown]
	ds_store_2addr_b64 v38, v[3:4], v[5:6] offset1:32
	ds_store_2addr_b64 v38, v[7:8], v[9:10] offset0:64 offset1:96
	ds_store_2addr_b64 v35, v[11:12], v[13:14] offset1:32
	ds_store_2addr_b64 v36, v[15:16], v[17:18] offset1:32
	s_wait_dscnt 0x0
	s_barrier_signal -1
	s_barrier_wait -1
	global_inv scope:SCOPE_SE
	s_cbranch_scc1 .LBB26_4
; %bb.3:
	s_load_b32 s4, s[0:1], 0xd0
	s_mov_b32 s5, 0
	s_wait_kmcnt 0x0
	s_mul_i32 s4, s4, s30
	s_wait_alu 0xfffe
	s_add_co_i32 s4, s4, ttmp9
	s_wait_alu 0xfffe
	s_lshl_b64 s[4:5], s[4:5], 2
	s_wait_alu 0xfffe
	s_add_nc_u64 s[4:5], s[46:47], s[4:5]
	s_load_b32 s52, s[4:5], 0x0
.LBB26_4:
	s_and_b32 s34, ttmp7, 0xffff
	v_lshlrev_b32_e32 v76, 2, v79
	v_mbcnt_lo_u32_b32 v81, -1, 0
	s_lshl_b32 s36, s34, 6
	s_wait_kmcnt 0x0
	s_cmp_lt_i32 s36, s52
	s_cbranch_scc1 .LBB26_7
; %bb.5:
	v_mbcnt_lo_u32_b32 v5, -1, 0
	v_mov_b32_e32 v4, 32
	s_delay_alu instid0(VALU_DEP_2)
	v_xor_b32_e32 v86, 16, v5
	v_xor_b32_e32 v85, 8, v5
	;; [unrolled: 1-line block ×5, first 2 shown]
	s_mov_b32 s31, 0
	s_cbranch_execz .LBB26_8
; %bb.6:
	v_dual_mov_b32 v40, 0 :: v_dual_mov_b32 v3, 0xfeffffff
	v_dual_mov_b32 v110, 0 :: v_dual_mov_b32 v1, 0xfeffffff
	;; [unrolled: 1-line block ×12, first 2 shown]
	s_branch .LBB26_11
.LBB26_7:
                                        ; implicit-def: $vgpr5
                                        ; implicit-def: $vgpr4
                                        ; implicit-def: $vgpr86
                                        ; implicit-def: $vgpr85
                                        ; implicit-def: $vgpr84
                                        ; implicit-def: $vgpr83
                                        ; implicit-def: $vgpr82
	s_mov_b32 s31, 0
.LBB26_8:
	s_mul_f32 s2, s2, 0x4f7ffffe
	s_clause 0x1
	s_load_b128 s[4:7], s[0:1], 0x98
	s_load_b64 s[12:13], s[0:1], 0x8c
	s_sub_co_i32 s14, 0, s10
	s_mov_b32 s15, s3
	s_cvt_u32_f32 s8, s2
	s_abs_i32 s2, s28
	s_ashr_i32 s18, s28, 31
	s_ashr_i32 s11, s11, 31
	s_wait_alu 0xfffe
	s_mul_i32 s14, s14, s8
	s_load_b64 s[16:17], s[0:1], 0xa8
	s_mul_hi_u32 s14, s8, s14
	v_add3_u32 v12, s33, v77, 1
	s_wait_alu 0xfffe
	s_add_co_i32 s14, s8, s14
	s_xor_b32 s8, s18, s11
	s_wait_alu 0xfffe
	s_mul_u64 s[14:15], s[2:3], s[14:15]
	s_ashr_i32 s14, s9, 1
	s_wait_alu 0xfffe
	s_mul_i32 s3, s15, s10
	s_add_co_i32 s9, s15, 1
	s_wait_alu 0xfffe
	s_sub_co_i32 s2, s2, s3
	v_mul_hi_u32 v6, s24, v12
	s_wait_kmcnt 0x0
	s_ashr_i32 s42, s6, 2
	s_ashr_i32 s46, s12, 2
	s_wait_alu 0xfffe
	s_sub_co_i32 s3, s2, s10
	s_cmp_ge_u32 s2, s10
	v_lshrrev_b32_e32 v3, 4, v79
	s_cselect_b32 s6, s9, s15
	s_wait_alu 0xfffe
	s_cselect_b32 s2, s3, s2
	s_add_co_i32 s3, s6, 1
	s_wait_alu 0xfffe
	s_cmp_ge_u32 s2, s10
	v_dual_mov_b32 v33, 0 :: v_dual_add_nc_u32 v4, v3, v77
	s_cselect_b32 s6, s3, s6
	v_dual_mov_b32 v35, 0 :: v_dual_add_nc_u32 v6, v12, v6
	s_wait_alu 0xfffe
	s_xor_b32 s6, s6, s8
	s_mul_u64 s[2:3], s[4:5], s[30:31]
	s_wait_alu 0xfffe
	s_sub_co_i32 s6, s6, s8
	s_add_nc_u64 s[2:3], s[38:39], s[2:3]
	s_wait_alu 0xfffe
	s_mul_i32 s8, s6, s13
	v_mul_lo_u32 v3, s46, v4
	s_wait_alu 0xfffe
	s_ashr_i32 s9, s8, 31
	v_lshrrev_b32_e32 v8, s25, v6
	v_mul_lo_u32 v11, s42, v1
	s_mul_u64 s[4:5], s[16:17], s[30:31]
	s_wait_alu 0xfffe
	s_add_nc_u64 s[38:39], s[2:3], s[8:9]
	s_mul_i32 s2, s6, s7
	v_dual_mov_b32 v28, 0 :: v_dual_and_b32 v17, 60, v76
	s_add_nc_u64 s[4:5], s[40:41], s[4:5]
	s_wait_alu 0xfffe
	s_ashr_i32 s3, s2, 31
	v_mul_lo_u32 v13, v8, s26
	s_lshl_b32 s6, s46, 4
	s_wait_alu 0xfffe
	s_add_nc_u64 s[40:41], s[4:5], s[2:3]
	s_lshl_b32 s2, s42, 3
	v_lshlrev_b32_e32 v7, 2, v17
	v_dual_mov_b32 v34, 0 :: v_dual_add_nc_u32 v5, s6, v3
	v_dual_mov_b32 v36, 0 :: v_dual_add_nc_u32 v91, 0x4400, v2
	v_dual_mov_b32 v39, 0 :: v_dual_lshlrev_b32 v2, 9, v1
	s_wait_alu 0xfffe
	v_dual_mov_b32 v42, 0 :: v_dual_add_nc_u32 v1, s2, v11
	v_sub_nc_u32_e32 v12, v12, v13
	v_mul_lo_u32 v93, v0, s14
	v_mov_b32_e32 v0, 0xfeffffff
	v_mad_u32_u24 v87, 0x110, v4, v7
	v_dual_mov_b32 v30, 0 :: v_dual_add_nc_u32 v7, s6, v5
	v_dual_mov_b32 v40, 0 :: v_dual_add_nc_u32 v13, s2, v1
	v_lshl_add_u32 v94, v76, 2, v2
	s_delay_alu instid0(VALU_DEP_3) | instskip(SKIP_1) | instid1(VALU_DEP_4)
	v_dual_mov_b32 v38, 0 :: v_dual_add_nc_u32 v9, s6, v7
	v_dual_mov_b32 v37, 0 :: v_dual_add_nc_u32 v96, 0x8400, v2
	v_add_nc_u32_e32 v15, s2, v13
	v_ashrrev_i32_e32 v2, 31, v1
	v_ashrrev_i32_e32 v4, 31, v3
	;; [unrolled: 1-line block ×5, first 2 shown]
	v_mul_lo_u32 v95, v12, s14
	v_ashrrev_i32_e32 v12, 31, v11
	v_ashrrev_i32_e32 v14, 31, v13
	v_lshlrev_b64_e32 v[66:67], 2, v[1:2]
	v_mov_b32_e32 v2, 0xfeffffff
	v_ashrrev_i32_e32 v16, 31, v15
	v_lshlrev_b64_e32 v[56:57], 2, v[3:4]
	v_lshlrev_b64_e32 v[58:59], 2, v[5:6]
	;; [unrolled: 1-line block ×7, first 2 shown]
	v_dual_mov_b32 v31, 0 :: v_dual_add_nc_u32 v88, 0x1100, v87
	v_dual_mov_b32 v32, 0 :: v_dual_add_nc_u32 v89, 0x2200, v87
	;; [unrolled: 1-line block ×3, first 2 shown]
	v_mul_u32_u24_e32 v92, 0x110, v79
	v_dual_mov_b32 v112, 0 :: v_dual_add_nc_u32 v97, 0x1000, v94
	v_dual_mov_b32 v41, 0 :: v_dual_add_nc_u32 v98, 0x2000, v94
	v_dual_mov_b32 v110, 0 :: v_dual_add_nc_u32 v99, 0x3000, v94
	v_dual_mov_b32 v43, 0 :: v_dual_lshlrev_b32 v100, 2, v17
	v_xor_b32_e32 v86, 16, v81
	v_xor_b32_e32 v85, 8, v81
	;; [unrolled: 1-line block ×5, first 2 shown]
	v_add_nc_u32_e32 v101, v96, v80
	v_dual_mov_b32 v1, 0xfeffffff :: v_dual_lshlrev_b32 v102, 2, v76
	v_add_nc_u32_e32 v103, 0x800, v80
	v_dual_mov_b32 v111, 0 :: v_dual_add_nc_u32 v104, 0x1000, v80
	v_add_nc_u32_e32 v105, 0x1800, v80
	v_dual_mov_b32 v113, 0 :: v_dual_add_nc_u32 v106, 0x2000, v80
	v_add_nc_u32_e32 v107, 0x2800, v80
	v_add_nc_u32_e32 v108, 0x3000, v80
	;; [unrolled: 1-line block ×3, first 2 shown]
	v_mov_b32_e32 v3, 0xfeffffff
	s_ashr_i32 s47, s46, 31
	s_ashr_i32 s43, s42, 31
	s_add_nc_u64 s[56:57], s[0:1], 0xd0
.LBB26_9:                               ; =>This Inner Loop Header: Depth=1
	v_cmp_gt_i32_e64 s2, 32, v85
	v_cmp_gt_i32_e64 s3, 32, v84
	s_ashr_i32 s37, s36, 31
	v_cmp_gt_i32_e64 s4, 32, v83
	v_cmp_gt_i32_e64 s5, 32, v82
	s_or_b32 s6, s36, 32
	s_wait_alu 0xfffe
	s_mul_u64 s[8:9], s[36:37], s[46:47]
	v_dual_mov_b32 v44, v113 :: v_dual_mov_b32 v45, v112
	v_dual_mov_b32 v50, v0 :: v_dual_mov_b32 v51, 0
	v_dual_mov_b32 v113, 0 :: v_dual_add_nc_u32 v0, s36, v79
	v_cmp_gt_i32_e32 vcc_lo, 32, v86
	s_ashr_i32 s7, s6, 31
	v_cndmask_b32_e64 v4, v81, v85, s2
	v_cndmask_b32_e64 v5, v81, v84, s3
	s_wait_alu 0xfffe
	s_lshl_b64 s[2:3], s[8:9], 2
	s_mul_u64 s[6:7], s[6:7], s[42:43]
	v_cndmask_b32_e64 v6, v81, v83, s4
	v_cndmask_b32_e64 v7, v81, v82, s5
	s_wait_alu 0xfffe
	s_add_nc_u64 s[8:9], s[38:39], s[2:3]
	s_mul_u64 s[10:11], s[36:37], s[42:43]
	s_lshl_b64 s[12:13], s[6:7], 2
	v_dual_mov_b32 v46, v111 :: v_dual_mov_b32 v47, v3
	v_dual_mov_b32 v48, v2 :: v_dual_mov_b32 v49, v1
	v_dual_mov_b32 v114, v110 :: v_dual_add_nc_u32 v1, v0, v93
	s_wait_alu 0xfffd
	v_dual_cndmask_b32 v2, v81, v86 :: v_dual_add_nc_u32 v3, v0, v95
	s_wait_alu 0xfffe
	v_add_co_u32 v0, vcc_lo, s8, v56
	s_lshl_b64 s[4:5], s[10:11], 2
	v_lshlrev_b32_e32 v116, 2, v5
	v_add_co_u32 v5, s2, s8, v58
	s_add_nc_u64 s[12:13], s[40:41], s[12:13]
	v_lshlrev_b32_e32 v115, 2, v6
	v_add_co_u32 v6, s3, s8, v60
	s_wait_alu 0xfffd
	v_add_co_ci_u32_e64 v13, null, s9, v57, vcc_lo
	s_wait_alu 0xfffe
	s_add_nc_u64 s[10:11], s[40:41], s[4:5]
	v_lshlrev_b32_e32 v110, 2, v7
	v_add_co_u32 v7, s4, s8, v62
	v_add_co_ci_u32_e64 v15, null, s9, v59, s2
	v_add_co_u32 v123, vcc_lo, s12, v64
	v_add_co_ci_u32_e64 v25, null, s9, v61, s3
	v_add_co_u32 v124, s2, s12, v66
	v_lshlrev_b32_e32 v118, 2, v2
	v_lshlrev_b32_e32 v117, 2, v4
	v_ashrrev_i32_e32 v2, 31, v1
	v_ashrrev_i32_e32 v4, 31, v3
	s_wait_alu 0xfffe
	v_add_co_u32 v8, s5, s10, v64
	v_add_co_u32 v9, s6, s10, v66
	;; [unrolled: 1-line block ×4, first 2 shown]
	s_wait_alu 0xf1ff
	v_add_co_ci_u32_e64 v27, null, s9, v63, s4
	v_add_co_u32 v125, s3, s12, v68
	v_add_co_u32 v126, s4, s12, v70
	s_wait_alu 0xfffd
	v_add_co_ci_u32_e64 v127, null, s13, v65, vcc_lo
	v_add_co_u32 v20, vcc_lo, v0, v100
	v_add_co_ci_u32_e64 v128, null, s13, v67, s2
	v_add_co_u32 v22, s2, v5, v100
	v_add_co_ci_u32_e64 v119, null, s11, v65, s5
	v_add_co_ci_u32_e64 v120, null, s11, v67, s6
	;; [unrolled: 1-line block ×4, first 2 shown]
	s_wait_alu 0xf1ff
	v_add_co_ci_u32_e64 v129, null, s13, v69, s3
	v_add_co_ci_u32_e64 v130, null, s13, v71, s4
	v_add_co_u32 v24, s3, v6, v100
	s_wait_alu 0xfffd
	v_add_co_ci_u32_e64 v21, null, 0, v13, vcc_lo
	v_add_co_u32 v26, s4, v7, v100
	v_add_co_ci_u32_e64 v23, null, 0, v15, s2
	s_wait_alu 0xf1ff
	v_add_co_ci_u32_e64 v25, null, 0, v25, s3
	v_lshlrev_b64_e32 v[16:17], 1, v[1:2]
	v_lshlrev_b64_e32 v[18:19], 1, v[3:4]
	v_add_co_u32 v0, s5, v8, v102
	v_add_co_u32 v2, s6, v9, v102
	v_add_co_u32 v12, s7, v10, v102
	v_add_co_u32 v14, s8, v11, v102
	v_add_co_ci_u32_e64 v27, null, 0, v27, s4
	v_add_co_u32 v10, vcc_lo, v123, v102
	v_add_co_u32 v6, s2, v124, v102
	v_add_co_u32 v8, s3, v125, v102
	;; [unrolled: 1-line block ×3, first 2 shown]
	s_wait_alu 0xf1ff
	v_add_co_ci_u32_e64 v1, null, 0, v119, s5
	v_add_co_ci_u32_e64 v3, null, 0, v120, s6
	;; [unrolled: 1-line block ×4, first 2 shown]
	s_wait_alu 0xfffd
	v_add_co_ci_u32_e64 v11, null, 0, v127, vcc_lo
	v_add_co_ci_u32_e64 v7, null, 0, v128, s2
	v_add_co_ci_u32_e64 v9, null, 0, v129, s3
	;; [unrolled: 1-line block ×3, first 2 shown]
	s_clause 0x3
	global_load_b128 v[119:122], v[20:21], off
	global_load_b128 v[123:126], v[22:23], off
	global_load_b128 v[127:130], v[24:25], off
	global_load_b128 v[131:134], v[26:27], off
	v_dual_mov_b32 v52, 0 :: v_dual_mov_b32 v53, 0
	v_dual_mov_b32 v54, 0 :: v_dual_mov_b32 v55, 0
	;; [unrolled: 1-line block ×3, first 2 shown]
	v_add_co_u32 v16, vcc_lo, s54, v16
	v_add_co_u32 v18, s2, s54, v18
	s_wait_alu 0xfffd
	v_add_co_ci_u32_e64 v17, null, s55, v17, vcc_lo
	s_wait_alu 0xf1ff
	v_add_co_ci_u32_e64 v19, null, s55, v19, s2
	s_wait_loadcnt 0x3
	ds_store_b128 v87, v[119:122]
	s_wait_loadcnt 0x2
	ds_store_b128 v88, v[123:126]
	;; [unrolled: 2-line block ×4, first 2 shown]
	s_wait_dscnt 0x0
	s_barrier_signal -1
	s_barrier_wait -1
	global_inv scope:SCOPE_SE
	ds_load_b128 v[119:122], v92
	ds_load_b128 v[123:126], v91
	ds_load_b128 v[127:130], v91 offset:512
	ds_load_b128 v[131:134], v91 offset:1024
	ds_load_b128 v[135:138], v91 offset:1536
	ds_load_b128 v[139:142], v92 offset:8704
	s_wait_dscnt 0x4
	;;#ASMSTART
	v_dot2_f32_f16 v51, v119, v123, v51
	;;#ASMEND
	;;#ASMSTART
	v_dot2_f32_f16 v51, v120, v124, v51
	;;#ASMEND
	;;#ASMSTART
	v_dot2_f32_f16 v51, v121, v125, v51
	;;#ASMEND
	;;#ASMSTART
	v_dot2_f32_f16 v51, v122, v126, v51
	;;#ASMEND
	s_wait_dscnt 0x3
	;;#ASMSTART
	v_dot2_f32_f16 v52, v119, v127, v52
	;;#ASMEND
	;;#ASMSTART
	v_dot2_f32_f16 v52, v120, v128, v52
	;;#ASMEND
	;;#ASMSTART
	v_dot2_f32_f16 v52, v121, v129, v52
	;;#ASMEND
	;;#ASMSTART
	v_dot2_f32_f16 v52, v122, v130, v52
	;;#ASMEND
	;; [unrolled: 13-line block ×5, first 2 shown]
	;;#ASMSTART
	v_dot2_f32_f16 v111, v139, v127, v111
	;;#ASMEND
	;;#ASMSTART
	v_dot2_f32_f16 v111, v140, v128, v111
	;;#ASMEND
	;; [unrolled: 3-line block ×12, first 2 shown]
	ds_load_b128 v[119:122], v92 offset:16
	ds_load_b128 v[123:126], v91 offset:16
	;; [unrolled: 1-line block ×6, first 2 shown]
	s_wait_dscnt 0x4
	;;#ASMSTART
	v_dot2_f32_f16 v51, v119, v123, v51
	;;#ASMEND
	;;#ASMSTART
	v_dot2_f32_f16 v51, v120, v124, v51
	;;#ASMEND
	;;#ASMSTART
	v_dot2_f32_f16 v51, v121, v125, v51
	;;#ASMEND
	;;#ASMSTART
	v_dot2_f32_f16 v51, v122, v126, v51
	;;#ASMEND
	s_wait_dscnt 0x3
	;;#ASMSTART
	v_dot2_f32_f16 v52, v119, v127, v52
	;;#ASMEND
	;;#ASMSTART
	v_dot2_f32_f16 v52, v120, v128, v52
	;;#ASMEND
	;;#ASMSTART
	v_dot2_f32_f16 v52, v121, v129, v52
	;;#ASMEND
	;;#ASMSTART
	v_dot2_f32_f16 v52, v122, v130, v52
	;;#ASMEND
	;; [unrolled: 13-line block ×5, first 2 shown]
	;;#ASMSTART
	v_dot2_f32_f16 v111, v139, v127, v111
	;;#ASMEND
	;;#ASMSTART
	v_dot2_f32_f16 v111, v140, v128, v111
	;;#ASMEND
	;; [unrolled: 3-line block ×12, first 2 shown]
	ds_load_b128 v[119:122], v92 offset:32
	ds_load_b128 v[123:126], v91 offset:32
	;; [unrolled: 1-line block ×6, first 2 shown]
	s_wait_dscnt 0x4
	;;#ASMSTART
	v_dot2_f32_f16 v51, v119, v123, v51
	;;#ASMEND
	;;#ASMSTART
	v_dot2_f32_f16 v51, v120, v124, v51
	;;#ASMEND
	;;#ASMSTART
	v_dot2_f32_f16 v51, v121, v125, v51
	;;#ASMEND
	;;#ASMSTART
	v_dot2_f32_f16 v51, v122, v126, v51
	;;#ASMEND
	s_wait_dscnt 0x3
	;;#ASMSTART
	v_dot2_f32_f16 v52, v119, v127, v52
	;;#ASMEND
	;;#ASMSTART
	v_dot2_f32_f16 v52, v120, v128, v52
	;;#ASMEND
	;;#ASMSTART
	v_dot2_f32_f16 v52, v121, v129, v52
	;;#ASMEND
	;;#ASMSTART
	v_dot2_f32_f16 v52, v122, v130, v52
	;;#ASMEND
	s_wait_dscnt 0x2
	;;#ASMSTART
	v_dot2_f32_f16 v53, v119, v131, v53
	;;#ASMEND
	;;#ASMSTART
	v_dot2_f32_f16 v53, v120, v132, v53
	;;#ASMEND
	;;#ASMSTART
	v_dot2_f32_f16 v53, v121, v133, v53
	;;#ASMEND
	;;#ASMSTART
	v_dot2_f32_f16 v53, v122, v134, v53
	;;#ASMEND
	s_wait_dscnt 0x1
	;;#ASMSTART
	v_dot2_f32_f16 v54, v119, v135, v54
	;;#ASMEND
	;;#ASMSTART
	v_dot2_f32_f16 v54, v120, v136, v54
	;;#ASMEND
	;;#ASMSTART
	v_dot2_f32_f16 v54, v121, v137, v54
	;;#ASMEND
	;;#ASMSTART
	v_dot2_f32_f16 v54, v122, v138, v54
	;;#ASMEND
	s_wait_dscnt 0x0
	;;#ASMSTART
	v_dot2_f32_f16 v55, v139, v123, v55
	;;#ASMEND
	;;#ASMSTART
	v_dot2_f32_f16 v55, v140, v124, v55
	;;#ASMEND
	;;#ASMSTART
	v_dot2_f32_f16 v55, v141, v125, v55
	;;#ASMEND
	;;#ASMSTART
	v_dot2_f32_f16 v55, v142, v126, v55
	;;#ASMEND
	;;#ASMSTART
	v_dot2_f32_f16 v111, v139, v127, v111
	;;#ASMEND
	;;#ASMSTART
	v_dot2_f32_f16 v111, v140, v128, v111
	;;#ASMEND
	;; [unrolled: 3-line block ×12, first 2 shown]
	ds_load_b128 v[119:122], v92 offset:48
	ds_load_b128 v[123:126], v91 offset:48
	;; [unrolled: 1-line block ×6, first 2 shown]
	s_wait_dscnt 0x4
	;;#ASMSTART
	v_dot2_f32_f16 v51, v119, v123, v51
	;;#ASMEND
	;;#ASMSTART
	v_dot2_f32_f16 v51, v120, v124, v51
	;;#ASMEND
	;;#ASMSTART
	v_dot2_f32_f16 v51, v121, v125, v51
	;;#ASMEND
	;;#ASMSTART
	v_dot2_f32_f16 v51, v122, v126, v51
	;;#ASMEND
	s_wait_dscnt 0x3
	;;#ASMSTART
	v_dot2_f32_f16 v52, v119, v127, v52
	;;#ASMEND
	;;#ASMSTART
	v_dot2_f32_f16 v52, v120, v128, v52
	;;#ASMEND
	;;#ASMSTART
	v_dot2_f32_f16 v52, v121, v129, v52
	;;#ASMEND
	;;#ASMSTART
	v_dot2_f32_f16 v52, v122, v130, v52
	;;#ASMEND
	;; [unrolled: 13-line block ×5, first 2 shown]
	;;#ASMSTART
	v_dot2_f32_f16 v111, v139, v127, v111
	;;#ASMEND
	;;#ASMSTART
	v_dot2_f32_f16 v111, v140, v128, v111
	;;#ASMEND
	;; [unrolled: 3-line block ×12, first 2 shown]
	ds_load_b128 v[119:122], v92 offset:64
	ds_load_b128 v[123:126], v91 offset:64
	;; [unrolled: 1-line block ×6, first 2 shown]
	s_wait_dscnt 0x4
	;;#ASMSTART
	v_dot2_f32_f16 v51, v119, v123, v51
	;;#ASMEND
	;;#ASMSTART
	v_dot2_f32_f16 v51, v120, v124, v51
	;;#ASMEND
	;;#ASMSTART
	v_dot2_f32_f16 v51, v121, v125, v51
	;;#ASMEND
	;;#ASMSTART
	v_dot2_f32_f16 v51, v122, v126, v51
	;;#ASMEND
	s_wait_dscnt 0x3
	;;#ASMSTART
	v_dot2_f32_f16 v52, v119, v127, v52
	;;#ASMEND
	;;#ASMSTART
	v_dot2_f32_f16 v52, v120, v128, v52
	;;#ASMEND
	;;#ASMSTART
	v_dot2_f32_f16 v52, v121, v129, v52
	;;#ASMEND
	;;#ASMSTART
	v_dot2_f32_f16 v52, v122, v130, v52
	;;#ASMEND
	;; [unrolled: 13-line block ×5, first 2 shown]
	;;#ASMSTART
	v_dot2_f32_f16 v111, v139, v127, v111
	;;#ASMEND
	;;#ASMSTART
	v_dot2_f32_f16 v111, v140, v128, v111
	;;#ASMEND
	;; [unrolled: 3-line block ×12, first 2 shown]
	ds_load_b128 v[119:122], v92 offset:80
	ds_load_b128 v[123:126], v91 offset:80
	;; [unrolled: 1-line block ×6, first 2 shown]
	s_wait_dscnt 0x4
	;;#ASMSTART
	v_dot2_f32_f16 v51, v119, v123, v51
	;;#ASMEND
	;;#ASMSTART
	v_dot2_f32_f16 v51, v120, v124, v51
	;;#ASMEND
	;;#ASMSTART
	v_dot2_f32_f16 v51, v121, v125, v51
	;;#ASMEND
	;;#ASMSTART
	v_dot2_f32_f16 v51, v122, v126, v51
	;;#ASMEND
	s_wait_dscnt 0x3
	;;#ASMSTART
	v_dot2_f32_f16 v52, v119, v127, v52
	;;#ASMEND
	;;#ASMSTART
	v_dot2_f32_f16 v52, v120, v128, v52
	;;#ASMEND
	;;#ASMSTART
	v_dot2_f32_f16 v52, v121, v129, v52
	;;#ASMEND
	;;#ASMSTART
	v_dot2_f32_f16 v52, v122, v130, v52
	;;#ASMEND
	;; [unrolled: 13-line block ×5, first 2 shown]
	;;#ASMSTART
	v_dot2_f32_f16 v111, v139, v127, v111
	;;#ASMEND
	;;#ASMSTART
	v_dot2_f32_f16 v111, v140, v128, v111
	;;#ASMEND
	;; [unrolled: 3-line block ×12, first 2 shown]
	ds_load_b128 v[119:122], v92 offset:96
	ds_load_b128 v[123:126], v91 offset:96
	;; [unrolled: 1-line block ×6, first 2 shown]
	s_wait_dscnt 0x4
	;;#ASMSTART
	v_dot2_f32_f16 v51, v119, v123, v51
	;;#ASMEND
	;;#ASMSTART
	v_dot2_f32_f16 v51, v120, v124, v51
	;;#ASMEND
	;;#ASMSTART
	v_dot2_f32_f16 v51, v121, v125, v51
	;;#ASMEND
	;;#ASMSTART
	v_dot2_f32_f16 v51, v122, v126, v51
	;;#ASMEND
	s_wait_dscnt 0x3
	;;#ASMSTART
	v_dot2_f32_f16 v52, v119, v127, v52
	;;#ASMEND
	;;#ASMSTART
	v_dot2_f32_f16 v52, v120, v128, v52
	;;#ASMEND
	;;#ASMSTART
	v_dot2_f32_f16 v52, v121, v129, v52
	;;#ASMEND
	;;#ASMSTART
	v_dot2_f32_f16 v52, v122, v130, v52
	;;#ASMEND
	;; [unrolled: 13-line block ×5, first 2 shown]
	;;#ASMSTART
	v_dot2_f32_f16 v111, v139, v127, v111
	;;#ASMEND
	;;#ASMSTART
	v_dot2_f32_f16 v111, v140, v128, v111
	;;#ASMEND
	;; [unrolled: 3-line block ×12, first 2 shown]
	ds_load_b128 v[119:122], v92 offset:112
	ds_load_b128 v[123:126], v91 offset:112
	;; [unrolled: 1-line block ×6, first 2 shown]
	s_wait_dscnt 0x4
	;;#ASMSTART
	v_dot2_f32_f16 v51, v119, v123, v51
	;;#ASMEND
	;;#ASMSTART
	v_dot2_f32_f16 v51, v120, v124, v51
	;;#ASMEND
	;;#ASMSTART
	v_dot2_f32_f16 v51, v121, v125, v51
	;;#ASMEND
	;;#ASMSTART
	v_dot2_f32_f16 v51, v122, v126, v51
	;;#ASMEND
	s_wait_dscnt 0x3
	;;#ASMSTART
	v_dot2_f32_f16 v52, v119, v127, v52
	;;#ASMEND
	;;#ASMSTART
	v_dot2_f32_f16 v52, v120, v128, v52
	;;#ASMEND
	;;#ASMSTART
	v_dot2_f32_f16 v52, v121, v129, v52
	;;#ASMEND
	;;#ASMSTART
	v_dot2_f32_f16 v52, v122, v130, v52
	;;#ASMEND
	;; [unrolled: 13-line block ×5, first 2 shown]
	;;#ASMSTART
	v_dot2_f32_f16 v111, v139, v127, v111
	;;#ASMEND
	;;#ASMSTART
	v_dot2_f32_f16 v111, v140, v128, v111
	;;#ASMEND
	;; [unrolled: 3-line block ×12, first 2 shown]
	ds_load_b128 v[119:122], v92 offset:128
	ds_load_b128 v[123:126], v91 offset:128
	;; [unrolled: 1-line block ×6, first 2 shown]
	s_wait_dscnt 0x4
	;;#ASMSTART
	v_dot2_f32_f16 v51, v119, v123, v51
	;;#ASMEND
	;;#ASMSTART
	v_dot2_f32_f16 v51, v120, v124, v51
	;;#ASMEND
	;;#ASMSTART
	v_dot2_f32_f16 v51, v121, v125, v51
	;;#ASMEND
	;;#ASMSTART
	v_dot2_f32_f16 v51, v122, v126, v51
	;;#ASMEND
	s_wait_dscnt 0x3
	;;#ASMSTART
	v_dot2_f32_f16 v52, v119, v127, v52
	;;#ASMEND
	;;#ASMSTART
	v_dot2_f32_f16 v52, v120, v128, v52
	;;#ASMEND
	;;#ASMSTART
	v_dot2_f32_f16 v52, v121, v129, v52
	;;#ASMEND
	;;#ASMSTART
	v_dot2_f32_f16 v52, v122, v130, v52
	;;#ASMEND
	;; [unrolled: 13-line block ×5, first 2 shown]
	;;#ASMSTART
	v_dot2_f32_f16 v111, v139, v127, v111
	;;#ASMEND
	;;#ASMSTART
	v_dot2_f32_f16 v111, v140, v128, v111
	;;#ASMEND
	;; [unrolled: 3-line block ×12, first 2 shown]
	ds_load_b128 v[119:122], v92 offset:144
	ds_load_b128 v[123:126], v91 offset:144
	;; [unrolled: 1-line block ×6, first 2 shown]
	s_wait_dscnt 0x4
	;;#ASMSTART
	v_dot2_f32_f16 v51, v119, v123, v51
	;;#ASMEND
	;;#ASMSTART
	v_dot2_f32_f16 v51, v120, v124, v51
	;;#ASMEND
	;;#ASMSTART
	v_dot2_f32_f16 v51, v121, v125, v51
	;;#ASMEND
	;;#ASMSTART
	v_dot2_f32_f16 v51, v122, v126, v51
	;;#ASMEND
	s_wait_dscnt 0x3
	;;#ASMSTART
	v_dot2_f32_f16 v52, v119, v127, v52
	;;#ASMEND
	;;#ASMSTART
	v_dot2_f32_f16 v52, v120, v128, v52
	;;#ASMEND
	;;#ASMSTART
	v_dot2_f32_f16 v52, v121, v129, v52
	;;#ASMEND
	;;#ASMSTART
	v_dot2_f32_f16 v52, v122, v130, v52
	;;#ASMEND
	;; [unrolled: 13-line block ×5, first 2 shown]
	;;#ASMSTART
	v_dot2_f32_f16 v111, v139, v127, v111
	;;#ASMEND
	;;#ASMSTART
	v_dot2_f32_f16 v111, v140, v128, v111
	;;#ASMEND
	;; [unrolled: 3-line block ×12, first 2 shown]
	ds_load_b128 v[119:122], v92 offset:160
	ds_load_b128 v[123:126], v91 offset:160
	;; [unrolled: 1-line block ×6, first 2 shown]
	s_wait_dscnt 0x4
	;;#ASMSTART
	v_dot2_f32_f16 v51, v119, v123, v51
	;;#ASMEND
	;;#ASMSTART
	v_dot2_f32_f16 v51, v120, v124, v51
	;;#ASMEND
	;;#ASMSTART
	v_dot2_f32_f16 v51, v121, v125, v51
	;;#ASMEND
	;;#ASMSTART
	v_dot2_f32_f16 v51, v122, v126, v51
	;;#ASMEND
	s_wait_dscnt 0x3
	;;#ASMSTART
	v_dot2_f32_f16 v52, v119, v127, v52
	;;#ASMEND
	;;#ASMSTART
	v_dot2_f32_f16 v52, v120, v128, v52
	;;#ASMEND
	;;#ASMSTART
	v_dot2_f32_f16 v52, v121, v129, v52
	;;#ASMEND
	;;#ASMSTART
	v_dot2_f32_f16 v52, v122, v130, v52
	;;#ASMEND
	;; [unrolled: 13-line block ×5, first 2 shown]
	;;#ASMSTART
	v_dot2_f32_f16 v111, v139, v127, v111
	;;#ASMEND
	;;#ASMSTART
	v_dot2_f32_f16 v111, v140, v128, v111
	;;#ASMEND
	;; [unrolled: 3-line block ×12, first 2 shown]
	ds_load_b128 v[119:122], v92 offset:176
	ds_load_b128 v[123:126], v91 offset:176
	;; [unrolled: 1-line block ×6, first 2 shown]
	s_wait_dscnt 0x4
	;;#ASMSTART
	v_dot2_f32_f16 v51, v119, v123, v51
	;;#ASMEND
	;;#ASMSTART
	v_dot2_f32_f16 v51, v120, v124, v51
	;;#ASMEND
	;;#ASMSTART
	v_dot2_f32_f16 v51, v121, v125, v51
	;;#ASMEND
	;;#ASMSTART
	v_dot2_f32_f16 v51, v122, v126, v51
	;;#ASMEND
	s_wait_dscnt 0x3
	;;#ASMSTART
	v_dot2_f32_f16 v52, v119, v127, v52
	;;#ASMEND
	;;#ASMSTART
	v_dot2_f32_f16 v52, v120, v128, v52
	;;#ASMEND
	;;#ASMSTART
	v_dot2_f32_f16 v52, v121, v129, v52
	;;#ASMEND
	;;#ASMSTART
	v_dot2_f32_f16 v52, v122, v130, v52
	;;#ASMEND
	;; [unrolled: 13-line block ×5, first 2 shown]
	;;#ASMSTART
	v_dot2_f32_f16 v111, v139, v127, v111
	;;#ASMEND
	;;#ASMSTART
	v_dot2_f32_f16 v111, v140, v128, v111
	;;#ASMEND
	;; [unrolled: 3-line block ×12, first 2 shown]
	ds_load_b128 v[119:122], v92 offset:192
	ds_load_b128 v[123:126], v91 offset:192
	;; [unrolled: 1-line block ×6, first 2 shown]
	s_wait_dscnt 0x4
	;;#ASMSTART
	v_dot2_f32_f16 v51, v119, v123, v51
	;;#ASMEND
	;;#ASMSTART
	v_dot2_f32_f16 v51, v120, v124, v51
	;;#ASMEND
	;;#ASMSTART
	v_dot2_f32_f16 v51, v121, v125, v51
	;;#ASMEND
	;;#ASMSTART
	v_dot2_f32_f16 v51, v122, v126, v51
	;;#ASMEND
	s_wait_dscnt 0x3
	;;#ASMSTART
	v_dot2_f32_f16 v52, v119, v127, v52
	;;#ASMEND
	;;#ASMSTART
	v_dot2_f32_f16 v52, v120, v128, v52
	;;#ASMEND
	;;#ASMSTART
	v_dot2_f32_f16 v52, v121, v129, v52
	;;#ASMEND
	;;#ASMSTART
	v_dot2_f32_f16 v52, v122, v130, v52
	;;#ASMEND
	;; [unrolled: 13-line block ×5, first 2 shown]
	;;#ASMSTART
	v_dot2_f32_f16 v111, v139, v127, v111
	;;#ASMEND
	;;#ASMSTART
	v_dot2_f32_f16 v111, v140, v128, v111
	;;#ASMEND
	;; [unrolled: 3-line block ×12, first 2 shown]
	ds_load_b128 v[119:122], v92 offset:208
	ds_load_b128 v[123:126], v91 offset:208
	;; [unrolled: 1-line block ×6, first 2 shown]
	s_wait_dscnt 0x4
	;;#ASMSTART
	v_dot2_f32_f16 v51, v119, v123, v51
	;;#ASMEND
	;;#ASMSTART
	v_dot2_f32_f16 v51, v120, v124, v51
	;;#ASMEND
	;;#ASMSTART
	v_dot2_f32_f16 v51, v121, v125, v51
	;;#ASMEND
	;;#ASMSTART
	v_dot2_f32_f16 v51, v122, v126, v51
	;;#ASMEND
	s_wait_dscnt 0x3
	;;#ASMSTART
	v_dot2_f32_f16 v52, v119, v127, v52
	;;#ASMEND
	;;#ASMSTART
	v_dot2_f32_f16 v52, v120, v128, v52
	;;#ASMEND
	;;#ASMSTART
	v_dot2_f32_f16 v52, v121, v129, v52
	;;#ASMEND
	;;#ASMSTART
	v_dot2_f32_f16 v52, v122, v130, v52
	;;#ASMEND
	;; [unrolled: 13-line block ×5, first 2 shown]
	;;#ASMSTART
	v_dot2_f32_f16 v111, v139, v127, v111
	;;#ASMEND
	;;#ASMSTART
	v_dot2_f32_f16 v111, v140, v128, v111
	;;#ASMEND
	;; [unrolled: 3-line block ×12, first 2 shown]
	ds_load_b128 v[119:122], v92 offset:224
	ds_load_b128 v[123:126], v91 offset:224
	;; [unrolled: 1-line block ×6, first 2 shown]
	s_wait_dscnt 0x4
	;;#ASMSTART
	v_dot2_f32_f16 v51, v119, v123, v51
	;;#ASMEND
	;;#ASMSTART
	v_dot2_f32_f16 v51, v120, v124, v51
	;;#ASMEND
	;;#ASMSTART
	v_dot2_f32_f16 v51, v121, v125, v51
	;;#ASMEND
	;;#ASMSTART
	v_dot2_f32_f16 v51, v122, v126, v51
	;;#ASMEND
	s_wait_dscnt 0x3
	;;#ASMSTART
	v_dot2_f32_f16 v52, v119, v127, v52
	;;#ASMEND
	;;#ASMSTART
	v_dot2_f32_f16 v52, v120, v128, v52
	;;#ASMEND
	;;#ASMSTART
	v_dot2_f32_f16 v52, v121, v129, v52
	;;#ASMEND
	;;#ASMSTART
	v_dot2_f32_f16 v52, v122, v130, v52
	;;#ASMEND
	;; [unrolled: 13-line block ×5, first 2 shown]
	;;#ASMSTART
	v_dot2_f32_f16 v111, v139, v127, v111
	;;#ASMEND
	;;#ASMSTART
	v_dot2_f32_f16 v111, v140, v128, v111
	;;#ASMEND
	;;#ASMSTART
	v_dot2_f32_f16 v111, v141, v129, v111
	;;#ASMEND
	;;#ASMSTART
	v_dot2_f32_f16 v111, v142, v130, v111
	;;#ASMEND
	;;#ASMSTART
	v_dot2_f32_f16 v112, v139, v131, v112
	;;#ASMEND
	;;#ASMSTART
	v_dot2_f32_f16 v112, v140, v132, v112
	;;#ASMEND
	;;#ASMSTART
	v_dot2_f32_f16 v112, v141, v133, v112
	;;#ASMEND
	;;#ASMSTART
	v_dot2_f32_f16 v112, v142, v134, v112
	;;#ASMEND
	;;#ASMSTART
	v_dot2_f32_f16 v113, v139, v135, v113
	;;#ASMEND
	;;#ASMSTART
	v_dot2_f32_f16 v113, v140, v136, v113
	;;#ASMEND
	;;#ASMSTART
	v_dot2_f32_f16 v113, v141, v137, v113
	;;#ASMEND
	;;#ASMSTART
	v_dot2_f32_f16 v113, v142, v138, v113
	;;#ASMEND
	ds_load_b128 v[119:122], v92 offset:240
	ds_load_b128 v[123:126], v91 offset:240
	;; [unrolled: 1-line block ×6, first 2 shown]
	s_wait_dscnt 0x4
	;;#ASMSTART
	v_dot2_f32_f16 v51, v119, v123, v51
	;;#ASMEND
	;;#ASMSTART
	v_dot2_f32_f16 v51, v120, v124, v51
	;;#ASMEND
	;;#ASMSTART
	v_dot2_f32_f16 v51, v121, v125, v51
	;;#ASMEND
	;;#ASMSTART
	v_dot2_f32_f16 v51, v122, v126, v51
	;;#ASMEND
	s_wait_dscnt 0x3
	;;#ASMSTART
	v_dot2_f32_f16 v52, v119, v127, v52
	;;#ASMEND
	;;#ASMSTART
	v_dot2_f32_f16 v52, v120, v128, v52
	;;#ASMEND
	;;#ASMSTART
	v_dot2_f32_f16 v52, v121, v129, v52
	;;#ASMEND
	;;#ASMSTART
	v_dot2_f32_f16 v52, v122, v130, v52
	;;#ASMEND
	s_wait_dscnt 0x2
	;;#ASMSTART
	v_dot2_f32_f16 v53, v119, v131, v53
	;;#ASMEND
	;;#ASMSTART
	v_dot2_f32_f16 v53, v120, v132, v53
	;;#ASMEND
	;;#ASMSTART
	v_dot2_f32_f16 v53, v121, v133, v53
	;;#ASMEND
	;;#ASMSTART
	v_dot2_f32_f16 v53, v122, v134, v53
	;;#ASMEND
	s_wait_dscnt 0x1
	;;#ASMSTART
	v_dot2_f32_f16 v54, v119, v135, v54
	;;#ASMEND
	;;#ASMSTART
	v_dot2_f32_f16 v54, v120, v136, v54
	;;#ASMEND
	;;#ASMSTART
	v_dot2_f32_f16 v54, v121, v137, v54
	;;#ASMEND
	;;#ASMSTART
	v_dot2_f32_f16 v54, v122, v138, v54
	;;#ASMEND
	s_wait_dscnt 0x0
	;;#ASMSTART
	v_dot2_f32_f16 v55, v139, v123, v55
	;;#ASMEND
	;;#ASMSTART
	v_dot2_f32_f16 v55, v140, v124, v55
	;;#ASMEND
	;;#ASMSTART
	v_dot2_f32_f16 v55, v141, v125, v55
	;;#ASMEND
	;;#ASMSTART
	v_dot2_f32_f16 v55, v142, v126, v55
	;;#ASMEND
	;;#ASMSTART
	v_dot2_f32_f16 v111, v139, v127, v111
	;;#ASMEND
	;;#ASMSTART
	v_dot2_f32_f16 v111, v140, v128, v111
	;;#ASMEND
	;; [unrolled: 3-line block ×12, first 2 shown]
	s_wait_loadcnt 0x0
	s_barrier_signal -1
	s_barrier_wait -1
	global_inv scope:SCOPE_SE
	s_clause 0x3
	global_load_b128 v[119:122], v[20:21], off offset:256
	global_load_b128 v[20:23], v[22:23], off offset:256
	;; [unrolled: 1-line block ×4, first 2 shown]
	s_wait_loadcnt 0x3
	ds_store_b128 v87, v[119:122]
	s_wait_loadcnt 0x2
	ds_store_b128 v88, v[20:23]
	;; [unrolled: 2-line block ×4, first 2 shown]
	s_wait_dscnt 0x0
	s_barrier_signal -1
	s_barrier_wait -1
	global_inv scope:SCOPE_SE
	ds_load_b128 v[20:23], v92
	ds_load_b128 v[24:27], v91 offset:256
	ds_load_b128 v[119:122], v91 offset:768
	;; [unrolled: 1-line block ×5, first 2 shown]
	s_wait_dscnt 0x4
	;;#ASMSTART
	v_dot2_f32_f16 v51, v20, v24, v51
	;;#ASMEND
	;;#ASMSTART
	v_dot2_f32_f16 v51, v21, v25, v51
	;;#ASMEND
	;;#ASMSTART
	v_dot2_f32_f16 v51, v22, v26, v51
	;;#ASMEND
	;;#ASMSTART
	v_dot2_f32_f16 v51, v23, v27, v51
	;;#ASMEND
	s_wait_dscnt 0x3
	;;#ASMSTART
	v_dot2_f32_f16 v52, v20, v119, v52
	;;#ASMEND
	;;#ASMSTART
	v_dot2_f32_f16 v52, v21, v120, v52
	;;#ASMEND
	;;#ASMSTART
	v_dot2_f32_f16 v52, v22, v121, v52
	;;#ASMEND
	;;#ASMSTART
	v_dot2_f32_f16 v52, v23, v122, v52
	;;#ASMEND
	;; [unrolled: 13-line block ×5, first 2 shown]
	;;#ASMSTART
	v_dot2_f32_f16 v111, v131, v119, v111
	;;#ASMEND
	;;#ASMSTART
	v_dot2_f32_f16 v111, v132, v120, v111
	;;#ASMEND
	;; [unrolled: 3-line block ×12, first 2 shown]
	ds_load_b128 v[20:23], v92 offset:16
	ds_load_b128 v[24:27], v91 offset:272
	;; [unrolled: 1-line block ×6, first 2 shown]
	s_wait_dscnt 0x4
	;;#ASMSTART
	v_dot2_f32_f16 v51, v20, v24, v51
	;;#ASMEND
	;;#ASMSTART
	v_dot2_f32_f16 v51, v21, v25, v51
	;;#ASMEND
	;;#ASMSTART
	v_dot2_f32_f16 v51, v22, v26, v51
	;;#ASMEND
	;;#ASMSTART
	v_dot2_f32_f16 v51, v23, v27, v51
	;;#ASMEND
	s_wait_dscnt 0x3
	;;#ASMSTART
	v_dot2_f32_f16 v52, v20, v119, v52
	;;#ASMEND
	;;#ASMSTART
	v_dot2_f32_f16 v52, v21, v120, v52
	;;#ASMEND
	;;#ASMSTART
	v_dot2_f32_f16 v52, v22, v121, v52
	;;#ASMEND
	;;#ASMSTART
	v_dot2_f32_f16 v52, v23, v122, v52
	;;#ASMEND
	;; [unrolled: 13-line block ×5, first 2 shown]
	;;#ASMSTART
	v_dot2_f32_f16 v111, v131, v119, v111
	;;#ASMEND
	;;#ASMSTART
	v_dot2_f32_f16 v111, v132, v120, v111
	;;#ASMEND
	;; [unrolled: 3-line block ×12, first 2 shown]
	ds_load_b128 v[20:23], v92 offset:32
	ds_load_b128 v[24:27], v91 offset:288
	;; [unrolled: 1-line block ×6, first 2 shown]
	s_wait_dscnt 0x4
	;;#ASMSTART
	v_dot2_f32_f16 v51, v20, v24, v51
	;;#ASMEND
	;;#ASMSTART
	v_dot2_f32_f16 v51, v21, v25, v51
	;;#ASMEND
	;;#ASMSTART
	v_dot2_f32_f16 v51, v22, v26, v51
	;;#ASMEND
	;;#ASMSTART
	v_dot2_f32_f16 v51, v23, v27, v51
	;;#ASMEND
	s_wait_dscnt 0x3
	;;#ASMSTART
	v_dot2_f32_f16 v52, v20, v119, v52
	;;#ASMEND
	;;#ASMSTART
	v_dot2_f32_f16 v52, v21, v120, v52
	;;#ASMEND
	;;#ASMSTART
	v_dot2_f32_f16 v52, v22, v121, v52
	;;#ASMEND
	;;#ASMSTART
	v_dot2_f32_f16 v52, v23, v122, v52
	;;#ASMEND
	;; [unrolled: 13-line block ×5, first 2 shown]
	;;#ASMSTART
	v_dot2_f32_f16 v111, v131, v119, v111
	;;#ASMEND
	;;#ASMSTART
	v_dot2_f32_f16 v111, v132, v120, v111
	;;#ASMEND
	;; [unrolled: 3-line block ×12, first 2 shown]
	ds_load_b128 v[20:23], v92 offset:48
	ds_load_b128 v[24:27], v91 offset:304
	ds_load_b128 v[119:122], v91 offset:816
	ds_load_b128 v[123:126], v91 offset:1328
	ds_load_b128 v[127:130], v91 offset:1840
	ds_load_b128 v[131:134], v92 offset:8752
	s_wait_dscnt 0x4
	;;#ASMSTART
	v_dot2_f32_f16 v51, v20, v24, v51
	;;#ASMEND
	;;#ASMSTART
	v_dot2_f32_f16 v51, v21, v25, v51
	;;#ASMEND
	;;#ASMSTART
	v_dot2_f32_f16 v51, v22, v26, v51
	;;#ASMEND
	;;#ASMSTART
	v_dot2_f32_f16 v51, v23, v27, v51
	;;#ASMEND
	s_wait_dscnt 0x3
	;;#ASMSTART
	v_dot2_f32_f16 v52, v20, v119, v52
	;;#ASMEND
	;;#ASMSTART
	v_dot2_f32_f16 v52, v21, v120, v52
	;;#ASMEND
	;;#ASMSTART
	v_dot2_f32_f16 v52, v22, v121, v52
	;;#ASMEND
	;;#ASMSTART
	v_dot2_f32_f16 v52, v23, v122, v52
	;;#ASMEND
	;; [unrolled: 13-line block ×5, first 2 shown]
	;;#ASMSTART
	v_dot2_f32_f16 v111, v131, v119, v111
	;;#ASMEND
	;;#ASMSTART
	v_dot2_f32_f16 v111, v132, v120, v111
	;;#ASMEND
	;;#ASMSTART
	v_dot2_f32_f16 v111, v133, v121, v111
	;;#ASMEND
	;;#ASMSTART
	v_dot2_f32_f16 v111, v134, v122, v111
	;;#ASMEND
	;;#ASMSTART
	v_dot2_f32_f16 v112, v131, v123, v112
	;;#ASMEND
	;;#ASMSTART
	v_dot2_f32_f16 v112, v132, v124, v112
	;;#ASMEND
	;;#ASMSTART
	v_dot2_f32_f16 v112, v133, v125, v112
	;;#ASMEND
	;;#ASMSTART
	v_dot2_f32_f16 v112, v134, v126, v112
	;;#ASMEND
	;;#ASMSTART
	v_dot2_f32_f16 v113, v131, v127, v113
	;;#ASMEND
	;;#ASMSTART
	v_dot2_f32_f16 v113, v132, v128, v113
	;;#ASMEND
	;;#ASMSTART
	v_dot2_f32_f16 v113, v133, v129, v113
	;;#ASMEND
	;;#ASMSTART
	v_dot2_f32_f16 v113, v134, v130, v113
	;;#ASMEND
	ds_load_b128 v[20:23], v92 offset:64
	ds_load_b128 v[24:27], v91 offset:320
	;; [unrolled: 1-line block ×6, first 2 shown]
	s_wait_dscnt 0x4
	;;#ASMSTART
	v_dot2_f32_f16 v51, v20, v24, v51
	;;#ASMEND
	;;#ASMSTART
	v_dot2_f32_f16 v51, v21, v25, v51
	;;#ASMEND
	;;#ASMSTART
	v_dot2_f32_f16 v51, v22, v26, v51
	;;#ASMEND
	;;#ASMSTART
	v_dot2_f32_f16 v51, v23, v27, v51
	;;#ASMEND
	s_wait_dscnt 0x3
	;;#ASMSTART
	v_dot2_f32_f16 v52, v20, v119, v52
	;;#ASMEND
	;;#ASMSTART
	v_dot2_f32_f16 v52, v21, v120, v52
	;;#ASMEND
	;;#ASMSTART
	v_dot2_f32_f16 v52, v22, v121, v52
	;;#ASMEND
	;;#ASMSTART
	v_dot2_f32_f16 v52, v23, v122, v52
	;;#ASMEND
	;; [unrolled: 13-line block ×5, first 2 shown]
	;;#ASMSTART
	v_dot2_f32_f16 v111, v131, v119, v111
	;;#ASMEND
	;;#ASMSTART
	v_dot2_f32_f16 v111, v132, v120, v111
	;;#ASMEND
	;; [unrolled: 3-line block ×12, first 2 shown]
	ds_load_b128 v[20:23], v92 offset:80
	ds_load_b128 v[24:27], v91 offset:336
	;; [unrolled: 1-line block ×6, first 2 shown]
	s_wait_dscnt 0x4
	;;#ASMSTART
	v_dot2_f32_f16 v51, v20, v24, v51
	;;#ASMEND
	;;#ASMSTART
	v_dot2_f32_f16 v51, v21, v25, v51
	;;#ASMEND
	;;#ASMSTART
	v_dot2_f32_f16 v51, v22, v26, v51
	;;#ASMEND
	;;#ASMSTART
	v_dot2_f32_f16 v51, v23, v27, v51
	;;#ASMEND
	s_wait_dscnt 0x3
	;;#ASMSTART
	v_dot2_f32_f16 v52, v20, v119, v52
	;;#ASMEND
	;;#ASMSTART
	v_dot2_f32_f16 v52, v21, v120, v52
	;;#ASMEND
	;;#ASMSTART
	v_dot2_f32_f16 v52, v22, v121, v52
	;;#ASMEND
	;;#ASMSTART
	v_dot2_f32_f16 v52, v23, v122, v52
	;;#ASMEND
	;; [unrolled: 13-line block ×5, first 2 shown]
	;;#ASMSTART
	v_dot2_f32_f16 v111, v131, v119, v111
	;;#ASMEND
	;;#ASMSTART
	v_dot2_f32_f16 v111, v132, v120, v111
	;;#ASMEND
	;; [unrolled: 3-line block ×12, first 2 shown]
	ds_load_b128 v[20:23], v92 offset:96
	ds_load_b128 v[24:27], v91 offset:352
	;; [unrolled: 1-line block ×6, first 2 shown]
	s_wait_dscnt 0x4
	;;#ASMSTART
	v_dot2_f32_f16 v51, v20, v24, v51
	;;#ASMEND
	;;#ASMSTART
	v_dot2_f32_f16 v51, v21, v25, v51
	;;#ASMEND
	;;#ASMSTART
	v_dot2_f32_f16 v51, v22, v26, v51
	;;#ASMEND
	;;#ASMSTART
	v_dot2_f32_f16 v51, v23, v27, v51
	;;#ASMEND
	s_wait_dscnt 0x3
	;;#ASMSTART
	v_dot2_f32_f16 v52, v20, v119, v52
	;;#ASMEND
	;;#ASMSTART
	v_dot2_f32_f16 v52, v21, v120, v52
	;;#ASMEND
	;;#ASMSTART
	v_dot2_f32_f16 v52, v22, v121, v52
	;;#ASMEND
	;;#ASMSTART
	v_dot2_f32_f16 v52, v23, v122, v52
	;;#ASMEND
	;; [unrolled: 13-line block ×5, first 2 shown]
	;;#ASMSTART
	v_dot2_f32_f16 v111, v131, v119, v111
	;;#ASMEND
	;;#ASMSTART
	v_dot2_f32_f16 v111, v132, v120, v111
	;;#ASMEND
	;; [unrolled: 3-line block ×12, first 2 shown]
	ds_load_b128 v[20:23], v92 offset:112
	ds_load_b128 v[24:27], v91 offset:368
	;; [unrolled: 1-line block ×6, first 2 shown]
	s_wait_dscnt 0x4
	;;#ASMSTART
	v_dot2_f32_f16 v51, v20, v24, v51
	;;#ASMEND
	;;#ASMSTART
	v_dot2_f32_f16 v51, v21, v25, v51
	;;#ASMEND
	;;#ASMSTART
	v_dot2_f32_f16 v51, v22, v26, v51
	;;#ASMEND
	;;#ASMSTART
	v_dot2_f32_f16 v51, v23, v27, v51
	;;#ASMEND
	s_wait_dscnt 0x3
	;;#ASMSTART
	v_dot2_f32_f16 v52, v20, v119, v52
	;;#ASMEND
	;;#ASMSTART
	v_dot2_f32_f16 v52, v21, v120, v52
	;;#ASMEND
	;;#ASMSTART
	v_dot2_f32_f16 v52, v22, v121, v52
	;;#ASMEND
	;;#ASMSTART
	v_dot2_f32_f16 v52, v23, v122, v52
	;;#ASMEND
	;; [unrolled: 13-line block ×5, first 2 shown]
	;;#ASMSTART
	v_dot2_f32_f16 v111, v131, v119, v111
	;;#ASMEND
	;;#ASMSTART
	v_dot2_f32_f16 v111, v132, v120, v111
	;;#ASMEND
	;; [unrolled: 3-line block ×12, first 2 shown]
	ds_load_b128 v[20:23], v92 offset:128
	ds_load_b128 v[24:27], v91 offset:384
	;; [unrolled: 1-line block ×6, first 2 shown]
	s_wait_dscnt 0x4
	;;#ASMSTART
	v_dot2_f32_f16 v51, v20, v24, v51
	;;#ASMEND
	;;#ASMSTART
	v_dot2_f32_f16 v51, v21, v25, v51
	;;#ASMEND
	;;#ASMSTART
	v_dot2_f32_f16 v51, v22, v26, v51
	;;#ASMEND
	;;#ASMSTART
	v_dot2_f32_f16 v51, v23, v27, v51
	;;#ASMEND
	s_wait_dscnt 0x3
	;;#ASMSTART
	v_dot2_f32_f16 v52, v20, v119, v52
	;;#ASMEND
	;;#ASMSTART
	v_dot2_f32_f16 v52, v21, v120, v52
	;;#ASMEND
	;;#ASMSTART
	v_dot2_f32_f16 v52, v22, v121, v52
	;;#ASMEND
	;;#ASMSTART
	v_dot2_f32_f16 v52, v23, v122, v52
	;;#ASMEND
	;; [unrolled: 13-line block ×5, first 2 shown]
	;;#ASMSTART
	v_dot2_f32_f16 v111, v131, v119, v111
	;;#ASMEND
	;;#ASMSTART
	v_dot2_f32_f16 v111, v132, v120, v111
	;;#ASMEND
	;; [unrolled: 3-line block ×12, first 2 shown]
	ds_load_b128 v[20:23], v92 offset:144
	ds_load_b128 v[24:27], v91 offset:400
	;; [unrolled: 1-line block ×6, first 2 shown]
	s_wait_dscnt 0x4
	;;#ASMSTART
	v_dot2_f32_f16 v51, v20, v24, v51
	;;#ASMEND
	;;#ASMSTART
	v_dot2_f32_f16 v51, v21, v25, v51
	;;#ASMEND
	;;#ASMSTART
	v_dot2_f32_f16 v51, v22, v26, v51
	;;#ASMEND
	;;#ASMSTART
	v_dot2_f32_f16 v51, v23, v27, v51
	;;#ASMEND
	s_wait_dscnt 0x3
	;;#ASMSTART
	v_dot2_f32_f16 v52, v20, v119, v52
	;;#ASMEND
	;;#ASMSTART
	v_dot2_f32_f16 v52, v21, v120, v52
	;;#ASMEND
	;;#ASMSTART
	v_dot2_f32_f16 v52, v22, v121, v52
	;;#ASMEND
	;;#ASMSTART
	v_dot2_f32_f16 v52, v23, v122, v52
	;;#ASMEND
	;; [unrolled: 13-line block ×5, first 2 shown]
	;;#ASMSTART
	v_dot2_f32_f16 v111, v131, v119, v111
	;;#ASMEND
	;;#ASMSTART
	v_dot2_f32_f16 v111, v132, v120, v111
	;;#ASMEND
	;; [unrolled: 3-line block ×12, first 2 shown]
	ds_load_b128 v[20:23], v92 offset:160
	ds_load_b128 v[24:27], v91 offset:416
	;; [unrolled: 1-line block ×6, first 2 shown]
	s_wait_dscnt 0x4
	;;#ASMSTART
	v_dot2_f32_f16 v51, v20, v24, v51
	;;#ASMEND
	;;#ASMSTART
	v_dot2_f32_f16 v51, v21, v25, v51
	;;#ASMEND
	;;#ASMSTART
	v_dot2_f32_f16 v51, v22, v26, v51
	;;#ASMEND
	;;#ASMSTART
	v_dot2_f32_f16 v51, v23, v27, v51
	;;#ASMEND
	s_wait_dscnt 0x3
	;;#ASMSTART
	v_dot2_f32_f16 v52, v20, v119, v52
	;;#ASMEND
	;;#ASMSTART
	v_dot2_f32_f16 v52, v21, v120, v52
	;;#ASMEND
	;;#ASMSTART
	v_dot2_f32_f16 v52, v22, v121, v52
	;;#ASMEND
	;;#ASMSTART
	v_dot2_f32_f16 v52, v23, v122, v52
	;;#ASMEND
	;; [unrolled: 13-line block ×5, first 2 shown]
	;;#ASMSTART
	v_dot2_f32_f16 v111, v131, v119, v111
	;;#ASMEND
	;;#ASMSTART
	v_dot2_f32_f16 v111, v132, v120, v111
	;;#ASMEND
	;; [unrolled: 3-line block ×12, first 2 shown]
	ds_load_b128 v[20:23], v92 offset:176
	ds_load_b128 v[24:27], v91 offset:432
	;; [unrolled: 1-line block ×6, first 2 shown]
	s_wait_dscnt 0x4
	;;#ASMSTART
	v_dot2_f32_f16 v51, v20, v24, v51
	;;#ASMEND
	;;#ASMSTART
	v_dot2_f32_f16 v51, v21, v25, v51
	;;#ASMEND
	;;#ASMSTART
	v_dot2_f32_f16 v51, v22, v26, v51
	;;#ASMEND
	;;#ASMSTART
	v_dot2_f32_f16 v51, v23, v27, v51
	;;#ASMEND
	s_wait_dscnt 0x3
	;;#ASMSTART
	v_dot2_f32_f16 v52, v20, v119, v52
	;;#ASMEND
	;;#ASMSTART
	v_dot2_f32_f16 v52, v21, v120, v52
	;;#ASMEND
	;;#ASMSTART
	v_dot2_f32_f16 v52, v22, v121, v52
	;;#ASMEND
	;;#ASMSTART
	v_dot2_f32_f16 v52, v23, v122, v52
	;;#ASMEND
	;; [unrolled: 13-line block ×5, first 2 shown]
	;;#ASMSTART
	v_dot2_f32_f16 v111, v131, v119, v111
	;;#ASMEND
	;;#ASMSTART
	v_dot2_f32_f16 v111, v132, v120, v111
	;;#ASMEND
	;; [unrolled: 3-line block ×12, first 2 shown]
	ds_load_b128 v[20:23], v92 offset:192
	ds_load_b128 v[24:27], v91 offset:448
	;; [unrolled: 1-line block ×6, first 2 shown]
	s_wait_dscnt 0x4
	;;#ASMSTART
	v_dot2_f32_f16 v51, v20, v24, v51
	;;#ASMEND
	;;#ASMSTART
	v_dot2_f32_f16 v51, v21, v25, v51
	;;#ASMEND
	;;#ASMSTART
	v_dot2_f32_f16 v51, v22, v26, v51
	;;#ASMEND
	;;#ASMSTART
	v_dot2_f32_f16 v51, v23, v27, v51
	;;#ASMEND
	s_wait_dscnt 0x3
	;;#ASMSTART
	v_dot2_f32_f16 v52, v20, v119, v52
	;;#ASMEND
	;;#ASMSTART
	v_dot2_f32_f16 v52, v21, v120, v52
	;;#ASMEND
	;;#ASMSTART
	v_dot2_f32_f16 v52, v22, v121, v52
	;;#ASMEND
	;;#ASMSTART
	v_dot2_f32_f16 v52, v23, v122, v52
	;;#ASMEND
	;; [unrolled: 13-line block ×5, first 2 shown]
	;;#ASMSTART
	v_dot2_f32_f16 v111, v131, v119, v111
	;;#ASMEND
	;;#ASMSTART
	v_dot2_f32_f16 v111, v132, v120, v111
	;;#ASMEND
	;; [unrolled: 3-line block ×12, first 2 shown]
	ds_load_b128 v[20:23], v92 offset:208
	ds_load_b128 v[24:27], v91 offset:464
	;; [unrolled: 1-line block ×6, first 2 shown]
	s_wait_dscnt 0x4
	;;#ASMSTART
	v_dot2_f32_f16 v51, v20, v24, v51
	;;#ASMEND
	;;#ASMSTART
	v_dot2_f32_f16 v51, v21, v25, v51
	;;#ASMEND
	;;#ASMSTART
	v_dot2_f32_f16 v51, v22, v26, v51
	;;#ASMEND
	;;#ASMSTART
	v_dot2_f32_f16 v51, v23, v27, v51
	;;#ASMEND
	s_wait_dscnt 0x3
	;;#ASMSTART
	v_dot2_f32_f16 v52, v20, v119, v52
	;;#ASMEND
	;;#ASMSTART
	v_dot2_f32_f16 v52, v21, v120, v52
	;;#ASMEND
	;;#ASMSTART
	v_dot2_f32_f16 v52, v22, v121, v52
	;;#ASMEND
	;;#ASMSTART
	v_dot2_f32_f16 v52, v23, v122, v52
	;;#ASMEND
	;; [unrolled: 13-line block ×5, first 2 shown]
	;;#ASMSTART
	v_dot2_f32_f16 v111, v131, v119, v111
	;;#ASMEND
	;;#ASMSTART
	v_dot2_f32_f16 v111, v132, v120, v111
	;;#ASMEND
	;;#ASMSTART
	v_dot2_f32_f16 v111, v133, v121, v111
	;;#ASMEND
	;;#ASMSTART
	v_dot2_f32_f16 v111, v134, v122, v111
	;;#ASMEND
	;;#ASMSTART
	v_dot2_f32_f16 v112, v131, v123, v112
	;;#ASMEND
	;;#ASMSTART
	v_dot2_f32_f16 v112, v132, v124, v112
	;;#ASMEND
	;;#ASMSTART
	v_dot2_f32_f16 v112, v133, v125, v112
	;;#ASMEND
	;;#ASMSTART
	v_dot2_f32_f16 v112, v134, v126, v112
	;;#ASMEND
	;;#ASMSTART
	v_dot2_f32_f16 v113, v131, v127, v113
	;;#ASMEND
	;;#ASMSTART
	v_dot2_f32_f16 v113, v132, v128, v113
	;;#ASMEND
	;;#ASMSTART
	v_dot2_f32_f16 v113, v133, v129, v113
	;;#ASMEND
	;;#ASMSTART
	v_dot2_f32_f16 v113, v134, v130, v113
	;;#ASMEND
	ds_load_b128 v[20:23], v92 offset:224
	ds_load_b128 v[24:27], v91 offset:480
	;; [unrolled: 1-line block ×6, first 2 shown]
	s_wait_dscnt 0x4
	;;#ASMSTART
	v_dot2_f32_f16 v51, v20, v24, v51
	;;#ASMEND
	;;#ASMSTART
	v_dot2_f32_f16 v51, v21, v25, v51
	;;#ASMEND
	;;#ASMSTART
	v_dot2_f32_f16 v51, v22, v26, v51
	;;#ASMEND
	;;#ASMSTART
	v_dot2_f32_f16 v51, v23, v27, v51
	;;#ASMEND
	s_wait_dscnt 0x3
	;;#ASMSTART
	v_dot2_f32_f16 v52, v20, v119, v52
	;;#ASMEND
	;;#ASMSTART
	v_dot2_f32_f16 v52, v21, v120, v52
	;;#ASMEND
	;;#ASMSTART
	v_dot2_f32_f16 v52, v22, v121, v52
	;;#ASMEND
	;;#ASMSTART
	v_dot2_f32_f16 v52, v23, v122, v52
	;;#ASMEND
	;; [unrolled: 13-line block ×5, first 2 shown]
	;;#ASMSTART
	v_dot2_f32_f16 v111, v131, v119, v111
	;;#ASMEND
	;;#ASMSTART
	v_dot2_f32_f16 v111, v132, v120, v111
	;;#ASMEND
	;;#ASMSTART
	v_dot2_f32_f16 v111, v133, v121, v111
	;;#ASMEND
	;;#ASMSTART
	v_dot2_f32_f16 v111, v134, v122, v111
	;;#ASMEND
	;;#ASMSTART
	v_dot2_f32_f16 v112, v131, v123, v112
	;;#ASMEND
	;;#ASMSTART
	v_dot2_f32_f16 v112, v132, v124, v112
	;;#ASMEND
	;;#ASMSTART
	v_dot2_f32_f16 v112, v133, v125, v112
	;;#ASMEND
	;;#ASMSTART
	v_dot2_f32_f16 v112, v134, v126, v112
	;;#ASMEND
	;;#ASMSTART
	v_dot2_f32_f16 v113, v131, v127, v113
	;;#ASMEND
	;;#ASMSTART
	v_dot2_f32_f16 v113, v132, v128, v113
	;;#ASMEND
	;;#ASMSTART
	v_dot2_f32_f16 v113, v133, v129, v113
	;;#ASMEND
	;;#ASMSTART
	v_dot2_f32_f16 v113, v134, v130, v113
	;;#ASMEND
	ds_load_b128 v[20:23], v92 offset:240
	ds_load_b128 v[24:27], v91 offset:496
	;; [unrolled: 1-line block ×6, first 2 shown]
	s_wait_dscnt 0x4
	;;#ASMSTART
	v_dot2_f32_f16 v51, v20, v24, v51
	;;#ASMEND
	;;#ASMSTART
	v_dot2_f32_f16 v51, v21, v25, v51
	;;#ASMEND
	;;#ASMSTART
	v_dot2_f32_f16 v51, v22, v26, v51
	;;#ASMEND
	;;#ASMSTART
	v_dot2_f32_f16 v51, v23, v27, v51
	;;#ASMEND
	s_wait_dscnt 0x3
	;;#ASMSTART
	v_dot2_f32_f16 v52, v20, v119, v52
	;;#ASMEND
	;;#ASMSTART
	v_dot2_f32_f16 v52, v21, v120, v52
	;;#ASMEND
	;;#ASMSTART
	v_dot2_f32_f16 v52, v22, v121, v52
	;;#ASMEND
	;;#ASMSTART
	v_dot2_f32_f16 v52, v23, v122, v52
	;;#ASMEND
	;; [unrolled: 13-line block ×5, first 2 shown]
	;;#ASMSTART
	v_dot2_f32_f16 v111, v131, v119, v111
	;;#ASMEND
	;;#ASMSTART
	v_dot2_f32_f16 v111, v132, v120, v111
	;;#ASMEND
	;; [unrolled: 3-line block ×12, first 2 shown]
	s_clause 0x3
	global_load_u16 v24, v[16:17], off
	global_load_u16 v25, v[16:17], off offset:64
	global_load_u16 v26, v[18:19], off
	global_load_u16 v27, v[18:19], off offset:64
	s_wait_loadcnt 0x0
	s_barrier_signal -1
	s_barrier_wait -1
	global_inv scope:SCOPE_SE
	s_clause 0x3
	global_load_b128 v[16:19], v[0:1], off
	global_load_b128 v[0:3], v[2:3], off
	;; [unrolled: 1-line block ×4, first 2 shown]
	s_wait_loadcnt 0x3
	ds_store_b128 v94, v[16:19]
	s_wait_loadcnt 0x2
	ds_store_b128 v97, v[0:3]
	;; [unrolled: 2-line block ×4, first 2 shown]
	v_cvt_f32_f16_e32 v24, v24
	v_cvt_f32_f16_e32 v25, v25
	;; [unrolled: 1-line block ×4, first 2 shown]
	s_delay_alu instid0(VALU_DEP_4) | instskip(NEXT) | instid1(VALU_DEP_4)
	v_add_f32_e32 v12, v51, v24
	v_dual_add_f32 v13, v55, v25 :: v_dual_add_f32 v14, v52, v24
	s_delay_alu instid0(VALU_DEP_3) | instskip(SKIP_2) | instid1(VALU_DEP_4)
	v_add_f32_e32 v19, v113, v27
	v_dual_add_f32 v15, v111, v25 :: v_dual_add_f32 v16, v53, v26
	v_dual_add_f32 v17, v112, v27 :: v_dual_add_f32 v18, v54, v26
	;; [unrolled: 1-line block ×3, first 2 shown]
	s_delay_alu instid0(VALU_DEP_3) | instskip(NEXT) | instid1(VALU_DEP_3)
	v_dual_add_f32 v3, 0x40051340, v15 :: v_dual_add_f32 v2, 0x40051340, v14
	v_dual_add_f32 v21, 0x40051340, v17 :: v_dual_add_f32 v20, 0x40051340, v16
	v_add_f32_e32 v23, 0x40051340, v19
	s_delay_alu instid0(VALU_DEP_4) | instskip(NEXT) | instid1(VALU_DEP_4)
	v_max3_num_f32 v0, v50, v0, v1
	v_max3_num_f32 v1, v49, v2, v3
	s_delay_alu instid0(VALU_DEP_4) | instskip(SKIP_4) | instid1(VALU_DEP_1)
	v_max3_num_f32 v2, v48, v20, v21
	ds_bpermute_b32 v20, v118, v0
	ds_bpermute_b32 v21, v118, v1
	s_wait_dscnt 0x0
	v_dual_add_f32 v22, 0x40051340, v18 :: v_dual_max_num_f32 v21, v21, v21
	v_max3_num_f32 v3, v47, v22, v23
	ds_bpermute_b32 v22, v118, v2
	v_max_num_f32_e32 v1, v1, v21
	ds_bpermute_b32 v23, v118, v3
	v_max_num_f32_e32 v20, v20, v20
	ds_bpermute_b32 v21, v117, v1
	s_wait_dscnt 0x1
	v_dual_max_num_f32 v22, v22, v22 :: v_dual_max_num_f32 v23, v23, v23
	s_delay_alu instid0(VALU_DEP_1) | instskip(SKIP_2) | instid1(VALU_DEP_3)
	v_max_num_f32_e32 v2, v2, v22
	s_wait_dscnt 0x0
	v_dual_max_num_f32 v0, v0, v20 :: v_dual_max_num_f32 v21, v21, v21
	v_max_num_f32_e32 v3, v3, v23
	ds_bpermute_b32 v22, v117, v2
	ds_bpermute_b32 v20, v117, v0
	v_max_num_f32_e32 v1, v1, v21
	ds_bpermute_b32 v23, v117, v3
	ds_bpermute_b32 v21, v116, v1
	s_wait_dscnt 0x3
	v_max_num_f32_e32 v22, v22, v22
	s_wait_dscnt 0x1
	v_dual_max_num_f32 v20, v20, v20 :: v_dual_max_num_f32 v23, v23, v23
	s_delay_alu instid0(VALU_DEP_2) | instskip(SKIP_1) | instid1(VALU_DEP_2)
	v_max_num_f32_e32 v2, v2, v22
	s_wait_dscnt 0x0
	v_dual_max_num_f32 v0, v0, v20 :: v_dual_max_num_f32 v21, v21, v21
	s_delay_alu instid0(VALU_DEP_3)
	v_max_num_f32_e32 v3, v3, v23
	ds_bpermute_b32 v22, v116, v2
	ds_bpermute_b32 v20, v116, v0
	v_max_num_f32_e32 v1, v1, v21
	ds_bpermute_b32 v23, v116, v3
	ds_bpermute_b32 v21, v115, v1
	s_wait_dscnt 0x3
	v_max_num_f32_e32 v22, v22, v22
	s_wait_dscnt 0x1
	v_dual_max_num_f32 v20, v20, v20 :: v_dual_max_num_f32 v23, v23, v23
	s_delay_alu instid0(VALU_DEP_2) | instskip(SKIP_1) | instid1(VALU_DEP_2)
	v_max_num_f32_e32 v2, v2, v22
	s_wait_dscnt 0x0
	v_dual_max_num_f32 v0, v0, v20 :: v_dual_max_num_f32 v21, v21, v21
	s_delay_alu instid0(VALU_DEP_3)
	v_max_num_f32_e32 v3, v3, v23
	ds_bpermute_b32 v22, v115, v2
	ds_bpermute_b32 v20, v115, v0
	v_max_num_f32_e32 v1, v1, v21
	ds_bpermute_b32 v23, v115, v3
	ds_bpermute_b32 v21, v110, v1
	s_wait_dscnt 0x3
	v_max_num_f32_e32 v22, v22, v22
	s_wait_dscnt 0x1
	v_dual_max_num_f32 v20, v20, v20 :: v_dual_max_num_f32 v23, v23, v23
	s_delay_alu instid0(VALU_DEP_2) | instskip(SKIP_1) | instid1(VALU_DEP_2)
	v_max_num_f32_e32 v2, v2, v22
	s_wait_dscnt 0x0
	v_dual_max_num_f32 v0, v0, v20 :: v_dual_max_num_f32 v21, v21, v21
	s_delay_alu instid0(VALU_DEP_3)
	v_max_num_f32_e32 v3, v3, v23
	ds_bpermute_b32 v22, v110, v2
	ds_bpermute_b32 v20, v110, v0
	v_max_num_f32_e32 v1, v1, v21
	ds_bpermute_b32 v23, v110, v3
	v_sub_f32_e32 v21, v49, v1
	v_sub_f32_e32 v15, v15, v1
	s_delay_alu instid0(VALU_DEP_2) | instskip(NEXT) | instid1(VALU_DEP_2)
	v_cmp_ngt_f32_e64 s5, 0xc2ce8ed0, v21
	v_cmp_ngt_f32_e64 s4, 0xc2ce8ed0, v15
	v_cmp_nlt_f32_e64 s16, 0x42b17218, v15
	v_cmp_nlt_f32_e64 s17, 0x42b17218, v21
	s_wait_dscnt 0x2
	v_max_num_f32_e32 v22, v22, v22
	s_wait_dscnt 0x0
	v_dual_max_num_f32 v20, v20, v20 :: v_dual_max_num_f32 v23, v23, v23
	s_delay_alu instid0(VALU_DEP_1) | instskip(NEXT) | instid1(VALU_DEP_1)
	v_dual_max_num_f32 v0, v0, v20 :: v_dual_max_num_f32 v3, v3, v23
	v_dual_max_num_f32 v2, v2, v22 :: v_dual_sub_f32 v13, v13, v0
	v_sub_f32_e32 v20, v50, v0
	v_sub_f32_e32 v14, v14, v1
	s_delay_alu instid0(VALU_DEP_3) | instskip(NEXT) | instid1(VALU_DEP_4)
	v_dual_sub_f32 v18, v18, v3 :: v_dual_sub_f32 v17, v17, v2
	v_dual_mul_f32 v25, 0x3fb8aa3b, v13 :: v_dual_sub_f32 v12, v12, v0
	v_dual_sub_f32 v22, v48, v2 :: v_dual_sub_f32 v23, v47, v3
	v_dual_mul_f32 v26, 0x3fb8aa3b, v20 :: v_dual_mul_f32 v47, 0x3fb8aa3b, v15
	s_delay_alu instid0(VALU_DEP_2) | instskip(NEXT) | instid1(VALU_DEP_4)
	v_dual_mul_f32 v50, 0x3fb8aa3b, v17 :: v_dual_mul_f32 v51, 0x3fb8aa3b, v22
	v_fma_f32 v111, 0x3fb8aa3b, v13, -v25
	v_rndne_f32_e32 v112, v25
	v_dual_mul_f32 v24, 0x3fb8aa3b, v12 :: v_dual_mul_f32 v27, 0x3fb8aa3b, v14
	v_mul_f32_e32 v54, 0x3fb8aa3b, v23
	v_cmp_ngt_f32_e32 vcc_lo, 0xc2ce8ed0, v13
	v_cmp_nlt_f32_e64 s13, 0x42b17218, v13
	v_fma_f32 v113, 0x3fb8aa3b, v20, -v26
	v_rndne_f32_e32 v115, v26
	v_fma_f32 v124, 0x3fb8aa3b, v17, -v50
	v_fmac_f32_e32 v111, 0x32a5705f, v13
	v_dual_sub_f32 v13, v25, v112 :: v_dual_sub_f32 v16, v16, v2
	v_sub_f32_e32 v19, v19, v3
	v_cmp_ngt_f32_e64 s2, 0xc2ce8ed0, v20
	v_cmp_nlt_f32_e64 s14, 0x42b17218, v20
	v_fma_f32 v116, 0x3fb8aa3b, v14, -v27
	v_dual_fmac_f32 v113, 0x32a5705f, v20 :: v_dual_sub_f32 v20, v26, v115
	v_dual_fmac_f32 v124, 0x32a5705f, v17 :: v_dual_add_f32 v13, v13, v111
	v_dual_mul_f32 v52, 0x3fb8aa3b, v18 :: v_dual_mul_f32 v53, 0x3fb8aa3b, v19
	v_dual_mul_f32 v48, 0x3fb8aa3b, v21 :: v_dual_mul_f32 v49, 0x3fb8aa3b, v16
	s_delay_alu instid0(VALU_DEP_3) | instskip(SKIP_1) | instid1(VALU_DEP_3)
	v_exp_f32_e32 v13, v13
	v_rndne_f32_e32 v117, v27
	v_fma_f32 v130, 0x3fb8aa3b, v19, -v53
	v_rndne_f32_e32 v131, v53
	v_cvt_i32_f32_e32 v25, v112
	v_cmp_ngt_f32_e64 s3, 0xc2ce8ed0, v14
	v_cmp_ngt_f32_e64 s10, 0xc2ce8ed0, v19
	v_cmp_nlt_f32_e64 s15, 0x42b17218, v14
	v_cmp_nlt_f32_e64 s22, 0x42b17218, v19
	v_fma_f32 v118, 0x3fb8aa3b, v15, -v47
	v_rndne_f32_e32 v119, v47
	v_fma_f32 v120, 0x3fb8aa3b, v21, -v48
	v_rndne_f32_e32 v121, v48
	v_fma_f32 v122, 0x3fb8aa3b, v16, -v49
	v_rndne_f32_e32 v123, v49
	v_fma_f32 v128, 0x3fb8aa3b, v18, -v52
	v_rndne_f32_e32 v129, v52
	v_fma_f32 v132, 0x3fb8aa3b, v23, -v54
	v_rndne_f32_e32 v133, v54
	v_fmac_f32_e32 v116, 0x32a5705f, v14
	v_sub_f32_e32 v14, v27, v117
	v_ldexp_f32 v13, v13, v25
	v_fmac_f32_e32 v130, 0x32a5705f, v19
	v_sub_f32_e32 v19, v53, v131
	v_cmp_ngt_f32_e64 s6, 0xc2ce8ed0, v16
	v_cmp_ngt_f32_e64 s9, 0xc2ce8ed0, v18
	v_cmp_ngt_f32_e64 s11, 0xc2ce8ed0, v23
	v_cmp_nlt_f32_e64 s18, 0x42b17218, v16
	v_cmp_nlt_f32_e64 s21, 0x42b17218, v18
	v_cmp_nlt_f32_e64 s23, 0x42b17218, v23
	v_rndne_f32_e32 v125, v50
	v_fmac_f32_e32 v118, 0x32a5705f, v15
	v_dual_sub_f32 v15, v47, v119 :: v_dual_fmac_f32 v120, 0x32a5705f, v21
	v_dual_sub_f32 v21, v48, v121 :: v_dual_fmac_f32 v122, 0x32a5705f, v16
	s_wait_alu 0xfffd
	v_dual_sub_f32 v16, v49, v123 :: v_dual_cndmask_b32 v13, 0, v13
	v_dual_fmac_f32 v132, 0x32a5705f, v23 :: v_dual_add_f32 v19, v19, v130
	v_dual_sub_f32 v23, v54, v133 :: v_dual_fmac_f32 v128, 0x32a5705f, v18
	v_dual_sub_f32 v18, v52, v129 :: v_dual_add_f32 v15, v15, v118
	s_delay_alu instid0(VALU_DEP_3) | instskip(NEXT) | instid1(VALU_DEP_2)
	v_exp_f32_e32 v19, v19
	v_add_f32_e32 v23, v23, v132
	v_cvt_i32_f32_e32 v52, v129
	s_delay_alu instid0(VALU_DEP_3)
	v_add_f32_e32 v18, v18, v128
	v_cvt_i32_f32_e32 v53, v131
	v_cvt_i32_f32_e32 v54, v133
	v_exp_f32_e32 v23, v23
	s_wait_alu 0xf1ff
	v_cndmask_b32_e64 v13, 0x7f800000, v13, s13
	v_exp_f32_e32 v18, v18
	v_add_f32_e32 v14, v14, v116
	v_ldexp_f32 v19, v19, v53
	v_fma_f32 v55, 0x3fb8aa3b, v12, -v24
	v_rndne_f32_e32 v110, v24
	v_cvt_i32_f32_e32 v27, v117
	v_exp_f32_e32 v14, v14
	v_cndmask_b32_e64 v19, 0, v19, s10
	v_ldexp_f32 v23, v23, v54
	v_cmp_ngt_f32_e64 s12, 0xc2ce8ed0, v12
	v_ldexp_f32 v18, v18, v52
	v_cmp_nlt_f32_e64 s24, 0x42b17218, v12
	v_cndmask_b32_e64 v19, 0x7f800000, v19, s22
	v_cndmask_b32_e64 v23, 0, v23, s11
	v_dual_fmac_f32 v55, 0x32a5705f, v12 :: v_dual_sub_f32 v12, v24, v110
	v_cndmask_b32_e64 v18, 0, v18, s9
	v_cvt_i32_f32_e32 v24, v110
	s_delay_alu instid0(VALU_DEP_4)
	v_cndmask_b32_e64 v23, 0x7f800000, v23, s23
	v_ldexp_f32 v14, v14, v27
	v_cvt_i32_f32_e32 v26, v115
	v_cndmask_b32_e64 v18, 0x7f800000, v18, s21
	v_fma_f32 v126, 0x3fb8aa3b, v22, -v51
	v_add_f32_e32 v21, v21, v120
	v_exp_f32_e32 v15, v15
	v_cvt_i32_f32_e32 v47, v119
	v_cvt_f16_f32_e32 v27, v18
	v_add_f32_e32 v110, v18, v19
	v_cvt_f16_f32_e32 v18, v19
	v_cvt_f16_f32_e32 v19, v23
	v_add_f32_e32 v20, v20, v113
	v_fmac_f32_e32 v126, 0x32a5705f, v22
	v_exp_f32_e32 v21, v21
	v_cvt_i32_f32_e32 v48, v121
	v_and_b32_e32 v19, 0xffff, v19
	v_exp_f32_e32 v20, v20
	v_ldexp_f32 v15, v15, v47
	v_cndmask_b32_e64 v14, 0, v14, s3
	v_cmp_ngt_f32_e64 s7, 0xc2ce8ed0, v17
	v_cmp_nlt_f32_e64 s19, 0x42b17218, v17
	v_rndne_f32_e32 v127, v51
	v_cndmask_b32_e64 v15, 0, v15, s4
	v_ldexp_f32 v21, v21, v48
	v_sub_f32_e32 v17, v50, v125
	v_cndmask_b32_e64 v14, 0x7f800000, v14, s15
	v_ldexp_f32 v20, v20, v26
	v_cndmask_b32_e64 v15, 0x7f800000, v15, s16
	v_cndmask_b32_e64 v21, 0, v21, s5
	v_cmp_ngt_f32_e64 s8, 0xc2ce8ed0, v22
	v_cmp_nlt_f32_e64 s20, 0x42b17218, v22
	v_cndmask_b32_e64 v20, 0, v20, s2
	v_dual_sub_f32 v22, v51, v127 :: v_dual_add_f32 v17, v17, v124
	v_cndmask_b32_e64 v21, 0x7f800000, v21, s17
	v_cvt_f16_f32_e32 v25, v13
	s_delay_alu instid0(VALU_DEP_4)
	v_cndmask_b32_e64 v20, 0x7f800000, v20, s14
	v_add_f32_e32 v12, v12, v55
	v_add_f32_e32 v112, v14, v15
	v_exp_f32_e32 v17, v17
	v_cvt_i32_f32_e32 v49, v123
	v_cvt_i32_f32_e32 v50, v125
	v_exp_f32_e32 v12, v12
	v_fmac_f32_e32 v112, v45, v21
	v_cvt_i32_f32_e32 v51, v127
	v_cvt_f16_f32_e32 v26, v14
	v_cvt_f16_f32_e32 v14, v15
	v_fmac_f32_e32 v110, v114, v23
	s_delay_alu instid0(TRANS32_DEP_2) | instskip(NEXT) | instid1(VALU_DEP_3)
	v_ldexp_f32 v17, v17, v50
	v_pack_b32_f16 v14, v25, v14
	s_delay_alu instid0(TRANS32_DEP_1) | instskip(SKIP_1) | instid1(VALU_DEP_3)
	v_ldexp_f32 v12, v12, v24
	s_wait_alu 0xf1ff
	v_cndmask_b32_e64 v17, 0, v17, s7
	s_delay_alu instid0(VALU_DEP_2) | instskip(NEXT) | instid1(VALU_DEP_2)
	v_cndmask_b32_e64 v12, 0, v12, s12
	v_cndmask_b32_e64 v17, 0x7f800000, v17, s19
	s_delay_alu instid0(VALU_DEP_2) | instskip(NEXT) | instid1(VALU_DEP_1)
	v_cndmask_b32_e64 v12, 0x7f800000, v12, s24
	v_add_f32_e32 v111, v12, v13
	v_cvt_f16_f32_e32 v13, v21
	v_add_f32_e32 v16, v16, v122
	v_cvt_f16_f32_e32 v24, v12
	v_cvt_f16_f32_e32 v12, v20
	v_fmac_f32_e32 v111, v46, v20
	v_and_b32_e32 v21, 0xffff, v13
	v_exp_f32_e32 v16, v16
	v_mul_u32_u24_e32 v122, 0x10001, v19
	v_and_b32_e32 v20, 0xffff, v12
	v_pack_b32_f16 v12, v24, v26
	v_mul_u32_u24_e32 v184, 0x10001, v21
	s_delay_alu instid0(VALU_DEP_4) | instskip(NEXT) | instid1(VALU_DEP_4)
	v_pk_mul_f16 v186, v34, v122
	v_mul_u32_u24_e32 v183, 0x10001, v20
	v_pk_mul_f16 v188, v33, v122
	v_pk_mul_f16 v189, v28, v122
	s_delay_alu instid0(TRANS32_DEP_1)
	v_ldexp_f32 v16, v16, v49
	v_pk_mul_f16 v36, v36, v184
	v_pk_mul_f16 v43, v43, v183
	;; [unrolled: 1-line block ×4, first 2 shown]
	v_cndmask_b32_e64 v16, 0, v16, s6
	v_pk_mul_f16 v187, v35, v122
	v_pk_mul_f16 v39, v39, v184
	v_pk_mul_f16 v38, v38, v184
	s_delay_alu instid0(VALU_DEP_4) | instskip(NEXT) | instid1(VALU_DEP_1)
	v_cndmask_b32_e64 v16, 0x7f800000, v16, s18
	v_dual_add_f32 v22, v22, v126 :: v_dual_add_f32 v113, v16, v17
	s_delay_alu instid0(VALU_DEP_1) | instskip(SKIP_2) | instid1(VALU_DEP_2)
	v_exp_f32_e32 v22, v22
	v_cvt_f16_f32_e32 v15, v16
	v_cvt_f16_f32_e32 v16, v17
	v_pack_b32_f16 v13, v15, v27
	s_delay_alu instid0(VALU_DEP_2) | instskip(NEXT) | instid1(TRANS32_DEP_1)
	v_pack_b32_f16 v15, v16, v18
	v_ldexp_f32 v22, v22, v51
	ds_store_2addr_b64 v101, v[12:13], v[14:15] offset1:32
	s_wait_dscnt 0x0
	s_barrier_signal -1
	v_cndmask_b32_e64 v22, 0, v22, s8
	s_barrier_wait -1
	global_inv scope:SCOPE_SE
	v_cndmask_b32_e64 v22, 0x7f800000, v22, s20
	s_delay_alu instid0(VALU_DEP_1) | instskip(SKIP_1) | instid1(VALU_DEP_2)
	v_cvt_f16_f32_e32 v17, v22
	v_fmac_f32_e32 v113, v44, v22
	v_and_b32_e32 v17, 0xffff, v17
	s_delay_alu instid0(VALU_DEP_1)
	v_mul_u32_u24_e32 v185, 0x10001, v17
	ds_load_2addr_b64 v[147:150], v80 offset1:32
	ds_load_b128 v[12:15], v96
	ds_load_b128 v[16:19], v96 offset:16
	ds_load_b128 v[20:23], v96 offset:32
	;; [unrolled: 1-line block ×3, first 2 shown]
	ds_load_2addr_b64 v[151:154], v80 offset0:64 offset1:96
	ds_load_2addr_b64 v[155:158], v80 offset0:128 offset1:160
	;; [unrolled: 1-line block ×3, first 2 shown]
	ds_load_2addr_b64 v[163:166], v103 offset1:32
	ds_load_2addr_b64 v[167:170], v103 offset0:64 offset1:96
	ds_load_b128 v[44:47], v96 offset:64
	ds_load_b128 v[48:51], v96 offset:80
	;; [unrolled: 1-line block ×11, first 2 shown]
	s_wait_dscnt 0x13
	v_and_b32_e32 v192, 0xffff, v12
	v_lshrrev_b32_e32 v190, 16, v12
	v_lshrrev_b32_e32 v191, 16, v13
	v_and_b32_e32 v193, 0xffff, v13
	v_lshrrev_b32_e32 v194, 16, v14
	v_and_b32_e32 v196, 0xffff, v14
	s_wait_dscnt 0x12
	v_lshrrev_b32_e32 v199, 16, v17
	v_and_b32_e32 v201, 0xffff, v17
	v_lshrrev_b32_e32 v202, 16, v18
	v_and_b32_e32 v204, 0xffff, v18
	s_wait_dscnt 0x11
	v_lshrrev_b32_e32 v206, 16, v20
	s_wait_dscnt 0x8
	v_lshrrev_b32_e32 v238, 16, v52
	v_and_b32_e32 v240, 0xffff, v52
	v_and_b32_e32 v208, 0xffff, v20
	v_lshrrev_b32_e32 v218, 16, v26
	v_lshrrev_b32_e32 v219, 16, v27
	v_and_b32_e32 v220, 0xffff, v26
	v_and_b32_e32 v221, 0xffff, v27
	v_lshrrev_b32_e32 v223, 16, v45
	s_wait_dscnt 0x0
	v_lshrrev_b32_e32 v52, 16, v179
	v_and_b32_e32 v138, 0xffff, v179
	v_mul_u32_u24_e32 v179, 0x10001, v192
	v_and_b32_e32 v225, 0xffff, v45
	v_lshrrev_b32_e32 v227, 16, v47
	v_and_b32_e32 v229, 0xffff, v47
	v_lshrrev_b32_e32 v230, 16, v48
	;; [unrolled: 2-line block ×3, first 2 shown]
	v_lshrrev_b32_e32 v243, 16, v55
	v_and_b32_e32 v244, 0xffff, v54
	v_and_b32_e32 v146, 0xffff, v55
	v_lshrrev_b32_e32 v27, 16, v116
	v_lshrrev_b32_e32 v13, 16, v117
	v_and_b32_e32 v125, 0xffff, v116
	v_and_b32_e32 v54, 0xffff, v117
	v_lshrrev_b32_e32 v14, 16, v119
	v_and_b32_e32 v55, 0xffff, v119
	v_lshrrev_b32_e32 v17, 16, v131
	;; [unrolled: 2-line block ×9, first 2 shown]
	v_and_b32_e32 v145, 0xffff, v181
	v_mul_u32_u24_e32 v171, 0x10001, v191
	v_pk_mul_f16 v30, v30, v185
	v_pk_mul_f16 v31, v31, v185
	v_mul_u32_u24_e32 v180, 0x10001, v190
	v_mul_u32_u24_e32 v181, 0x10001, v193
	v_pk_fma_f16 v43, v148, v179, v43
	v_pk_fma_f16 v41, v149, v179, v41
	;; [unrolled: 1-line block ×3, first 2 shown]
	v_pk_mul_f16 v179, v147, v179
	v_lshrrev_b32_e32 v195, 16, v15
	v_and_b32_e32 v197, 0xffff, v15
	v_lshrrev_b32_e32 v215, 16, v25
	v_and_b32_e32 v217, 0xffff, v25
	v_lshrrev_b32_e32 v234, 16, v50
	v_lshrrev_b32_e32 v235, 16, v51
	v_and_b32_e32 v236, 0xffff, v50
	v_and_b32_e32 v237, 0xffff, v51
	v_lshrrev_b32_e32 v50, 16, v175
	v_and_b32_e32 v136, 0xffff, v175
	v_lshrrev_b32_e32 v51, 16, v177
	v_lshrrev_b32_e32 v25, 16, v178
	v_and_b32_e32 v137, 0xffff, v177
	v_and_b32_e32 v124, 0xffff, v178
	v_pk_fma_f16 v175, v147, v171, v186
	v_pk_fma_f16 v177, v149, v171, v188
	;; [unrolled: 1-line block ×3, first 2 shown]
	v_pk_mul_f16 v32, v32, v185
	v_pk_fma_f16 v186, v149, v180, v36
	v_pk_mul_f16 v36, v147, v180
	v_pk_fma_f16 v188, v149, v181, v30
	v_pk_fma_f16 v189, v150, v181, v31
	v_pk_mul_f16 v30, v147, v181
	v_pk_fma_f16 v31, v40, v183, v179
	v_mul_u32_u24_e32 v179, 0x10001, v196
	v_lshrrev_b32_e32 v198, 16, v16
	v_and_b32_e32 v200, 0xffff, v16
	v_lshrrev_b32_e32 v207, 16, v21
	v_and_b32_e32 v209, 0xffff, v21
	;; [unrolled: 2-line block ×15, first 2 shown]
	v_pk_fma_f16 v176, v148, v171, v187
	v_pk_fma_f16 v182, v148, v180, v39
	;; [unrolled: 1-line block ×5, first 2 shown]
	v_mul_u32_u24_e32 v32, 0x10001, v195
	v_pk_fma_f16 v181, v29, v185, v30
	v_pk_fma_f16 v184, v153, v179, v41
	;; [unrolled: 1-line block ×3, first 2 shown]
	v_mul_u32_u24_e32 v41, 0x10001, v194
	v_mul_u32_u24_e32 v42, 0x10001, v197
	v_pk_fma_f16 v183, v152, v179, v43
	v_pk_fma_f16 v176, v152, v32, v176
	;; [unrolled: 1-line block ×8, first 2 shown]
	v_mul_u32_u24_e32 v152, 0x10001, v200
	v_mul_u32_u24_e32 v192, 0x10001, v201
	v_and_b32_e32 v205, 0xffff, v19
	v_pk_fma_f16 v186, v153, v41, v186
	v_pk_fma_f16 v187, v154, v41, v187
	;; [unrolled: 1-line block ×7, first 2 shown]
	v_mul_u32_u24_e32 v191, 0x10001, v198
	v_pk_fma_f16 v180, v156, v192, v180
	v_pk_fma_f16 v188, v157, v192, v188
	;; [unrolled: 1-line block ×4, first 2 shown]
	v_mul_u32_u24_e32 v192, 0x10001, v204
	v_pk_fma_f16 v182, v156, v191, v182
	v_pk_fma_f16 v186, v157, v191, v186
	;; [unrolled: 1-line block ×8, first 2 shown]
	v_mul_u32_u24_e32 v192, 0x10001, v202
	v_mul_u32_u24_e32 v196, 0x10001, v205
	v_lshrrev_b32_e32 v203, 16, v19
	v_lshrrev_b32_e32 v210, 16, v22
	;; [unrolled: 1-line block ×3, first 2 shown]
	v_and_b32_e32 v212, 0xffff, v22
	v_and_b32_e32 v213, 0xffff, v23
	v_lshrrev_b32_e32 v231, 16, v49
	v_and_b32_e32 v233, 0xffff, v49
	v_lshrrev_b32_e32 v12, 16, v114
	;; [unrolled: 2-line block ×7, first 2 shown]
	v_lshrrev_b32_e32 v23, 16, v174
	v_and_b32_e32 v135, 0xffff, v173
	v_and_b32_e32 v122, 0xffff, v174
	ds_load_2addr_b64 v[171:174], v103 offset0:128 offset1:160
	v_pk_fma_f16 v175, v151, v32, v175
	v_mul_u32_u24_e32 v151, 0x10001, v199
	v_pk_fma_f16 v197, v160, v192, v182
	v_pk_fma_f16 v186, v161, v192, v186
	;; [unrolled: 1-line block ×5, first 2 shown]
	v_mul_u32_u24_e32 v181, 0x10001, v208
	v_mul_u32_u24_e32 v199, 0x10001, v206
	ds_load_2addr_b64 v[147:150], v103 offset0:192 offset1:224
	v_pk_fma_f16 v177, v153, v32, v177
	v_pk_fma_f16 v178, v154, v32, v178
	;; [unrolled: 1-line block ×9, first 2 shown]
	v_mul_u32_u24_e32 v200, 0x10001, v209
	v_pk_fma_f16 v197, v164, v199, v197
	v_pk_fma_f16 v201, v165, v199, v186
	v_pk_fma_f16 v187, v166, v199, v187
	v_pk_fma_f16 v190, v163, v199, v190
	v_mul_u32_u24_e32 v199, 0x10001, v212
	v_pk_fma_f16 v175, v155, v151, v175
	v_pk_fma_f16 v176, v156, v151, v176
	v_pk_fma_f16 v177, v157, v151, v177
	v_pk_fma_f16 v178, v158, v151, v178
	;; [unrolled: 5-line block ×3, first 2 shown]
	v_pk_fma_f16 v200, v168, v199, v183
	v_pk_fma_f16 v202, v169, v199, v184
	;; [unrolled: 1-line block ×4, first 2 shown]
	v_mul_u32_u24_e32 v199, 0x10001, v210
	v_mul_u32_u24_e32 v204, 0x10001, v213
	ds_load_2addr_b64 v[29:32], v104 offset1:32
	v_pk_fma_f16 v193, v159, v191, v175
	v_pk_fma_f16 v194, v160, v191, v176
	;; [unrolled: 1-line block ×4, first 2 shown]
	v_mul_u32_u24_e32 v180, 0x10001, v207
	v_pk_fma_f16 v197, v168, v199, v197
	v_pk_fma_f16 v201, v169, v199, v201
	;; [unrolled: 1-line block ×8, first 2 shown]
	v_mul_u32_u24_e32 v188, 0x10001, v216
	v_mul_u32_u24_e32 v204, 0x10001, v214
	;; [unrolled: 1-line block ×3, first 2 shown]
	ds_load_2addr_b64 v[40:43], v104 offset0:64 offset1:96
	v_pk_fma_f16 v193, v163, v180, v193
	v_pk_fma_f16 v194, v164, v180, v194
	;; [unrolled: 1-line block ×4, first 2 shown]
	v_mul_u32_u24_e32 v186, 0x10001, v211
	s_wait_dscnt 0x3
	v_pk_fma_f16 v200, v172, v188, v200
	v_pk_fma_f16 v202, v173, v188, v202
	;; [unrolled: 1-line block ×12, first 2 shown]
	v_mul_u32_u24_e32 v208, 0x10001, v220
	ds_load_2addr_b64 v[151:154], v104 offset0:128 offset1:160
	v_pk_fma_f16 v193, v167, v186, v193
	v_pk_fma_f16 v194, v168, v186, v194
	;; [unrolled: 1-line block ×4, first 2 shown]
	v_mul_u32_u24_e32 v187, 0x10001, v215
	s_wait_dscnt 0x3
	v_pk_fma_f16 v200, v148, v208, v200
	v_pk_fma_f16 v202, v149, v208, v202
	;; [unrolled: 1-line block ×4, first 2 shown]
	v_mul_u32_u24_e32 v208, 0x10001, v218
	v_mul_u32_u24_e32 v212, 0x10001, v221
	ds_load_2addr_b64 v[155:158], v104 offset0:192 offset1:224
	v_pk_fma_f16 v193, v171, v187, v193
	v_pk_fma_f16 v194, v172, v187, v194
	;; [unrolled: 1-line block ×4, first 2 shown]
	v_mul_u32_u24_e32 v192, 0x10001, v219
	v_pk_fma_f16 v213, v148, v208, v197
	v_pk_fma_f16 v201, v149, v208, v201
	;; [unrolled: 1-line block ×5, first 2 shown]
	v_mul_u32_u24_e32 v198, 0x10001, v224
	v_mul_u32_u24_e32 v215, 0x10001, v222
	;; [unrolled: 1-line block ×3, first 2 shown]
	ds_load_2addr_b64 v[175:178], v105 offset1:32
	v_pk_fma_f16 v209, v147, v192, v193
	v_pk_fma_f16 v210, v148, v192, v194
	;; [unrolled: 1-line block ×7, first 2 shown]
	v_mul_u32_u24_e32 v197, 0x10001, v223
	s_wait_dscnt 0x4
	v_pk_fma_f16 v200, v30, v198, v200
	v_pk_fma_f16 v202, v31, v198, v202
	;; [unrolled: 1-line block ×9, first 2 shown]
	v_mul_u32_u24_e32 v201, 0x10001, v228
	v_mul_u32_u24_e32 v219, 0x10001, v226
	v_mul_u32_u24_e32 v220, 0x10001, v229
	v_pk_fma_f16 v208, v29, v197, v209
	v_pk_fma_f16 v209, v30, v197, v210
	;; [unrolled: 1-line block ×7, first 2 shown]
	v_mul_u32_u24_e32 v199, 0x10001, v227
	s_wait_dscnt 0x3
	v_pk_fma_f16 v216, v41, v201, v200
	v_pk_fma_f16 v218, v42, v201, v202
	;; [unrolled: 1-line block ×9, first 2 shown]
	v_mul_u32_u24_e32 v205, 0x10001, v232
	v_mul_u32_u24_e32 v223, 0x10001, v230
	;; [unrolled: 1-line block ×3, first 2 shown]
	ds_load_b128 v[36:39], v96 offset:240
	ds_load_2addr_b64 v[159:162], v105 offset0:64 offset1:96
	v_pk_fma_f16 v208, v40, v199, v208
	v_pk_fma_f16 v209, v41, v199, v209
	;; [unrolled: 1-line block ×7, first 2 shown]
	v_mul_u32_u24_e32 v204, 0x10001, v231
	s_wait_dscnt 0x4
	v_pk_fma_f16 v216, v152, v205, v216
	v_pk_fma_f16 v218, v153, v205, v218
	;; [unrolled: 1-line block ×9, first 2 shown]
	v_mul_u32_u24_e32 v223, 0x10001, v236
	v_mul_u32_u24_e32 v228, 0x10001, v237
	v_pk_fma_f16 v208, v151, v204, v208
	v_pk_fma_f16 v209, v152, v204, v209
	;; [unrolled: 1-line block ×7, first 2 shown]
	v_mul_u32_u24_e32 v207, 0x10001, v235
	s_wait_dscnt 0x3
	v_pk_fma_f16 v216, v156, v223, v216
	v_pk_fma_f16 v218, v157, v223, v218
	v_pk_fma_f16 v220, v158, v223, v220
	v_pk_fma_f16 v212, v155, v223, v212
	v_mul_u32_u24_e32 v223, 0x10001, v234
	v_pk_fma_f16 v230, v156, v228, v214
	v_mul_u32_u24_e32 v214, 0x10001, v240
	v_pk_fma_f16 v224, v155, v207, v208
	v_pk_fma_f16 v226, v156, v207, v209
	v_pk_fma_f16 v227, v157, v207, v210
	v_pk_fma_f16 v211, v158, v207, v211
	v_pk_fma_f16 v229, v156, v223, v213
	v_pk_fma_f16 v217, v157, v223, v217
	v_pk_fma_f16 v221, v158, v223, v221
	v_pk_fma_f16 v222, v157, v228, v222
	v_pk_fma_f16 v225, v158, v228, v225
	v_pk_fma_f16 v215, v155, v223, v215
	v_pk_fma_f16 v219, v155, v228, v219
	v_mul_u32_u24_e32 v213, 0x10001, v239
	s_wait_dscnt 0x2
	v_pk_fma_f16 v228, v176, v214, v216
	v_pk_fma_f16 v231, v177, v214, v218
	v_mul_u32_u24_e32 v216, 0x10001, v238
	v_mul_u32_u24_e32 v218, 0x10001, v241
	ds_load_2addr_b64 v[179:182], v105 offset0:128 offset1:160
	ds_load_2addr_b64 v[163:166], v105 offset0:192 offset1:224
	ds_load_2addr_b64 v[183:186], v106 offset1:32
	ds_load_2addr_b64 v[167:170], v106 offset0:64 offset1:96
	ds_load_2addr_b64 v[187:190], v106 offset0:128 offset1:160
	ds_load_2addr_b64 v[171:174], v106 offset0:192 offset1:224
	ds_load_2addr_b64 v[191:194], v107 offset1:32
	ds_load_2addr_b64 v[147:150], v107 offset0:64 offset1:96
	ds_load_2addr_b64 v[195:198], v107 offset0:128 offset1:160
	ds_load_2addr_b64 v[29:32], v107 offset0:192 offset1:224
	ds_load_2addr_b64 v[199:202], v108 offset1:32
	ds_load_2addr_b64 v[40:43], v108 offset0:64 offset1:96
	ds_load_2addr_b64 v[203:206], v108 offset0:128 offset1:160
	ds_load_2addr_b64 v[151:154], v108 offset0:192 offset1:224
	ds_load_2addr_b64 v[207:210], v109 offset1:32
	ds_load_2addr_b64 v[155:158], v109 offset0:64 offset1:96
	v_pk_fma_f16 v223, v175, v213, v224
	v_pk_fma_f16 v224, v176, v213, v226
	;; [unrolled: 1-line block ×6, first 2 shown]
	ds_load_2addr_b64 v[211:214], v109 offset0:128 offset1:160
	v_pk_fma_f16 v229, v176, v216, v229
	v_pk_fma_f16 v233, v177, v216, v217
	;; [unrolled: 1-line block ×8, first 2 shown]
	ds_load_2addr_b64 v[175:178], v109 offset0:192 offset1:224
	s_wait_loadcnt_dscnt 0x0
	s_barrier_signal -1
	s_barrier_wait -1
	global_inv scope:SCOPE_SE
	global_load_b128 v[215:218], v[10:11], off
	v_mul_u32_u24_e32 v10, 0x10001, v243
	v_mul_u32_u24_e32 v235, 0x10001, v242
	v_lshrrev_b32_e32 v236, 16, v38
	v_lshrrev_b32_e32 v237, 16, v39
	v_and_b32_e32 v238, 0xffff, v38
	v_pk_fma_f16 v11, v159, v10, v223
	v_pk_fma_f16 v223, v160, v10, v224
	;; [unrolled: 1-line block ×4, first 2 shown]
	v_lshrrev_b32_e32 v226, 16, v36
	v_mul_u32_u24_e32 v227, 0x10001, v244
	v_pk_fma_f16 v229, v160, v235, v229
	v_pk_fma_f16 v233, v161, v235, v233
	v_pk_fma_f16 v221, v162, v235, v221
	v_pk_fma_f16 v234, v159, v235, v234
	v_and_b32_e32 v235, 0xffff, v36
	v_mul_u32_u24_e32 v36, 0x10001, v146
	v_pk_fma_f16 v228, v160, v227, v228
	v_pk_fma_f16 v231, v161, v227, v231
	;; [unrolled: 1-line block ×4, first 2 shown]
	v_lshrrev_b32_e32 v232, 16, v37
	v_pk_fma_f16 v146, v160, v36, v230
	v_pk_fma_f16 v222, v161, v36, v222
	;; [unrolled: 1-line block ×4, first 2 shown]
	v_and_b32_e32 v230, 0xffff, v37
	v_and_b32_e32 v239, 0xffff, v39
	s_clause 0x2
	global_load_b128 v[36:39], v[6:7], off
	global_load_b128 v[6:9], v[8:9], off
	;; [unrolled: 1-line block ×3, first 2 shown]
	v_mul_u32_u24_e32 v139, 0x10001, v139
	v_mul_u32_u24_e32 v140, 0x10001, v140
	;; [unrolled: 1-line block ×5, first 2 shown]
	v_pk_fma_f16 v11, v179, v139, v11
	v_pk_fma_f16 v228, v180, v140, v228
	;; [unrolled: 1-line block ×8, first 2 shown]
	v_mul_u32_u24_e32 v27, 0x10001, v27
	v_mul_u32_u24_e32 v53, 0x10001, v54
	;; [unrolled: 1-line block ×3, first 2 shown]
	v_pk_fma_f16 v229, v180, v4, v229
	v_pk_fma_f16 v146, v180, v5, v146
	v_pk_fma_f16 v180, v181, v4, v233
	v_pk_fma_f16 v181, v181, v5, v222
	v_pk_fma_f16 v221, v182, v4, v221
	v_pk_fma_f16 v182, v182, v5, v225
	v_pk_fma_f16 v4, v179, v4, v234
	v_pk_fma_f16 v5, v179, v5, v219
	v_mul_u32_u24_e32 v54, 0x10001, v126
	v_mul_u32_u24_e32 v28, 0x10001, v28
	;; [unrolled: 1-line block ×4, first 2 shown]
	v_pk_fma_f16 v11, v163, v13, v11
	v_pk_fma_f16 v179, v164, v12, v228
	v_pk_fma_f16 v219, v164, v27, v229
	v_pk_fma_f16 v146, v164, v53, v146
	v_pk_fma_f16 v164, v164, v13, v223
	v_pk_fma_f16 v222, v165, v12, v231
	v_pk_fma_f16 v180, v165, v27, v180
	v_pk_fma_f16 v181, v165, v53, v181
	v_pk_fma_f16 v165, v165, v13, v224
	v_pk_fma_f16 v220, v166, v12, v220
	v_pk_fma_f16 v221, v166, v27, v221
	v_pk_fma_f16 v182, v166, v53, v182
	v_pk_fma_f16 v10, v166, v13, v10
	v_pk_fma_f16 v12, v163, v12, v139
	v_pk_fma_f16 v4, v163, v27, v4
	v_pk_fma_f16 v5, v163, v53, v5
	v_lshrrev_b32_e32 v34, 16, v128
	v_and_b32_e32 v128, 0xffff, v128
	v_mul_u32_u24_e32 v125, 0x10001, v127
	v_mul_u32_u24_e32 v33, 0x10001, v33
	v_mul_u32_u24_e32 v114, 0x10001, v114
	v_mul_u32_u24_e32 v15, 0x10001, v15
	v_pk_fma_f16 v11, v183, v14, v11
	v_pk_fma_f16 v13, v184, v54, v179
	v_pk_fma_f16 v27, v184, v28, v219
	v_pk_fma_f16 v53, v184, v55, v146
	v_pk_fma_f16 v139, v184, v14, v164
	v_pk_fma_f16 v146, v185, v54, v222
	v_pk_fma_f16 v163, v185, v28, v180
	v_pk_fma_f16 v164, v185, v55, v181
	v_pk_fma_f16 v165, v185, v14, v165
	v_pk_fma_f16 v166, v186, v54, v220
	v_pk_fma_f16 v179, v186, v28, v221
	v_pk_fma_f16 v180, v186, v55, v182
	v_pk_fma_f16 v10, v186, v14, v10
	v_pk_fma_f16 v12, v183, v54, v12
	v_pk_fma_f16 v4, v183, v28, v4
	v_pk_fma_f16 v5, v183, v55, v5
	v_mul_u32_u24_e32 v126, 0x10001, v128
	v_mul_u32_u24_e32 v34, 0x10001, v34
	v_mul_u32_u24_e32 v115, 0x10001, v115
	v_mul_u32_u24_e32 v16, 0x10001, v16
	v_pk_fma_f16 v11, v167, v15, v11
	v_pk_fma_f16 v13, v168, v125, v13
	v_pk_fma_f16 v14, v168, v33, v27
	v_pk_fma_f16 v27, v168, v114, v53
	v_pk_fma_f16 v28, v168, v15, v139
	v_pk_fma_f16 v53, v169, v125, v146
	v_pk_fma_f16 v54, v169, v33, v163
	v_pk_fma_f16 v55, v169, v114, v164
	v_pk_fma_f16 v139, v169, v15, v165
	v_pk_fma_f16 v146, v170, v125, v166
	v_pk_fma_f16 v163, v170, v33, v179
	v_pk_fma_f16 v164, v170, v114, v180
	v_pk_fma_f16 v10, v170, v15, v10
	v_pk_fma_f16 v12, v167, v125, v12
	v_pk_fma_f16 v4, v167, v33, v4
	v_pk_fma_f16 v5, v167, v114, v5
	v_mul_u32_u24_e32 v127, 0x10001, v129
	v_mul_u32_u24_e32 v35, 0x10001, v35
	v_mul_u32_u24_e32 v116, 0x10001, v116
	v_mul_u32_u24_e32 v17, 0x10001, v17
	v_pk_fma_f16 v11, v187, v16, v11
	v_pk_fma_f16 v13, v188, v126, v13
	v_pk_fma_f16 v14, v188, v34, v14
	v_pk_fma_f16 v15, v188, v115, v27
	v_pk_fma_f16 v27, v188, v16, v28
	v_pk_fma_f16 v28, v189, v126, v53
	v_pk_fma_f16 v33, v189, v34, v54
	v_pk_fma_f16 v53, v189, v115, v55
	v_pk_fma_f16 v54, v189, v16, v139
	v_pk_fma_f16 v55, v190, v126, v146
	v_pk_fma_f16 v114, v190, v34, v163
	v_pk_fma_f16 v125, v190, v115, v164
	v_pk_fma_f16 v10, v190, v16, v10
	v_pk_fma_f16 v12, v187, v126, v12
	v_pk_fma_f16 v4, v187, v34, v4
	v_pk_fma_f16 v5, v187, v115, v5
	v_mul_u32_u24_e32 v128, 0x10001, v130
	v_mul_u32_u24_e32 v44, 0x10001, v44
	v_mul_u32_u24_e32 v117, 0x10001, v117
	v_mul_u32_u24_e32 v18, 0x10001, v18
	v_pk_fma_f16 v11, v171, v17, v11
	v_pk_fma_f16 v13, v172, v127, v13
	v_pk_fma_f16 v14, v172, v35, v14
	v_pk_fma_f16 v15, v172, v116, v15
	v_pk_fma_f16 v16, v172, v17, v27
	v_pk_fma_f16 v27, v173, v127, v28
	v_pk_fma_f16 v28, v173, v35, v33
	v_pk_fma_f16 v33, v173, v116, v53
	v_pk_fma_f16 v34, v173, v17, v54
	v_pk_fma_f16 v53, v174, v127, v55
	v_pk_fma_f16 v54, v174, v35, v114
	v_pk_fma_f16 v55, v174, v116, v125
	v_pk_fma_f16 v10, v174, v17, v10
	v_pk_fma_f16 v12, v171, v127, v12
	v_pk_fma_f16 v4, v171, v35, v4
	v_pk_fma_f16 v5, v171, v116, v5
	v_mul_u32_u24_e32 v129, 0x10001, v131
	v_mul_u32_u24_e32 v45, 0x10001, v45
	v_mul_u32_u24_e32 v118, 0x10001, v118
	v_mul_u32_u24_e32 v19, 0x10001, v19
	v_pk_fma_f16 v11, v191, v18, v11
	v_pk_fma_f16 v13, v192, v128, v13
	v_pk_fma_f16 v14, v192, v44, v14
	v_pk_fma_f16 v15, v192, v117, v15
	v_pk_fma_f16 v16, v192, v18, v16
	v_pk_fma_f16 v17, v193, v128, v27
	v_pk_fma_f16 v27, v193, v44, v28
	v_pk_fma_f16 v28, v193, v117, v33
	v_pk_fma_f16 v33, v193, v18, v34
	v_pk_fma_f16 v34, v194, v128, v53
	v_pk_fma_f16 v35, v194, v44, v54
	v_pk_fma_f16 v53, v194, v117, v55
	v_pk_fma_f16 v10, v194, v18, v10
	v_pk_fma_f16 v12, v191, v128, v12
	v_pk_fma_f16 v4, v191, v44, v4
	v_pk_fma_f16 v5, v191, v117, v5
	v_mul_u32_u24_e32 v130, 0x10001, v132
	v_mul_u32_u24_e32 v46, 0x10001, v46
	v_mul_u32_u24_e32 v119, 0x10001, v119
	v_mul_u32_u24_e32 v20, 0x10001, v20
	v_pk_fma_f16 v11, v147, v19, v11
	v_pk_fma_f16 v13, v148, v129, v13
	v_pk_fma_f16 v14, v148, v45, v14
	v_pk_fma_f16 v15, v148, v118, v15
	v_pk_fma_f16 v16, v148, v19, v16
	v_pk_fma_f16 v17, v149, v129, v17
	v_pk_fma_f16 v18, v149, v45, v27
	v_pk_fma_f16 v27, v149, v118, v28
	v_pk_fma_f16 v28, v149, v19, v33
	v_pk_fma_f16 v33, v150, v129, v34
	v_pk_fma_f16 v34, v150, v45, v35
	v_pk_fma_f16 v35, v150, v118, v53
	v_pk_fma_f16 v10, v150, v19, v10
	v_pk_fma_f16 v12, v147, v129, v12
	v_pk_fma_f16 v4, v147, v45, v4
	v_pk_fma_f16 v5, v147, v118, v5
	v_mul_u32_u24_e32 v131, 0x10001, v133
	v_mul_u32_u24_e32 v47, 0x10001, v47
	v_mul_u32_u24_e32 v120, 0x10001, v120
	v_mul_u32_u24_e32 v21, 0x10001, v21
	v_pk_fma_f16 v11, v195, v20, v11
	v_pk_fma_f16 v13, v196, v130, v13
	v_pk_fma_f16 v14, v196, v46, v14
	v_pk_fma_f16 v15, v196, v119, v15
	v_pk_fma_f16 v16, v196, v20, v16
	v_pk_fma_f16 v17, v197, v130, v17
	v_pk_fma_f16 v18, v197, v46, v18
	v_pk_fma_f16 v19, v197, v119, v27
	v_pk_fma_f16 v27, v197, v20, v28
	v_pk_fma_f16 v28, v198, v130, v33
	v_pk_fma_f16 v33, v198, v46, v34
	v_pk_fma_f16 v34, v198, v119, v35
	v_pk_fma_f16 v10, v198, v20, v10
	v_pk_fma_f16 v12, v195, v130, v12
	v_pk_fma_f16 v4, v195, v46, v4
	v_pk_fma_f16 v5, v195, v119, v5
	v_mul_u32_u24_e32 v132, 0x10001, v134
	v_mul_u32_u24_e32 v48, 0x10001, v48
	v_mul_u32_u24_e32 v121, 0x10001, v121
	v_mul_u32_u24_e32 v22, 0x10001, v22
	v_pk_fma_f16 v11, v29, v21, v11
	v_pk_fma_f16 v13, v30, v131, v13
	v_pk_fma_f16 v14, v30, v47, v14
	v_pk_fma_f16 v15, v30, v120, v15
	v_pk_fma_f16 v16, v30, v21, v16
	v_pk_fma_f16 v17, v31, v131, v17
	v_pk_fma_f16 v18, v31, v47, v18
	v_pk_fma_f16 v19, v31, v120, v19
	v_pk_fma_f16 v20, v31, v21, v27
	v_pk_fma_f16 v27, v32, v131, v28
	v_pk_fma_f16 v28, v32, v47, v33
	v_pk_fma_f16 v30, v32, v120, v34
	v_pk_fma_f16 v10, v32, v21, v10
	v_pk_fma_f16 v12, v29, v131, v12
	v_pk_fma_f16 v4, v29, v47, v4
	v_pk_fma_f16 v5, v29, v120, v5
	v_mul_u32_u24_e32 v133, 0x10001, v135
	v_mul_u32_u24_e32 v49, 0x10001, v49
	v_mul_u32_u24_e32 v122, 0x10001, v122
	v_mul_u32_u24_e32 v23, 0x10001, v23
	v_pk_fma_f16 v11, v199, v22, v11
	v_pk_fma_f16 v13, v200, v132, v13
	v_pk_fma_f16 v14, v200, v48, v14
	v_pk_fma_f16 v15, v200, v121, v15
	v_pk_fma_f16 v16, v200, v22, v16
	v_pk_fma_f16 v17, v201, v132, v17
	v_pk_fma_f16 v18, v201, v48, v18
	v_pk_fma_f16 v19, v201, v121, v19
	v_pk_fma_f16 v20, v201, v22, v20
	v_pk_fma_f16 v21, v202, v132, v27
	v_pk_fma_f16 v27, v202, v48, v28
	v_pk_fma_f16 v28, v202, v121, v30
	v_pk_fma_f16 v10, v202, v22, v10
	v_pk_fma_f16 v12, v199, v132, v12
	v_pk_fma_f16 v4, v199, v48, v4
	v_pk_fma_f16 v5, v199, v121, v5
	v_mul_u32_u24_e32 v134, 0x10001, v136
	v_mul_u32_u24_e32 v50, 0x10001, v50
	v_mul_u32_u24_e32 v123, 0x10001, v123
	v_mul_u32_u24_e32 v24, 0x10001, v24
	v_pk_fma_f16 v11, v40, v23, v11
	v_pk_fma_f16 v13, v41, v133, v13
	v_pk_fma_f16 v14, v41, v49, v14
	v_pk_fma_f16 v15, v41, v122, v15
	v_pk_fma_f16 v16, v41, v23, v16
	v_pk_fma_f16 v17, v42, v133, v17
	v_pk_fma_f16 v18, v42, v49, v18
	v_pk_fma_f16 v19, v42, v122, v19
	v_pk_fma_f16 v20, v42, v23, v20
	v_pk_fma_f16 v21, v43, v133, v21
	v_pk_fma_f16 v22, v43, v49, v27
	v_pk_fma_f16 v27, v43, v122, v28
	v_pk_fma_f16 v10, v43, v23, v10
	v_pk_fma_f16 v12, v40, v133, v12
	v_pk_fma_f16 v4, v40, v49, v4
	v_pk_fma_f16 v5, v40, v122, v5
	v_mul_u32_u24_e32 v135, 0x10001, v137
	v_mul_u32_u24_e32 v51, 0x10001, v51
	v_mul_u32_u24_e32 v124, 0x10001, v124
	v_mul_u32_u24_e32 v25, 0x10001, v25
	v_pk_fma_f16 v11, v203, v24, v11
	v_pk_fma_f16 v13, v204, v134, v13
	v_pk_fma_f16 v14, v204, v50, v14
	v_pk_fma_f16 v15, v204, v123, v15
	v_pk_fma_f16 v16, v204, v24, v16
	v_pk_fma_f16 v17, v205, v134, v17
	v_pk_fma_f16 v18, v205, v50, v18
	v_pk_fma_f16 v19, v205, v123, v19
	v_pk_fma_f16 v20, v205, v24, v20
	v_pk_fma_f16 v21, v206, v134, v21
	v_pk_fma_f16 v22, v206, v50, v22
	v_pk_fma_f16 v23, v206, v123, v27
	v_pk_fma_f16 v10, v206, v24, v10
	v_pk_fma_f16 v12, v203, v134, v12
	v_pk_fma_f16 v4, v203, v50, v4
	v_pk_fma_f16 v5, v203, v123, v5
	v_mul_u32_u24_e32 v136, 0x10001, v138
	v_mul_u32_u24_e32 v52, 0x10001, v52
	v_mul_u32_u24_e32 v137, 0x10001, v143
	v_mul_u32_u24_e32 v26, 0x10001, v26
	v_pk_fma_f16 v11, v151, v25, v11
	v_pk_fma_f16 v13, v152, v135, v13
	v_pk_fma_f16 v14, v152, v51, v14
	v_pk_fma_f16 v15, v152, v124, v15
	v_pk_fma_f16 v16, v152, v25, v16
	v_pk_fma_f16 v17, v153, v135, v17
	v_pk_fma_f16 v18, v153, v51, v18
	v_pk_fma_f16 v19, v153, v124, v19
	v_pk_fma_f16 v20, v153, v25, v20
	v_pk_fma_f16 v21, v154, v135, v21
	v_pk_fma_f16 v22, v154, v51, v22
	v_pk_fma_f16 v23, v154, v124, v23
	v_pk_fma_f16 v10, v154, v25, v10
	v_pk_fma_f16 v12, v151, v135, v12
	v_pk_fma_f16 v4, v151, v51, v4
	v_pk_fma_f16 v5, v151, v124, v5
	v_mul_u32_u24_e32 v138, 0x10001, v145
	v_mul_u32_u24_e32 v140, 0x10001, v142
	v_mul_u32_u24_e32 v142, 0x10001, v144
	v_mul_u32_u24_e32 v141, 0x10001, v141
	v_pk_fma_f16 v11, v207, v26, v11
	v_pk_fma_f16 v13, v208, v136, v13
	v_pk_fma_f16 v14, v208, v52, v14
	v_pk_fma_f16 v15, v208, v137, v15
	v_pk_fma_f16 v16, v208, v26, v16
	v_pk_fma_f16 v17, v209, v136, v17
	v_pk_fma_f16 v18, v209, v52, v18
	v_pk_fma_f16 v19, v209, v137, v19
	v_pk_fma_f16 v20, v209, v26, v20
	v_pk_fma_f16 v21, v210, v136, v21
	v_pk_fma_f16 v22, v210, v52, v22
	v_pk_fma_f16 v23, v210, v137, v23
	v_pk_fma_f16 v10, v210, v26, v10
	v_pk_fma_f16 v12, v207, v136, v12
	v_pk_fma_f16 v4, v207, v52, v4
	v_pk_fma_f16 v5, v207, v137, v5
	v_mul_u32_u24_e32 v143, 0x10001, v235
	v_mul_u32_u24_e32 v144, 0x10001, v226
	v_mul_u32_u24_e32 v145, 0x10001, v230
	v_mul_u32_u24_e32 v226, 0x10001, v232
	v_pk_fma_f16 v11, v155, v141, v11
	v_pk_fma_f16 v13, v156, v138, v13
	v_pk_fma_f16 v14, v156, v140, v14
	v_pk_fma_f16 v15, v156, v142, v15
	v_pk_fma_f16 v16, v156, v141, v16
	v_pk_fma_f16 v17, v157, v138, v17
	v_pk_fma_f16 v18, v157, v140, v18
	v_pk_fma_f16 v19, v157, v142, v19
	v_pk_fma_f16 v20, v157, v141, v20
	v_pk_fma_f16 v21, v158, v138, v21
	v_pk_fma_f16 v22, v158, v140, v22
	v_pk_fma_f16 v23, v158, v142, v23
	v_pk_fma_f16 v10, v158, v141, v10
	v_pk_fma_f16 v12, v155, v138, v12
	v_pk_fma_f16 v4, v155, v140, v4
	v_pk_fma_f16 v5, v155, v142, v5
	v_mul_u32_u24_e32 v227, 0x10001, v238
	v_mul_u32_u24_e32 v230, 0x10001, v236
	v_mul_u32_u24_e32 v232, 0x10001, v239
	v_mul_u32_u24_e32 v235, 0x10001, v237
	v_pk_fma_f16 v11, v211, v226, v11
	v_pk_fma_f16 v13, v212, v143, v13
	v_pk_fma_f16 v14, v212, v144, v14
	v_pk_fma_f16 v15, v212, v145, v15
	v_pk_fma_f16 v16, v212, v226, v16
	v_pk_fma_f16 v17, v213, v143, v17
	v_pk_fma_f16 v18, v213, v144, v18
	v_pk_fma_f16 v19, v213, v145, v19
	v_pk_fma_f16 v20, v213, v226, v20
	v_pk_fma_f16 v21, v214, v143, v21
	v_pk_fma_f16 v22, v214, v144, v22
	v_pk_fma_f16 v23, v214, v145, v23
	v_pk_fma_f16 v10, v214, v226, v10
	v_pk_fma_f16 v12, v211, v143, v12
	v_pk_fma_f16 v4, v211, v144, v4
	v_pk_fma_f16 v5, v211, v145, v5
	v_pk_fma_f16 v114, v175, v235, v11
	v_pk_fma_f16 v121, v176, v227, v13
	;; [unrolled: 1-line block ×16, first 2 shown]
	s_wait_loadcnt 0x3
	ds_store_b128 v94, v[215:218]
	s_wait_loadcnt 0x2
	ds_store_b128 v97, v[36:39]
	;; [unrolled: 2-line block ×4, first 2 shown]
	s_wait_dscnt 0x0
	s_barrier_signal -1
	s_barrier_wait -1
	global_inv scope:SCOPE_SE
	ds_load_2addr_b64 v[16:19], v80 offset1:32
	ds_load_b128 v[40:43], v96 offset:256
	ds_load_b128 v[36:39], v96 offset:272
	;; [unrolled: 1-line block ×4, first 2 shown]
	ds_load_2addr_b64 v[24:27], v80 offset0:64 offset1:96
	ds_load_2addr_b64 v[20:23], v80 offset0:128 offset1:160
	;; [unrolled: 1-line block ×3, first 2 shown]
	ds_load_2addr_b64 v[8:11], v103 offset1:32
	ds_load_2addr_b64 v[4:7], v103 offset0:64 offset1:96
	ds_load_b128 v[44:47], v96 offset:320
	ds_load_b128 v[48:51], v96 offset:336
	;; [unrolled: 1-line block ×12, first 2 shown]
	s_wait_dscnt 0x14
	v_lshrrev_b32_e32 v188, 16, v40
	v_lshrrev_b32_e32 v189, 16, v41
	v_and_b32_e32 v190, 0xffff, v40
	v_and_b32_e32 v191, 0xffff, v41
	v_lshrrev_b32_e32 v192, 16, v42
	s_wait_dscnt 0x11
	v_lshrrev_b32_e32 v216, 16, v30
	v_and_b32_e32 v218, 0xffff, v30
	v_mul_u32_u24_e32 v189, 0x10001, v189
	s_wait_dscnt 0xb
	v_lshrrev_b32_e32 v220, 16, v44
	v_and_b32_e32 v222, 0xffff, v44
	v_lshrrev_b32_e32 v193, 16, v43
	s_wait_dscnt 0x8
	v_lshrrev_b32_e32 v30, 16, v131
	v_and_b32_e32 v141, 0xffff, v131
	v_and_b32_e32 v195, 0xffff, v43
	v_lshrrev_b32_e32 v213, 16, v29
	s_wait_dscnt 0x4
	v_lshrrev_b32_e32 v131, 16, v155
	v_and_b32_e32 v167, 0xffff, v155
	v_and_b32_e32 v215, 0xffff, v29
	s_wait_dscnt 0x1
	v_lshrrev_b32_e32 v44, 16, v181
	v_and_b32_e32 v155, 0xffff, v181
	s_wait_dscnt 0x0
	v_lshrrev_b32_e32 v177, 16, v187
	v_and_b32_e32 v181, 0xffff, v187
	v_mul_u32_u24_e32 v187, 0x10001, v188
	v_lshrrev_b32_e32 v217, 16, v31
	v_and_b32_e32 v219, 0xffff, v31
	v_lshrrev_b32_e32 v232, 16, v50
	v_lshrrev_b32_e32 v233, 16, v51
	v_and_b32_e32 v234, 0xffff, v50
	v_and_b32_e32 v235, 0xffff, v51
	v_lshrrev_b32_e32 v29, 16, v55
	v_and_b32_e32 v140, 0xffff, v55
	v_lshrrev_b32_e32 v31, 16, v133
	;; [unrolled: 2-line block ×10, first 2 shown]
	v_and_b32_e32 v180, 0xffff, v186
	v_mul_u32_u24_e32 v186, 0x10001, v190
	v_pk_fma_f16 v190, v18, v187, v125
	v_mul_u32_u24_e32 v191, 0x10001, v191
	v_pk_fma_f16 v237, v17, v189, v115
	v_mul_u32_u24_e32 v115, 0x10001, v192
	v_and_b32_e32 v194, 0xffff, v42
	v_lshrrev_b32_e32 v196, 16, v36
	v_lshrrev_b32_e32 v197, 16, v37
	v_and_b32_e32 v198, 0xffff, v36
	v_and_b32_e32 v199, 0xffff, v37
	v_pk_fma_f16 v122, v17, v187, v122
	v_pk_fma_f16 v123, v16, v191, v123
	v_pk_fma_f16 v236, v17, v191, v116
	v_pk_fma_f16 v118, v18, v191, v118
	v_pk_fma_f16 v120, v19, v191, v120
	v_pk_fma_f16 v191, v16, v189, v114
	v_pk_fma_f16 v238, v18, v189, v117
	v_pk_fma_f16 v119, v19, v189, v119
	v_pk_fma_f16 v189, v26, v115, v190
	v_mul_u32_u24_e32 v190, 0x10001, v195
	v_mul_u32_u24_e32 v192, 0x10001, v193
	v_lshrrev_b32_e32 v200, 16, v38
	v_lshrrev_b32_e32 v201, 16, v39
	v_and_b32_e32 v203, 0xffff, v39
	v_pk_fma_f16 v128, v16, v186, v128
	v_pk_fma_f16 v129, v16, v187, v129
	;; [unrolled: 1-line block ×6, first 2 shown]
	v_mul_u32_u24_e32 v114, 0x10001, v194
	v_pk_fma_f16 v122, v25, v115, v122
	v_pk_fma_f16 v123, v24, v190, v123
	;; [unrolled: 1-line block ×9, first 2 shown]
	v_mul_u32_u24_e32 v118, 0x10001, v198
	v_mul_u32_u24_e32 v119, 0x10001, v196
	;; [unrolled: 1-line block ×4, first 2 shown]
	v_and_b32_e32 v202, 0xffff, v38
	v_lshrrev_b32_e32 v204, 16, v32
	v_lshrrev_b32_e32 v205, 16, v33
	v_and_b32_e32 v206, 0xffff, v32
	v_and_b32_e32 v207, 0xffff, v33
	v_lshrrev_b32_e32 v208, 16, v34
	v_lshrrev_b32_e32 v209, 16, v35
	v_and_b32_e32 v210, 0xffff, v34
	v_and_b32_e32 v211, 0xffff, v35
	v_lshrrev_b32_e32 v212, 16, v28
	v_and_b32_e32 v214, 0xffff, v28
	v_lshrrev_b32_e32 v221, 16, v45
	;; [unrolled: 2-line block ×3, first 2 shown]
	v_lshrrev_b32_e32 v225, 16, v47
	v_and_b32_e32 v226, 0xffff, v46
	v_and_b32_e32 v227, 0xffff, v47
	v_lshrrev_b32_e32 v228, 16, v48
	v_and_b32_e32 v230, 0xffff, v48
	v_lshrrev_b32_e32 v176, 16, v52
	v_lshrrev_b32_e32 v28, 16, v53
	v_and_b32_e32 v179, 0xffff, v52
	v_and_b32_e32 v139, 0xffff, v53
	v_lshrrev_b32_e32 v47, 16, v54
	v_and_b32_e32 v157, 0xffff, v54
	v_lshrrev_b32_e32 v48, 16, v130
	;; [unrolled: 2-line block ×5, first 2 shown]
	v_lshrrev_b32_e32 v34, 16, v146
	v_and_b32_e32 v162, 0xffff, v145
	v_and_b32_e32 v145, 0xffff, v146
	v_lshrrev_b32_e32 v53, 16, v147
	v_lshrrev_b32_e32 v35, 16, v148
	v_and_b32_e32 v163, 0xffff, v147
	v_and_b32_e32 v146, 0xffff, v148
	v_lshrrev_b32_e32 v54, 16, v149
	;; [unrolled: 4-line block ×3, first 2 shown]
	v_and_b32_e32 v148, 0xffff, v152
	v_lshrrev_b32_e32 v130, 16, v153
	v_lshrrev_b32_e32 v38, 16, v154
	v_and_b32_e32 v166, 0xffff, v153
	v_and_b32_e32 v149, 0xffff, v154
	v_lshrrev_b32_e32 v39, 16, v156
	v_and_b32_e32 v150, 0xffff, v156
	v_lshrrev_b32_e32 v41, 16, v171
	;; [unrolled: 2-line block ×4, first 2 shown]
	v_lshrrev_b32_e32 v43, 16, v175
	v_and_b32_e32 v171, 0xffff, v174
	v_and_b32_e32 v154, 0xffff, v175
	v_lshrrev_b32_e32 v137, 16, v182
	v_lshrrev_b32_e32 v45, 16, v183
	v_and_b32_e32 v173, 0xffff, v182
	v_and_b32_e32 v156, 0xffff, v183
	v_lshrrev_b32_e32 v138, 16, v184
	v_lshrrev_b32_e32 v46, 16, v185
	v_and_b32_e32 v174, 0xffff, v184
	v_and_b32_e32 v175, 0xffff, v185
	ds_load_2addr_b64 v[182:185], v103 offset0:128 offset1:160
	v_pk_fma_f16 v128, v24, v114, v128
	v_pk_fma_f16 v129, v24, v115, v129
	;; [unrolled: 1-line block ×15, first 2 shown]
	v_mul_u32_u24_e32 v199, 0x10001, v200
	v_mul_u32_u24_e32 v203, 0x10001, v203
	;; [unrolled: 1-line block ×3, first 2 shown]
	ds_load_2addr_b64 v[124:127], v103 offset0:192 offset1:224
	v_pk_fma_f16 v128, v20, v118, v128
	v_pk_fma_f16 v129, v20, v119, v129
	;; [unrolled: 1-line block ×7, first 2 shown]
	v_mul_u32_u24_e32 v197, 0x10001, v202
	v_pk_fma_f16 v122, v13, v199, v122
	v_pk_fma_f16 v123, v12, v203, v123
	;; [unrolled: 1-line block ×9, first 2 shown]
	v_mul_u32_u24_e32 v191, 0x10001, v204
	v_mul_u32_u24_e32 v204, 0x10001, v207
	;; [unrolled: 1-line block ×3, first 2 shown]
	v_pk_fma_f16 v128, v12, v197, v128
	v_pk_fma_f16 v129, v12, v199, v129
	;; [unrolled: 1-line block ×7, first 2 shown]
	v_mul_u32_u24_e32 v190, 0x10001, v206
	v_pk_fma_f16 v122, v9, v191, v122
	v_pk_fma_f16 v123, v8, v204, v123
	;; [unrolled: 1-line block ×9, first 2 shown]
	v_mul_u32_u24_e32 v194, 0x10001, v210
	v_mul_u32_u24_e32 v195, 0x10001, v208
	;; [unrolled: 1-line block ×4, first 2 shown]
	ds_load_2addr_b64 v[16:19], v104 offset1:32
	v_pk_fma_f16 v128, v8, v190, v128
	v_pk_fma_f16 v129, v8, v191, v129
	;; [unrolled: 1-line block ×16, first 2 shown]
	v_mul_u32_u24_e32 v201, 0x10001, v212
	v_mul_u32_u24_e32 v213, 0x10001, v213
	ds_load_2addr_b64 v[114:117], v104 offset0:64 offset1:96
	v_pk_fma_f16 v128, v4, v194, v128
	v_pk_fma_f16 v129, v4, v195, v129
	v_pk_fma_f16 v205, v5, v194, v196
	v_pk_fma_f16 v200, v6, v194, v200
	v_pk_fma_f16 v202, v6, v195, v202
	v_pk_fma_f16 v208, v7, v194, v197
	v_pk_fma_f16 v199, v7, v195, v199
	v_mul_u32_u24_e32 v198, 0x10001, v214
	s_wait_dscnt 0x3
	v_pk_fma_f16 v122, v183, v201, v122
	v_mul_u32_u24_e32 v215, 0x10001, v215
	v_pk_fma_f16 v236, v182, v213, v204
	v_mul_u32_u24_e32 v204, 0x10001, v216
	ds_load_2addr_b64 v[24:27], v104 offset0:128 offset1:160
	v_pk_fma_f16 v128, v182, v198, v128
	v_pk_fma_f16 v129, v182, v201, v129
	;; [unrolled: 1-line block ×14, first 2 shown]
	v_mul_u32_u24_e32 v203, 0x10001, v218
	s_wait_dscnt 0x3
	v_pk_fma_f16 v216, v125, v204, v122
	v_mul_u32_u24_e32 v122, 0x10001, v219
	v_mul_u32_u24_e32 v217, 0x10001, v217
	ds_load_2addr_b64 v[118:121], v104 offset0:192 offset1:224
	v_pk_fma_f16 v128, v124, v203, v128
	v_pk_fma_f16 v129, v124, v204, v129
	;; [unrolled: 1-line block ×15, first 2 shown]
	v_mul_u32_u24_e32 v126, 0x10001, v222
	v_mul_u32_u24_e32 v127, 0x10001, v220
	;; [unrolled: 1-line block ×4, first 2 shown]
	v_lshrrev_b32_e32 v229, 16, v49
	v_and_b32_e32 v231, 0xffff, v49
	ds_load_2addr_b64 v[20:23], v105 offset1:32
	s_wait_dscnt 0x4
	v_pk_fma_f16 v217, v16, v126, v128
	v_pk_fma_f16 v220, v16, v127, v129
	v_pk_fma_f16 v213, v17, v126, v213
	v_pk_fma_f16 v216, v17, v127, v216
	v_pk_fma_f16 v212, v18, v126, v212
	v_pk_fma_f16 v218, v18, v127, v218
	v_pk_fma_f16 v208, v19, v126, v208
	v_pk_fma_f16 v214, v19, v127, v214
	v_pk_fma_f16 v219, v16, v222, v219
	v_pk_fma_f16 v223, v17, v222, v206
	v_pk_fma_f16 v237, v18, v222, v207
	v_pk_fma_f16 v215, v19, v222, v215
	v_pk_fma_f16 v222, v16, v221, v236
	v_pk_fma_f16 v210, v17, v221, v210
	v_pk_fma_f16 v211, v18, v221, v211
	v_pk_fma_f16 v221, v19, v221, v209
	v_mul_u32_u24_e32 v206, 0x10001, v226
	v_mul_u32_u24_e32 v207, 0x10001, v224
	v_mul_u32_u24_e32 v226, 0x10001, v227
	v_mul_u32_u24_e32 v225, 0x10001, v225
	ds_load_2addr_b64 v[186:189], v105 offset0:64 offset1:96
	s_wait_dscnt 0x4
	v_pk_fma_f16 v217, v114, v206, v217
	v_pk_fma_f16 v220, v114, v207, v220
	v_pk_fma_f16 v213, v115, v206, v213
	v_pk_fma_f16 v216, v115, v207, v216
	v_pk_fma_f16 v212, v116, v206, v212
	v_pk_fma_f16 v218, v116, v207, v218
	v_pk_fma_f16 v224, v117, v206, v208
	v_pk_fma_f16 v214, v117, v207, v214
	v_pk_fma_f16 v219, v114, v226, v219
	v_pk_fma_f16 v223, v115, v226, v223
	v_pk_fma_f16 v227, v116, v226, v237
	v_pk_fma_f16 v215, v117, v226, v215
	v_pk_fma_f16 v222, v114, v225, v222
	v_pk_fma_f16 v226, v115, v225, v210
	v_pk_fma_f16 v236, v116, v225, v211
	v_pk_fma_f16 v221, v117, v225, v221
	v_mul_u32_u24_e32 v210, 0x10001, v230
	v_mul_u32_u24_e32 v211, 0x10001, v228
	v_mul_u32_u24_e32 v230, 0x10001, v231
	v_mul_u32_u24_e32 v229, 0x10001, v229
	ds_load_2addr_b64 v[12:15], v105 offset0:128 offset1:160
	;; [unrolled: 22-line block ×3, first 2 shown]
	s_wait_dscnt 0x4
	v_pk_fma_f16 v232, v118, v215, v217
	v_pk_fma_f16 v220, v118, v229, v220
	;; [unrolled: 1-line block ×16, first 2 shown]
	v_mul_u32_u24_e32 v179, 0x10001, v179
	v_mul_u32_u24_e32 v176, 0x10001, v176
	;; [unrolled: 1-line block ×4, first 2 shown]
	ds_load_2addr_b64 v[8:11], v106 offset1:32
	s_wait_dscnt 0x4
	v_pk_fma_f16 v232, v20, v179, v232
	v_pk_fma_f16 v235, v20, v176, v220
	;; [unrolled: 1-line block ×8, first 2 shown]
	v_mul_u32_u24_e32 v157, 0x10001, v157
	v_mul_u32_u24_e32 v47, 0x10001, v47
	;; [unrolled: 1-line block ×4, first 2 shown]
	v_pk_fma_f16 v224, v20, v139, v236
	v_pk_fma_f16 v20, v20, v28, v222
	;; [unrolled: 1-line block ×8, first 2 shown]
	v_lshrrev_b32_e32 v49, 16, v132
	v_and_b32_e32 v159, 0xffff, v132
	ds_load_2addr_b64 v[194:197], v106 offset0:64 offset1:96
	v_mul_u32_u24_e32 v158, 0x10001, v158
	v_mul_u32_u24_e32 v48, 0x10001, v48
	v_mul_u32_u24_e32 v141, 0x10001, v141
	v_mul_u32_u24_e32 v30, 0x10001, v30
	s_wait_dscnt 0x4
	v_pk_fma_f16 v28, v186, v157, v232
	v_pk_fma_f16 v226, v186, v47, v235
	v_pk_fma_f16 v224, v186, v140, v224
	v_pk_fma_f16 v20, v186, v29, v20
	v_pk_fma_f16 v186, v187, v157, v225
	v_pk_fma_f16 v225, v187, v47, v234
	v_pk_fma_f16 v222, v187, v140, v222
	v_pk_fma_f16 v21, v187, v29, v21
	v_pk_fma_f16 v187, v188, v157, v228
	v_pk_fma_f16 v227, v188, v47, v237
	v_pk_fma_f16 v223, v188, v140, v223
	v_pk_fma_f16 v22, v188, v29, v22
	v_pk_fma_f16 v157, v189, v157, v179
	v_pk_fma_f16 v47, v189, v47, v176
	v_pk_fma_f16 v139, v189, v140, v139
	v_pk_fma_f16 v23, v189, v29, v23
	ds_load_2addr_b64 v[4:7], v106 offset0:128 offset1:160
	v_mul_u32_u24_e32 v159, 0x10001, v159
	v_mul_u32_u24_e32 v49, 0x10001, v49
	v_mul_u32_u24_e32 v142, 0x10001, v142
	v_mul_u32_u24_e32 v31, 0x10001, v31
	s_wait_dscnt 0x4
	v_pk_fma_f16 v28, v12, v158, v28
	v_pk_fma_f16 v29, v12, v48, v226
	v_pk_fma_f16 v140, v12, v141, v224
	v_pk_fma_f16 v12, v12, v30, v20
	v_pk_fma_f16 v20, v13, v158, v186
	v_pk_fma_f16 v176, v13, v48, v225
	v_pk_fma_f16 v179, v13, v141, v222
	v_pk_fma_f16 v13, v13, v30, v21
	v_pk_fma_f16 v21, v14, v158, v187
	v_pk_fma_f16 v186, v14, v48, v227
	v_pk_fma_f16 v187, v14, v141, v223
	v_pk_fma_f16 v14, v14, v30, v22
	v_pk_fma_f16 v22, v15, v158, v157
	v_pk_fma_f16 v47, v15, v48, v47
	v_pk_fma_f16 v48, v15, v141, v139
	v_pk_fma_f16 v15, v15, v30, v23
	;; [unrolled: 22-line block ×3, first 2 shown]
	ds_load_2addr_b64 v[182:185], v107 offset1:32
	v_mul_u32_u24_e32 v161, 0x10001, v161
	v_mul_u32_u24_e32 v51, 0x10001, v51
	v_mul_u32_u24_e32 v144, 0x10001, v144
	v_mul_u32_u24_e32 v33, 0x10001, v33
	s_wait_dscnt 0x4
	v_pk_fma_f16 v23, v8, v160, v23
	v_pk_fma_f16 v28, v8, v50, v28
	v_pk_fma_f16 v29, v8, v143, v29
	v_pk_fma_f16 v8, v8, v32, v12
	v_pk_fma_f16 v12, v9, v160, v20
	v_pk_fma_f16 v20, v9, v50, v30
	v_pk_fma_f16 v30, v9, v143, v139
	v_pk_fma_f16 v9, v9, v32, v13
	v_pk_fma_f16 v13, v10, v160, v21
	v_pk_fma_f16 v21, v10, v50, v140
	v_pk_fma_f16 v31, v10, v143, v141
	v_pk_fma_f16 v10, v10, v32, v14
	v_pk_fma_f16 v14, v11, v160, v22
	v_pk_fma_f16 v22, v11, v50, v47
	v_pk_fma_f16 v47, v11, v143, v48
	v_pk_fma_f16 v11, v11, v32, v15
	ds_load_2addr_b64 v[202:205], v107 offset0:64 offset1:96
	v_mul_u32_u24_e32 v162, 0x10001, v162
	v_mul_u32_u24_e32 v52, 0x10001, v52
	v_mul_u32_u24_e32 v145, 0x10001, v145
	v_mul_u32_u24_e32 v34, 0x10001, v34
	s_wait_dscnt 0x4
	v_pk_fma_f16 v15, v194, v161, v23
	v_pk_fma_f16 v23, v194, v51, v28
	v_pk_fma_f16 v28, v194, v144, v29
	v_pk_fma_f16 v8, v194, v33, v8
	v_pk_fma_f16 v12, v195, v161, v12
	v_pk_fma_f16 v20, v195, v51, v20
	v_pk_fma_f16 v29, v195, v144, v30
	v_pk_fma_f16 v9, v195, v33, v9
	v_pk_fma_f16 v13, v196, v161, v13
	v_pk_fma_f16 v21, v196, v51, v21
	v_pk_fma_f16 v30, v196, v144, v31
	v_pk_fma_f16 v10, v196, v33, v10
	v_pk_fma_f16 v14, v197, v161, v14
	v_pk_fma_f16 v22, v197, v51, v22
	v_pk_fma_f16 v31, v197, v144, v47
	v_pk_fma_f16 v11, v197, v33, v11
	ds_load_2addr_b64 v[122:125], v107 offset0:128 offset1:160
	;; [unrolled: 22-line block ×3, first 2 shown]
	v_mul_u32_u24_e32 v164, 0x10001, v164
	v_mul_u32_u24_e32 v54, 0x10001, v54
	;; [unrolled: 1-line block ×4, first 2 shown]
	s_wait_dscnt 0x4
	v_pk_fma_f16 v11, v198, v163, v15
	v_pk_fma_f16 v15, v198, v53, v23
	;; [unrolled: 1-line block ×16, first 2 shown]
	ds_load_2addr_b64 v[16:19], v108 offset1:32
	v_mul_u32_u24_e32 v165, 0x10001, v165
	v_mul_u32_u24_e32 v55, 0x10001, v55
	;; [unrolled: 1-line block ×4, first 2 shown]
	s_wait_dscnt 0x4
	v_pk_fma_f16 v11, v182, v164, v11
	v_pk_fma_f16 v15, v182, v54, v15
	;; [unrolled: 1-line block ×16, first 2 shown]
	ds_load_2addr_b64 v[206:209], v108 offset0:64 offset1:96
	v_mul_u32_u24_e32 v166, 0x10001, v166
	v_mul_u32_u24_e32 v130, 0x10001, v130
	;; [unrolled: 1-line block ×4, first 2 shown]
	s_wait_dscnt 0x4
	v_pk_fma_f16 v11, v202, v165, v11
	v_pk_fma_f16 v15, v202, v55, v15
	;; [unrolled: 1-line block ×16, first 2 shown]
	v_lshrrev_b32_e32 v132, 16, v168
	v_and_b32_e32 v168, 0xffff, v168
	ds_load_2addr_b64 v[114:117], v108 offset0:128 offset1:160
	v_mul_u32_u24_e32 v167, 0x10001, v167
	v_mul_u32_u24_e32 v131, 0x10001, v131
	;; [unrolled: 1-line block ×4, first 2 shown]
	s_wait_dscnt 0x4
	v_pk_fma_f16 v11, v122, v166, v11
	v_pk_fma_f16 v15, v122, v130, v15
	;; [unrolled: 1-line block ×16, first 2 shown]
	ds_load_2addr_b64 v[210:213], v108 offset0:192 offset1:224
	v_mul_u32_u24_e32 v168, 0x10001, v168
	v_mul_u32_u24_e32 v132, 0x10001, v132
	;; [unrolled: 1-line block ×4, first 2 shown]
	s_wait_dscnt 0x4
	v_pk_fma_f16 v11, v126, v167, v11
	v_pk_fma_f16 v15, v126, v131, v15
	;; [unrolled: 1-line block ×16, first 2 shown]
	ds_load_2addr_b64 v[24:27], v109 offset1:32
	v_mul_u32_u24_e32 v169, 0x10001, v169
	v_mul_u32_u24_e32 v133, 0x10001, v133
	v_mul_u32_u24_e32 v152, 0x10001, v152
	v_mul_u32_u24_e32 v41, 0x10001, v41
	s_wait_dscnt 0x4
	v_pk_fma_f16 v11, v16, v168, v11
	v_pk_fma_f16 v15, v16, v132, v15
	v_pk_fma_f16 v23, v16, v151, v23
	v_pk_fma_f16 v4, v16, v40, v4
	v_pk_fma_f16 v8, v17, v168, v8
	v_pk_fma_f16 v12, v17, v132, v12
	v_pk_fma_f16 v16, v17, v151, v20
	v_pk_fma_f16 v5, v17, v40, v5
	v_pk_fma_f16 v9, v18, v168, v9
	v_pk_fma_f16 v13, v18, v132, v13
	v_pk_fma_f16 v17, v18, v151, v21
	v_pk_fma_f16 v6, v18, v40, v6
	v_pk_fma_f16 v10, v19, v168, v10
	v_pk_fma_f16 v14, v19, v132, v14
	v_pk_fma_f16 v18, v19, v151, v22
	v_pk_fma_f16 v7, v19, v40, v7
	ds_load_2addr_b64 v[214:217], v109 offset0:64 offset1:96
	v_mul_u32_u24_e32 v170, 0x10001, v170
	v_mul_u32_u24_e32 v134, 0x10001, v134
	v_mul_u32_u24_e32 v153, 0x10001, v153
	v_mul_u32_u24_e32 v42, 0x10001, v42
	s_wait_dscnt 0x4
	v_pk_fma_f16 v11, v206, v169, v11
	v_pk_fma_f16 v15, v206, v133, v15
	v_pk_fma_f16 v19, v206, v152, v23
	v_pk_fma_f16 v4, v206, v41, v4
	v_pk_fma_f16 v8, v207, v169, v8
	v_pk_fma_f16 v12, v207, v133, v12
	v_pk_fma_f16 v16, v207, v152, v16
	v_pk_fma_f16 v5, v207, v41, v5
	v_pk_fma_f16 v9, v208, v169, v9
	v_pk_fma_f16 v13, v208, v133, v13
	v_pk_fma_f16 v17, v208, v152, v17
	v_pk_fma_f16 v6, v208, v41, v6
	v_pk_fma_f16 v10, v209, v169, v10
	v_pk_fma_f16 v14, v209, v133, v14
	v_pk_fma_f16 v18, v209, v152, v18
	v_pk_fma_f16 v7, v209, v41, v7
	ds_load_2addr_b64 v[118:121], v109 offset0:128 offset1:160
	;; [unrolled: 22-line block ×3, first 2 shown]
	s_wait_loadcnt_dscnt 0x0
	s_barrier_signal -1
	s_barrier_wait -1
	global_inv scope:SCOPE_SE
	s_load_b32 s2, s[56:57], 0x4
	v_mul_u32_u24_e32 v172, 0x10001, v172
	v_mul_u32_u24_e32 v136, 0x10001, v136
	v_mul_u32_u24_e32 v155, 0x10001, v155
	v_mul_u32_u24_e32 v44, 0x10001, v44
	v_pk_fma_f16 v11, v210, v171, v11
	v_pk_fma_f16 v15, v210, v135, v15
	v_pk_fma_f16 v19, v210, v154, v19
	v_pk_fma_f16 v4, v210, v43, v4
	v_pk_fma_f16 v8, v211, v171, v8
	v_pk_fma_f16 v12, v211, v135, v12
	v_pk_fma_f16 v16, v211, v154, v16
	v_pk_fma_f16 v5, v211, v43, v5
	v_pk_fma_f16 v9, v212, v171, v9
	v_pk_fma_f16 v13, v212, v135, v13
	v_pk_fma_f16 v17, v212, v154, v17
	v_pk_fma_f16 v6, v212, v43, v6
	v_pk_fma_f16 v10, v213, v171, v10
	v_pk_fma_f16 v14, v213, v135, v14
	v_pk_fma_f16 v18, v213, v154, v18
	v_pk_fma_f16 v7, v213, v43, v7
	v_mul_u32_u24_e32 v173, 0x10001, v173
	v_mul_u32_u24_e32 v137, 0x10001, v137
	v_mul_u32_u24_e32 v156, 0x10001, v156
	v_mul_u32_u24_e32 v45, 0x10001, v45
	v_pk_fma_f16 v11, v24, v172, v11
	v_pk_fma_f16 v15, v24, v136, v15
	v_pk_fma_f16 v19, v24, v155, v19
	v_pk_fma_f16 v4, v24, v44, v4
	v_pk_fma_f16 v8, v25, v172, v8
	v_pk_fma_f16 v12, v25, v136, v12
	v_pk_fma_f16 v16, v25, v155, v16
	v_pk_fma_f16 v5, v25, v44, v5
	v_pk_fma_f16 v9, v26, v172, v9
	v_pk_fma_f16 v13, v26, v136, v13
	v_pk_fma_f16 v17, v26, v155, v17
	v_pk_fma_f16 v6, v26, v44, v6
	v_pk_fma_f16 v10, v27, v172, v10
	v_pk_fma_f16 v14, v27, v136, v14
	v_pk_fma_f16 v18, v27, v155, v18
	v_pk_fma_f16 v7, v27, v44, v7
	;; [unrolled: 20-line block ×4, first 2 shown]
	s_wait_kmcnt 0x0
	s_lshl_b32 s2, s2, 6
	v_pk_fma_f16 v40, v218, v180, v11
	v_pk_fma_f16 v37, v218, v178, v15
	;; [unrolled: 1-line block ×16, first 2 shown]
	s_wait_alu 0xfffe
	s_add_co_i32 s36, s2, s36
	s_wait_alu 0xfffe
	s_cmp_ge_i32 s36, s52
	s_cbranch_scc0 .LBB26_9
; %bb.10:
	v_dual_mov_b32 v4, 32 :: v_dual_mov_b32 v5, v81
.LBB26_11:
	s_delay_alu instid0(VALU_DEP_1)
	v_cmp_lt_i32_e32 vcc_lo, v86, v4
	s_cmp_lg_u64 s[44:45], 0
	s_cselect_b32 s2, -1, 0
	s_cmp_eq_u32 s34, 0
	s_wait_alu 0xfffd
	v_cndmask_b32_e32 v6, v5, v86, vcc_lo
	v_cmp_lt_i32_e32 vcc_lo, v85, v4
	s_cselect_b32 s3, -1, 0
	s_wait_alu 0xfffe
	s_and_b32 s2, s3, s2
	v_lshlrev_b32_e32 v6, 2, v6
	ds_bpermute_b32 v9, v6, v113
	s_wait_dscnt 0x0
	v_add_f32_e32 v9, v113, v9
	ds_bpermute_b32 v7, v6, v111
	ds_bpermute_b32 v8, v6, v112
	;; [unrolled: 1-line block ×3, first 2 shown]
	s_wait_dscnt 0x2
	s_wait_alu 0xfffd
	v_dual_add_f32 v7, v111, v7 :: v_dual_cndmask_b32 v10, v5, v85
	v_cmp_lt_i32_e32 vcc_lo, v84, v4
	s_delay_alu instid0(VALU_DEP_2)
	v_lshlrev_b32_e32 v10, 2, v10
	s_wait_alu 0xfffd
	v_cndmask_b32_e32 v14, v5, v84, vcc_lo
	v_cmp_lt_i32_e32 vcc_lo, v83, v4
	ds_bpermute_b32 v13, v10, v9
	s_wait_dscnt 0x0
	v_dual_add_f32 v9, v9, v13 :: v_dual_lshlrev_b32 v14, 2, v14
	ds_bpermute_b32 v11, v10, v7
	s_wait_dscnt 0x0
	v_dual_add_f32 v6, v110, v6 :: v_dual_add_f32 v7, v7, v11
	v_add_f32_e32 v8, v112, v8
	ds_bpermute_b32 v12, v10, v8
	ds_bpermute_b32 v10, v10, v6
	s_wait_dscnt 0x0
	v_add_f32_e32 v6, v6, v10
	ds_bpermute_b32 v10, v14, v7
	ds_bpermute_b32 v13, v14, v6
	s_wait_dscnt 0x0
	v_dual_add_f32 v7, v7, v10 :: v_dual_add_f32 v6, v6, v13
	v_add_f32_e32 v8, v8, v12
	ds_bpermute_b32 v12, v14, v9
	ds_bpermute_b32 v11, v14, v8
	s_wait_alu 0xfffd
	v_cndmask_b32_e32 v14, v5, v83, vcc_lo
	v_cmp_lt_i32_e32 vcc_lo, v82, v4
	s_delay_alu instid0(VALU_DEP_2)
	v_lshlrev_b32_e32 v14, 2, v14
	s_wait_alu 0xfffd
	v_cndmask_b32_e32 v4, v5, v82, vcc_lo
	s_wait_alu 0xfffe
	s_and_b32 vcc_lo, exec_lo, s2
	ds_bpermute_b32 v10, v14, v7
	ds_bpermute_b32 v13, v14, v6
	v_lshlrev_b32_e32 v4, 2, v4
	s_wait_dscnt 0x2
	v_dual_add_f32 v9, v9, v12 :: v_dual_add_f32 v8, v8, v11
	ds_bpermute_b32 v12, v14, v9
	ds_bpermute_b32 v11, v14, v8
	s_wait_dscnt 0x3
	v_add_f32_e32 v5, v7, v10
	s_wait_dscnt 0x0
	v_dual_add_f32 v7, v8, v11 :: v_dual_add_f32 v8, v9, v12
	v_add_f32_e32 v9, v6, v13
	ds_bpermute_b32 v6, v4, v5
	ds_bpermute_b32 v10, v4, v7
	;; [unrolled: 1-line block ×4, first 2 shown]
	s_wait_dscnt 0x3
	v_add_f32_e32 v4, v5, v6
	s_wait_dscnt 0x1
	v_dual_add_f32 v5, v7, v10 :: v_dual_add_f32 v6, v8, v11
	s_wait_dscnt 0x0
	v_add_f32_e32 v7, v9, v12
	s_wait_alu 0xfffe
	s_cbranch_vccz .LBB26_14
; %bb.12:
	s_ashr_i32 s29, s28, 31
	v_dual_mov_b32 v8, 0 :: v_dual_max_num_f32 v9, v1, v1
	s_lshl_b64 s[2:3], s[28:29], 2
	v_max_num_f32_e32 v15, v3, v3
	s_wait_alu 0xfffe
	s_add_nc_u64 s[2:3], s[44:45], s[2:3]
	global_load_b64 v[12:13], v8, s[2:3]
	s_wait_loadcnt 0x0
	v_dual_max_num_f32 v8, v0, v0 :: v_dual_max_num_f32 v11, v13, v13
	v_max_num_f32_e32 v10, v12, v12
	s_delay_alu instid0(VALU_DEP_2) | instskip(NEXT) | instid1(VALU_DEP_2)
	v_dual_max_num_f32 v14, v2, v2 :: v_dual_max_num_f32 v9, v9, v11
	v_dual_max_num_f32 v8, v8, v10 :: v_dual_max_num_f32 v11, v15, v11
	s_delay_alu instid0(VALU_DEP_2) | instskip(NEXT) | instid1(VALU_DEP_3)
	v_max_num_f32_e32 v10, v14, v10
	v_sub_f32_e32 v16, v1, v9
	s_delay_alu instid0(VALU_DEP_3) | instskip(NEXT) | instid1(VALU_DEP_3)
	v_dual_sub_f32 v14, v0, v8 :: v_dual_sub_f32 v17, v13, v9
	v_dual_sub_f32 v15, v12, v8 :: v_dual_sub_f32 v18, v2, v10
	;; [unrolled: 1-line block ×3, first 2 shown]
	v_dual_sub_f32 v19, v3, v11 :: v_dual_mov_b32 v0, v8
	v_mov_b32_e32 v3, v11
	v_dual_mov_b32 v1, v9 :: v_dual_mov_b32 v2, v10
	v_dual_mul_f32 v9, 0x3fb8aa3b, v15 :: v_dual_mul_f32 v8, 0x3fb8aa3b, v14
	v_dual_mul_f32 v11, 0x3fb8aa3b, v17 :: v_dual_mul_f32 v10, 0x3fb8aa3b, v16
	;; [unrolled: 1-line block ×3, first 2 shown]
	v_mul_f32_e32 v21, 0x3fb8aa3b, v12
	s_delay_alu instid0(VALU_DEP_4)
	v_fma_f32 v24, 0x3fb8aa3b, v14, -v8
	v_rndne_f32_e32 v25, v8
	v_fma_f32 v44, 0x3fb8aa3b, v16, -v10
	v_fma_f32 v26, 0x3fb8aa3b, v15, -v9
	;; [unrolled: 1-line block ×3, first 2 shown]
	v_rndne_f32_e32 v51, v21
	v_rndne_f32_e32 v27, v9
	v_fma_f32 v46, 0x3fb8aa3b, v17, -v11
	v_rndne_f32_e32 v47, v11
	v_fmac_f32_e32 v24, 0x32a5705f, v14
	v_sub_f32_e32 v8, v8, v25
	v_dual_fmac_f32 v44, 0x32a5705f, v16 :: v_dual_sub_f32 v21, v21, v51
	v_dual_fmac_f32 v50, 0x32a5705f, v12 :: v_dual_sub_f32 v9, v9, v27
	;; [unrolled: 1-line block ×3, first 2 shown]
	s_delay_alu instid0(VALU_DEP_2) | instskip(SKIP_2) | instid1(VALU_DEP_4)
	v_dual_add_f32 v8, v8, v24 :: v_dual_add_f32 v21, v21, v50
	v_fmac_f32_e32 v26, 0x32a5705f, v15
	v_rndne_f32_e32 v45, v10
	v_dual_add_f32 v11, v11, v46 :: v_dual_mul_f32 v22, 0x3fb8aa3b, v19
	s_delay_alu instid0(VALU_DEP_4) | instskip(NEXT) | instid1(VALU_DEP_3)
	v_exp_f32_e32 v8, v8
	v_add_f32_e32 v9, v9, v26
	v_rndne_f32_e32 v55, v23
	v_cvt_i32_f32_e32 v25, v25
	v_sub_f32_e32 v10, v10, v45
	v_fma_f32 v48, 0x3fb8aa3b, v18, -v20
	v_exp_f32_e32 v9, v9
	v_rndne_f32_e32 v49, v20
	v_fma_f32 v54, 0x3fb8aa3b, v13, -v23
	v_cvt_i32_f32_e32 v27, v27
	v_dual_sub_f32 v23, v23, v55 :: v_dual_add_f32 v10, v10, v44
	v_ldexp_f32 v8, v8, v25
	v_cmp_ngt_f32_e32 vcc_lo, 0xc2ce8ed0, v14
	v_fmac_f32_e32 v54, 0x32a5705f, v13
	v_sub_f32_e32 v20, v20, v49
	v_exp_f32_e32 v10, v10
	v_ldexp_f32 v9, v9, v27
	s_wait_alu 0xfffd
	v_cndmask_b32_e32 v8, 0, v8, vcc_lo
	v_cmp_ngt_f32_e32 vcc_lo, 0xc2ce8ed0, v15
	v_fmac_f32_e32 v48, 0x32a5705f, v18
	v_cvt_i32_f32_e32 v45, v45
	v_add_f32_e32 v23, v23, v54
	v_exp_f32_e32 v11, v11
	s_wait_alu 0xfffd
	v_dual_cndmask_b32 v9, 0, v9 :: v_dual_add_f32 v20, v20, v48
	v_cvt_i32_f32_e32 v47, v47
	v_ldexp_f32 v10, v10, v45
	v_cmp_ngt_f32_e32 vcc_lo, 0xc2ce8ed0, v16
	v_cvt_i32_f32_e32 v49, v49
	v_exp_f32_e32 v20, v20
	v_exp_f32_e32 v21, v21
	v_exp_f32_e32 v23, v23
	v_ldexp_f32 v11, v11, v47
	s_wait_alu 0xfffd
	v_cndmask_b32_e32 v10, 0, v10, vcc_lo
	v_cmp_ngt_f32_e32 vcc_lo, 0xc2ce8ed0, v17
	v_fma_f32 v52, 0x3fb8aa3b, v19, -v22
	v_rndne_f32_e32 v53, v22
	v_cvt_i32_f32_e32 v51, v51
	v_cvt_i32_f32_e32 v26, v55
	v_ldexp_f32 v20, v20, v49
	s_wait_alu 0xfffd
	v_cndmask_b32_e32 v11, 0, v11, vcc_lo
	v_cmp_ngt_f32_e32 vcc_lo, 0xc2ce8ed0, v18
	v_ldexp_f32 v21, v21, v51
	v_ldexp_f32 v23, v23, v26
	v_sub_f32_e32 v22, v22, v53
	v_cvt_i32_f32_e32 v24, v53
	s_wait_alu 0xfffd
	v_cndmask_b32_e32 v20, 0, v20, vcc_lo
	v_cmp_ngt_f32_e32 vcc_lo, 0xc2ce8ed0, v12
	s_wait_alu 0xfffd
	v_dual_fmac_f32 v52, 0x32a5705f, v19 :: v_dual_cndmask_b32 v21, 0, v21
	s_delay_alu instid0(VALU_DEP_1) | instskip(SKIP_1) | instid1(VALU_DEP_2)
	v_add_f32_e32 v22, v22, v52
	v_cmp_ngt_f32_e32 vcc_lo, 0xc2ce8ed0, v19
	v_exp_f32_e32 v22, v22
	s_delay_alu instid0(TRANS32_DEP_1) | instskip(SKIP_1) | instid1(VALU_DEP_1)
	v_ldexp_f32 v22, v22, v24
	s_wait_alu 0xfffd
	v_cndmask_b32_e32 v22, 0, v22, vcc_lo
	v_cmp_ngt_f32_e32 vcc_lo, 0xc2ce8ed0, v13
	s_wait_alu 0xfffd
	v_cndmask_b32_e32 v23, 0, v23, vcc_lo
	v_cmp_nlt_f32_e32 vcc_lo, 0x42b17218, v14
	s_wait_alu 0xfffd
	v_cndmask_b32_e32 v14, 0x7f800000, v8, vcc_lo
	v_cmp_nlt_f32_e32 vcc_lo, 0x42b17218, v15
	;; [unrolled: 3-line block ×3, first 2 shown]
	s_delay_alu instid0(VALU_DEP_2)
	v_fmac_f32_e32 v8, v4, v14
	s_wait_alu 0xfffd
	v_cndmask_b32_e32 v15, 0x7f800000, v10, vcc_lo
	v_cmp_nlt_f32_e32 vcc_lo, 0x42b17218, v17
	v_cvt_f16_f32_e32 v4, v14
	s_wait_alu 0xfffd
	v_cndmask_b32_e32 v9, 0x7f800000, v11, vcc_lo
	v_cmp_nlt_f32_e32 vcc_lo, 0x42b17218, v18
	s_wait_alu 0xfffd
	s_delay_alu instid0(VALU_DEP_2)
	v_dual_fmac_f32 v9, v5, v15 :: v_dual_cndmask_b32 v16, 0x7f800000, v20
	v_cmp_nlt_f32_e32 vcc_lo, 0x42b17218, v12
	v_cvt_f16_f32_e32 v5, v15
	s_wait_alu 0xfffd
	v_cndmask_b32_e32 v10, 0x7f800000, v21, vcc_lo
	v_cmp_nlt_f32_e32 vcc_lo, 0x42b17218, v19
	s_delay_alu instid0(VALU_DEP_2) | instskip(SKIP_4) | instid1(VALU_DEP_3)
	v_fmac_f32_e32 v10, v6, v16
	s_wait_alu 0xfffd
	v_cndmask_b32_e32 v12, 0x7f800000, v22, vcc_lo
	v_cmp_nlt_f32_e32 vcc_lo, 0x42b17218, v13
	v_cvt_f16_f32_e32 v6, v16
	v_cvt_f16_f32_e32 v13, v12
	s_wait_alu 0xfffd
	v_cndmask_b32_e32 v11, 0x7f800000, v23, vcc_lo
	s_delay_alu instid0(VALU_DEP_3) | instskip(NEXT) | instid1(VALU_DEP_3)
	v_and_b32_e32 v14, 0xffff, v6
	v_dual_mov_b32 v6, v10 :: v_dual_and_b32 v13, 0xffff, v13
	s_delay_alu instid0(VALU_DEP_3)
	v_fmac_f32_e32 v11, v7, v12
	v_and_b32_e32 v7, 0xffff, v4
	v_and_b32_e32 v12, 0xffff, v5
	v_mul_u32_u24_e32 v14, 0x10001, v14
	v_mul_u32_u24_e32 v13, 0x10001, v13
	v_mov_b32_e32 v4, v8
	v_mul_u32_u24_e32 v7, 0x10001, v7
	v_mul_u32_u24_e32 v12, 0x10001, v12
	v_mov_b32_e32 v5, v9
	v_pk_mul_f16 v29, v29, v14
	v_pk_mul_f16 v32, v32, v14
	;; [unrolled: 1-line block ×16, first 2 shown]
	v_mov_b32_e32 v7, v11
	s_mov_b32 s2, exec_lo
	v_cmpx_gt_i32_e64 s26, v78
	s_cbranch_execnz .LBB26_15
.LBB26_13:
	s_nop 0
	s_sendmsg sendmsg(MSG_DEALLOC_VGPRS)
	s_endpgm
.LBB26_14:
	s_delay_alu instid0(VALU_DEP_1)
	v_dual_mov_b32 v11, v7 :: v_dual_mov_b32 v10, v6
	v_dual_mov_b32 v9, v5 :: v_dual_mov_b32 v8, v4
	s_mov_b32 s2, exec_lo
	v_cmpx_gt_i32_e64 s26, v78
	s_cbranch_execz .LBB26_13
.LBB26_15:
	s_load_b32 s1, s[0:1], 0xd4
	v_mov_b32_e32 v14, 1.0
	s_wait_kmcnt 0x0
	s_cmp_lg_u32 s1, 1
	s_cselect_b32 s3, -1, 0
	s_cmp_eq_u32 s1, 1
	s_cselect_b32 s4, -1, 0
	s_wait_alu 0xfffe
	s_and_b32 vcc_lo, exec_lo, s3
	s_wait_alu 0xfffe
	s_cbranch_vccnz .LBB26_17
; %bb.16:
	v_div_scale_f32 v12, null, v4, v4, 1.0
	s_delay_alu instid0(VALU_DEP_1) | instskip(NEXT) | instid1(TRANS32_DEP_1)
	v_rcp_f32_e32 v13, v12
	v_fma_f32 v14, -v12, v13, 1.0
	s_delay_alu instid0(VALU_DEP_1) | instskip(SKIP_1) | instid1(VALU_DEP_1)
	v_fmac_f32_e32 v13, v14, v13
	v_div_scale_f32 v14, vcc_lo, 1.0, v4, 1.0
	v_mul_f32_e32 v15, v14, v13
	s_delay_alu instid0(VALU_DEP_1) | instskip(NEXT) | instid1(VALU_DEP_1)
	v_fma_f32 v16, -v12, v15, v14
	v_fmac_f32_e32 v15, v16, v13
	s_delay_alu instid0(VALU_DEP_1) | instskip(SKIP_1) | instid1(VALU_DEP_1)
	v_fma_f32 v12, -v12, v15, v14
	s_wait_alu 0xfffd
	v_div_fmas_f32 v12, v12, v13, v15
	s_delay_alu instid0(VALU_DEP_1)
	v_div_fixup_f32 v14, v12, v4, 1.0
.LBB26_17:
	s_mul_i32 s2, s30, s26
	v_cvt_f32_f16_e32 v16, v43
	s_wait_alu 0xfffe
	s_add_co_i32 s2, s2, s33
	v_lshrrev_b32_e32 v15, 16, v43
	s_wait_alu 0xfffe
	v_add_nc_u32_e32 v4, s2, v77
	v_cvt_f32_f16_e32 v19, v40
	v_mul_f32_e32 v17, v14, v16
	v_lshrrev_b32_e32 v18, 16, v40
	v_cvt_f32_f16_e32 v27, v15
	v_mul_lo_u32 v4, v4, s27
	v_lshrrev_b32_e32 v20, 16, v42
	v_lshrrev_b32_e32 v22, 16, v41
	v_cvt_f32_f16_e32 v25, v41
	v_cvt_f32_f16_e32 v16, v18
	v_mul_f32_e32 v18, v14, v27
	v_cvt_f32_f16_e32 v20, v20
	v_cmp_eq_u32_e32 vcc_lo, 0, v79
	v_dual_mul_f32 v15, v14, v19 :: v_dual_add_nc_u32 v12, s28, v4
	v_mul_f32_e32 v19, v14, v25
	v_mul_f32_e32 v16, v14, v16
	s_and_b32 s3, vcc_lo, s3
	s_delay_alu instid0(VALU_DEP_3) | instskip(SKIP_1) | instid1(VALU_DEP_1)
	v_mad_co_u64_u32 v[12:13], null, s1, v12, s[34:35]
	v_cvt_f32_f16_e32 v13, v42
	v_dual_mov_b32 v24, 0 :: v_dual_mul_f32 v21, v14, v13
	s_delay_alu instid0(VALU_DEP_3) | instskip(SKIP_2) | instid1(VALU_DEP_3)
	v_lshl_add_u32 v23, v12, 8, v76
	v_cvt_f32_f16_e32 v13, v22
	v_mul_f32_e32 v22, v14, v20
	v_lshlrev_b64_e32 v[25:26], 2, v[23:24]
	s_delay_alu instid0(VALU_DEP_3) | instskip(NEXT) | instid1(VALU_DEP_1)
	v_dual_mul_f32 v20, v14, v13 :: v_dual_add_nc_u32 v23, 0x80, v23
	v_lshlrev_b64_e32 v[13:14], 2, v[23:24]
	s_delay_alu instid0(VALU_DEP_3) | instskip(SKIP_1) | instid1(VALU_DEP_4)
	v_add_co_u32 v23, s0, s48, v25
	s_wait_alu 0xf1ff
	v_add_co_ci_u32_e64 v24, null, s49, v26, s0
	s_delay_alu instid0(VALU_DEP_3)
	v_add_co_u32 v13, s0, s48, v13
	s_wait_alu 0xf1ff
	v_add_co_ci_u32_e64 v14, null, s49, v14, s0
	s_clause 0x1
	global_store_b128 v[23:24], v[15:18], off
	global_store_b128 v[13:14], v[19:22], off
	s_wait_alu 0xfffe
	s_and_saveexec_b32 s0, s3
	s_cbranch_execz .LBB26_19
; %bb.18:
	v_ashrrev_i32_e32 v13, 31, v12
	v_dual_mov_b32 v14, v0 :: v_dual_mov_b32 v15, v8
	s_delay_alu instid0(VALU_DEP_2) | instskip(NEXT) | instid1(VALU_DEP_1)
	v_lshlrev_b64_e32 v[12:13], 3, v[12:13]
	v_add_co_u32 v12, vcc_lo, s50, v12
	s_wait_alu 0xfffd
	s_delay_alu instid0(VALU_DEP_2)
	v_add_co_ci_u32_e64 v13, null, s51, v13, vcc_lo
	global_store_b64 v[12:13], v[14:15], off
.LBB26_19:
	s_wait_alu 0xfffe
	s_or_b32 exec_lo, exec_lo, s0
	v_cndmask_b32_e64 v12, 0, 1, s4
	v_mov_b32_e32 v0, 1.0
	s_and_not1_b32 vcc_lo, exec_lo, s4
	s_wait_alu 0xfffe
	s_cbranch_vccnz .LBB26_21
; %bb.20:
	v_div_scale_f32 v0, null, v5, v5, 1.0
	s_delay_alu instid0(VALU_DEP_1) | instskip(NEXT) | instid1(TRANS32_DEP_1)
	v_rcp_f32_e32 v8, v0
	v_fma_f32 v13, -v0, v8, 1.0
	s_delay_alu instid0(VALU_DEP_1) | instskip(SKIP_1) | instid1(VALU_DEP_1)
	v_fmac_f32_e32 v8, v13, v8
	v_div_scale_f32 v13, vcc_lo, 1.0, v5, 1.0
	v_mul_f32_e32 v14, v13, v8
	s_delay_alu instid0(VALU_DEP_1) | instskip(NEXT) | instid1(VALU_DEP_1)
	v_fma_f32 v15, -v0, v14, v13
	v_fmac_f32_e32 v14, v15, v8
	s_delay_alu instid0(VALU_DEP_1) | instskip(SKIP_1) | instid1(VALU_DEP_1)
	v_fma_f32 v0, -v0, v14, v13
	s_wait_alu 0xfffd
	v_div_fmas_f32 v0, v0, v8, v14
	s_delay_alu instid0(VALU_DEP_1)
	v_div_fixup_f32 v0, v0, v5, 1.0
.LBB26_21:
	s_add_co_i32 s0, s28, 1
	v_cvt_f32_f16_e32 v13, v39
	s_wait_alu 0xfffe
	v_add_nc_u32_e32 v4, s0, v4
	v_lshrrev_b32_e32 v8, 16, v39
	v_cvt_f32_f16_e32 v14, v37
	v_dual_mov_b32 v18, 0 :: v_dual_mul_f32 v15, v0, v13
	s_delay_alu instid0(VALU_DEP_4)
	v_mad_co_u64_u32 v[4:5], null, s1, v4, s[34:35]
	v_lshrrev_b32_e32 v16, 16, v38
	v_cvt_f32_f16_e32 v8, v8
	v_lshrrev_b32_e32 v5, 16, v37
	v_mul_f32_e32 v13, v0, v14
	v_lshrrev_b32_e32 v21, 16, v36
	v_cvt_f32_f16_e32 v26, v16
	v_lshl_add_u32 v17, v4, 8, v76
	v_mul_f32_e32 v16, v0, v8
	v_cvt_f32_f16_e32 v5, v5
	v_cvt_f32_f16_e32 v25, v38
	;; [unrolled: 1-line block ×3, first 2 shown]
	v_lshlrev_b64_e32 v[19:20], 2, v[17:18]
	v_add_nc_u32_e32 v17, 0x80, v17
	v_mul_f32_e32 v14, v0, v5
	v_cvt_f32_f16_e32 v5, v36
	s_delay_alu instid0(VALU_DEP_3) | instskip(SKIP_4) | instid1(VALU_DEP_4)
	v_lshlrev_b64_e32 v[23:24], 2, v[17:18]
	v_add_co_u32 v21, vcc_lo, s48, v19
	s_wait_alu 0xfffd
	v_add_co_ci_u32_e64 v22, null, s49, v20, vcc_lo
	v_mul_f32_e32 v20, v0, v26
	v_add_co_u32 v23, vcc_lo, s48, v23
	v_mul_f32_e32 v19, v0, v25
	v_mul_f32_e32 v18, v0, v27
	;; [unrolled: 1-line block ×3, first 2 shown]
	s_wait_alu 0xfffd
	v_add_co_ci_u32_e64 v24, null, s49, v24, vcc_lo
	s_clause 0x1
	global_store_b128 v[21:22], v[13:16], off
	global_store_b128 v[23:24], v[17:20], off
	s_and_saveexec_b32 s4, s3
	s_cbranch_execz .LBB26_23
; %bb.22:
	v_ashrrev_i32_e32 v5, 31, v4
	v_mov_b32_e32 v8, v1
	s_delay_alu instid0(VALU_DEP_2) | instskip(NEXT) | instid1(VALU_DEP_1)
	v_lshlrev_b64_e32 v[4:5], 3, v[4:5]
	v_add_co_u32 v4, vcc_lo, s50, v4
	s_wait_alu 0xfffd
	s_delay_alu instid0(VALU_DEP_2)
	v_add_co_ci_u32_e64 v5, null, s51, v5, vcc_lo
	global_store_b64 v[4:5], v[8:9], off
.LBB26_23:
	s_wait_alu 0xfffe
	s_or_b32 exec_lo, exec_lo, s4
	v_cmp_gt_i32_e32 vcc_lo, s26, v75
	s_and_b32 exec_lo, exec_lo, vcc_lo
	s_cbranch_execz .LBB26_13
; %bb.24:
	v_cmp_ne_u32_e32 vcc_lo, 1, v12
	v_mov_b32_e32 v4, 1.0
	s_cbranch_vccnz .LBB26_26
; %bb.25:
	v_div_scale_f32 v0, null, v6, v6, 1.0
	s_delay_alu instid0(VALU_DEP_1) | instskip(NEXT) | instid1(TRANS32_DEP_1)
	v_rcp_f32_e32 v1, v0
	v_fma_f32 v4, -v0, v1, 1.0
	s_delay_alu instid0(VALU_DEP_1) | instskip(SKIP_1) | instid1(VALU_DEP_1)
	v_fmac_f32_e32 v1, v4, v1
	v_div_scale_f32 v4, vcc_lo, 1.0, v6, 1.0
	v_mul_f32_e32 v5, v4, v1
	s_delay_alu instid0(VALU_DEP_1) | instskip(NEXT) | instid1(VALU_DEP_1)
	v_fma_f32 v8, -v0, v5, v4
	v_fmac_f32_e32 v5, v8, v1
	s_delay_alu instid0(VALU_DEP_1) | instskip(SKIP_1) | instid1(VALU_DEP_1)
	v_fma_f32 v0, -v0, v5, v4
	s_wait_alu 0xfffd
	v_div_fmas_f32 v0, v0, v1, v5
	s_delay_alu instid0(VALU_DEP_1)
	v_div_fixup_f32 v4, v0, v6, 1.0
.LBB26_26:
	v_cvt_f32_f16_e32 v8, v32
	v_add_nc_u32_e32 v0, s2, v74
	v_lshrrev_b32_e32 v5, 16, v32
	v_lshrrev_b32_e32 v9, 16, v29
	v_cvt_f32_f16_e32 v13, v29
	v_mul_f32_e32 v15, v4, v8
	v_mad_co_u64_u32 v[0:1], null, v0, s27, s[28:29]
	s_delay_alu instid0(VALU_DEP_3)
	v_dual_mov_b32 v6, 0 :: v_dual_mul_f32 v13, v4, v13
	v_lshrrev_b32_e32 v14, 16, v31
	v_lshrrev_b32_e32 v16, 16, v30
	v_cvt_f32_f16_e32 v18, v5
	v_cvt_f32_f16_e32 v17, v30
	v_mad_co_u64_u32 v[0:1], null, s1, v0, s[34:35]
	v_cvt_f32_f16_e32 v1, v31
	v_cvt_f32_f16_e32 v20, v9
	;; [unrolled: 1-line block ×3, first 2 shown]
	v_mul_f32_e32 v17, v4, v17
	s_delay_alu instid0(VALU_DEP_4)
	v_mul_f32_e32 v19, v4, v1
	v_lshl_add_u32 v5, v0, 8, v76
	v_cvt_f32_f16_e32 v1, v16
	v_mul_f32_e32 v14, v4, v20
	v_mul_f32_e32 v20, v4, v21
	;; [unrolled: 1-line block ×3, first 2 shown]
	v_lshlrev_b64_e32 v[8:9], 2, v[5:6]
	v_add_nc_u32_e32 v5, 0x80, v5
	v_mul_f32_e32 v18, v4, v1
	s_delay_alu instid0(VALU_DEP_2) | instskip(NEXT) | instid1(VALU_DEP_4)
	v_lshlrev_b64_e32 v[4:5], 2, v[5:6]
	v_add_co_u32 v8, vcc_lo, s48, v8
	s_wait_alu 0xfffd
	v_add_co_ci_u32_e64 v9, null, s49, v9, vcc_lo
	s_delay_alu instid0(VALU_DEP_3)
	v_add_co_u32 v4, vcc_lo, s48, v4
	s_wait_alu 0xfffd
	v_add_co_ci_u32_e64 v5, null, s49, v5, vcc_lo
	s_clause 0x1
	global_store_b128 v[8:9], v[13:16], off
	global_store_b128 v[4:5], v[17:20], off
	s_and_saveexec_b32 s4, s3
	s_cbranch_execz .LBB26_28
; %bb.27:
	v_ashrrev_i32_e32 v1, 31, v0
	v_mov_b32_e32 v9, v2
	s_delay_alu instid0(VALU_DEP_2) | instskip(NEXT) | instid1(VALU_DEP_1)
	v_lshlrev_b64_e32 v[0:1], 3, v[0:1]
	v_add_co_u32 v0, vcc_lo, s50, v0
	s_wait_alu 0xfffd
	s_delay_alu instid0(VALU_DEP_2)
	v_add_co_ci_u32_e64 v1, null, s51, v1, vcc_lo
	global_store_b64 v[0:1], v[9:10], off
.LBB26_28:
	s_wait_alu 0xfffe
	s_or_b32 exec_lo, exec_lo, s4
	v_cmp_gt_i32_e32 vcc_lo, s26, v73
	s_and_b32 exec_lo, exec_lo, vcc_lo
	s_cbranch_execz .LBB26_13
; %bb.29:
	v_cmp_ne_u32_e32 vcc_lo, 1, v12
	v_mov_b32_e32 v2, 1.0
	s_cbranch_vccnz .LBB26_31
; %bb.30:
	v_div_scale_f32 v0, null, v7, v7, 1.0
	s_delay_alu instid0(VALU_DEP_1) | instskip(NEXT) | instid1(TRANS32_DEP_1)
	v_rcp_f32_e32 v1, v0
	v_fma_f32 v2, -v0, v1, 1.0
	s_delay_alu instid0(VALU_DEP_1) | instskip(SKIP_1) | instid1(VALU_DEP_1)
	v_fmac_f32_e32 v1, v2, v1
	v_div_scale_f32 v2, vcc_lo, 1.0, v7, 1.0
	v_mul_f32_e32 v4, v2, v1
	s_delay_alu instid0(VALU_DEP_1) | instskip(NEXT) | instid1(VALU_DEP_1)
	v_fma_f32 v5, -v0, v4, v2
	v_fmac_f32_e32 v4, v5, v1
	s_delay_alu instid0(VALU_DEP_1) | instskip(SKIP_1) | instid1(VALU_DEP_1)
	v_fma_f32 v0, -v0, v4, v2
	s_wait_alu 0xfffd
	v_div_fmas_f32 v0, v0, v1, v4
	s_delay_alu instid0(VALU_DEP_1)
	v_div_fixup_f32 v2, v0, v7, 1.0
.LBB26_31:
	v_dual_mov_b32 v9, 0 :: v_dual_add_nc_u32 v0, s2, v72
	v_lshrrev_b32_e32 v4, 16, v35
	v_cvt_f32_f16_e32 v8, v34
	v_cvt_f32_f16_e32 v5, v35
	s_delay_alu instid0(VALU_DEP_4)
	v_mad_co_u64_u32 v[0:1], null, v0, s27, s[0:1]
	v_lshrrev_b32_e32 v7, 16, v34
	v_lshrrev_b32_e32 v10, 16, v28
	;; [unrolled: 1-line block ×3, first 2 shown]
	v_cvt_f32_f16_e32 v15, v4
	v_mul_f32_e32 v4, v2, v8
	v_cvt_f32_f16_e32 v13, v33
	v_mad_co_u64_u32 v[0:1], null, s1, v0, s[34:35]
	v_cvt_f32_f16_e32 v1, v28
	v_mul_f32_e32 v6, v2, v5
	v_cvt_f32_f16_e32 v5, v7
	v_cvt_f32_f16_e32 v10, v10
	v_mul_f32_e32 v7, v2, v15
	v_mul_f32_e32 v14, v2, v1
	v_lshl_add_u32 v8, v0, 8, v76
	v_cvt_f32_f16_e32 v1, v12
	v_mul_f32_e32 v12, v2, v13
	v_mul_f32_e32 v5, v2, v5
	;; [unrolled: 1-line block ×3, first 2 shown]
	v_lshlrev_b64_e32 v[16:17], 2, v[8:9]
	v_dual_mul_f32 v13, v2, v1 :: v_dual_add_nc_u32 v8, 0x80, v8
	s_delay_alu instid0(VALU_DEP_1) | instskip(NEXT) | instid1(VALU_DEP_3)
	v_lshlrev_b64_e32 v[1:2], 2, v[8:9]
	v_add_co_u32 v8, vcc_lo, s48, v16
	s_wait_alu 0xfffd
	s_delay_alu instid0(VALU_DEP_4) | instskip(NEXT) | instid1(VALU_DEP_3)
	v_add_co_ci_u32_e64 v9, null, s49, v17, vcc_lo
	v_add_co_u32 v1, vcc_lo, s48, v1
	s_wait_alu 0xfffd
	v_add_co_ci_u32_e64 v2, null, s49, v2, vcc_lo
	s_clause 0x1
	global_store_b128 v[8:9], v[4:7], off
	global_store_b128 v[1:2], v[12:15], off
	s_and_b32 exec_lo, exec_lo, s3
	s_cbranch_execz .LBB26_13
; %bb.32:
	v_ashrrev_i32_e32 v1, 31, v0
	v_mov_b32_e32 v10, v3
	s_delay_alu instid0(VALU_DEP_2) | instskip(NEXT) | instid1(VALU_DEP_1)
	v_lshlrev_b64_e32 v[0:1], 3, v[0:1]
	v_add_co_u32 v0, vcc_lo, s50, v0
	s_wait_alu 0xfffd
	s_delay_alu instid0(VALU_DEP_2)
	v_add_co_ci_u32_e64 v1, null, s51, v1, vcc_lo
	global_store_b64 v[0:1], v[10:11], off
	s_nop 0
	s_sendmsg sendmsg(MSG_DEALLOC_VGPRS)
	s_endpgm
	.section	.rodata,"a",@progbits
	.p2align	6, 0x0
	.amdhsa_kernel _ZL15flash_attn_tileILi256ELi256ELi16ELi2ELb0EEvPKcS1_S1_S1_S1_PKiPfP15HIP_vector_typeIfLj2EEffffjfiS5_IjLj3EEiiiiiiiiiiiliiliiiiil
		.amdhsa_group_segment_fixed_size 37888
		.amdhsa_private_segment_fixed_size 0
		.amdhsa_kernarg_size 464
		.amdhsa_user_sgpr_count 2
		.amdhsa_user_sgpr_dispatch_ptr 0
		.amdhsa_user_sgpr_queue_ptr 0
		.amdhsa_user_sgpr_kernarg_segment_ptr 1
		.amdhsa_user_sgpr_dispatch_id 0
		.amdhsa_user_sgpr_private_segment_size 0
		.amdhsa_wavefront_size32 1
		.amdhsa_uses_dynamic_stack 0
		.amdhsa_enable_private_segment 0
		.amdhsa_system_sgpr_workgroup_id_x 1
		.amdhsa_system_sgpr_workgroup_id_y 1
		.amdhsa_system_sgpr_workgroup_id_z 1
		.amdhsa_system_sgpr_workgroup_info 0
		.amdhsa_system_vgpr_workitem_id 1
		.amdhsa_next_free_vgpr 245
		.amdhsa_next_free_sgpr 58
		.amdhsa_reserve_vcc 1
		.amdhsa_float_round_mode_32 0
		.amdhsa_float_round_mode_16_64 0
		.amdhsa_float_denorm_mode_32 3
		.amdhsa_float_denorm_mode_16_64 3
		.amdhsa_fp16_overflow 0
		.amdhsa_workgroup_processor_mode 1
		.amdhsa_memory_ordered 1
		.amdhsa_forward_progress 1
		.amdhsa_inst_pref_size 193
		.amdhsa_round_robin_scheduling 0
		.amdhsa_exception_fp_ieee_invalid_op 0
		.amdhsa_exception_fp_denorm_src 0
		.amdhsa_exception_fp_ieee_div_zero 0
		.amdhsa_exception_fp_ieee_overflow 0
		.amdhsa_exception_fp_ieee_underflow 0
		.amdhsa_exception_fp_ieee_inexact 0
		.amdhsa_exception_int_div_zero 0
	.end_amdhsa_kernel
	.section	.text._ZL15flash_attn_tileILi256ELi256ELi16ELi2ELb0EEvPKcS1_S1_S1_S1_PKiPfP15HIP_vector_typeIfLj2EEffffjfiS5_IjLj3EEiiiiiiiiiiiliiliiiiil,"axG",@progbits,_ZL15flash_attn_tileILi256ELi256ELi16ELi2ELb0EEvPKcS1_S1_S1_S1_PKiPfP15HIP_vector_typeIfLj2EEffffjfiS5_IjLj3EEiiiiiiiiiiiliiliiiiil,comdat
.Lfunc_end26:
	.size	_ZL15flash_attn_tileILi256ELi256ELi16ELi2ELb0EEvPKcS1_S1_S1_S1_PKiPfP15HIP_vector_typeIfLj2EEffffjfiS5_IjLj3EEiiiiiiiiiiiliiliiiiil, .Lfunc_end26-_ZL15flash_attn_tileILi256ELi256ELi16ELi2ELb0EEvPKcS1_S1_S1_S1_PKiPfP15HIP_vector_typeIfLj2EEffffjfiS5_IjLj3EEiiiiiiiiiiiliiliiiiil
                                        ; -- End function
	.set _ZL15flash_attn_tileILi256ELi256ELi16ELi2ELb0EEvPKcS1_S1_S1_S1_PKiPfP15HIP_vector_typeIfLj2EEffffjfiS5_IjLj3EEiiiiiiiiiiiliiliiiiil.num_vgpr, 245
	.set _ZL15flash_attn_tileILi256ELi256ELi16ELi2ELb0EEvPKcS1_S1_S1_S1_PKiPfP15HIP_vector_typeIfLj2EEffffjfiS5_IjLj3EEiiiiiiiiiiiliiliiiiil.num_agpr, 0
	.set _ZL15flash_attn_tileILi256ELi256ELi16ELi2ELb0EEvPKcS1_S1_S1_S1_PKiPfP15HIP_vector_typeIfLj2EEffffjfiS5_IjLj3EEiiiiiiiiiiiliiliiiiil.numbered_sgpr, 58
	.set _ZL15flash_attn_tileILi256ELi256ELi16ELi2ELb0EEvPKcS1_S1_S1_S1_PKiPfP15HIP_vector_typeIfLj2EEffffjfiS5_IjLj3EEiiiiiiiiiiiliiliiiiil.num_named_barrier, 0
	.set _ZL15flash_attn_tileILi256ELi256ELi16ELi2ELb0EEvPKcS1_S1_S1_S1_PKiPfP15HIP_vector_typeIfLj2EEffffjfiS5_IjLj3EEiiiiiiiiiiiliiliiiiil.private_seg_size, 0
	.set _ZL15flash_attn_tileILi256ELi256ELi16ELi2ELb0EEvPKcS1_S1_S1_S1_PKiPfP15HIP_vector_typeIfLj2EEffffjfiS5_IjLj3EEiiiiiiiiiiiliiliiiiil.uses_vcc, 1
	.set _ZL15flash_attn_tileILi256ELi256ELi16ELi2ELb0EEvPKcS1_S1_S1_S1_PKiPfP15HIP_vector_typeIfLj2EEffffjfiS5_IjLj3EEiiiiiiiiiiiliiliiiiil.uses_flat_scratch, 0
	.set _ZL15flash_attn_tileILi256ELi256ELi16ELi2ELb0EEvPKcS1_S1_S1_S1_PKiPfP15HIP_vector_typeIfLj2EEffffjfiS5_IjLj3EEiiiiiiiiiiiliiliiiiil.has_dyn_sized_stack, 0
	.set _ZL15flash_attn_tileILi256ELi256ELi16ELi2ELb0EEvPKcS1_S1_S1_S1_PKiPfP15HIP_vector_typeIfLj2EEffffjfiS5_IjLj3EEiiiiiiiiiiiliiliiiiil.has_recursion, 0
	.set _ZL15flash_attn_tileILi256ELi256ELi16ELi2ELb0EEvPKcS1_S1_S1_S1_PKiPfP15HIP_vector_typeIfLj2EEffffjfiS5_IjLj3EEiiiiiiiiiiiliiliiiiil.has_indirect_call, 0
	.section	.AMDGPU.csdata,"",@progbits
; Kernel info:
; codeLenInByte = 24664
; TotalNumSgprs: 60
; NumVgprs: 245
; ScratchSize: 0
; MemoryBound: 0
; FloatMode: 240
; IeeeMode: 1
; LDSByteSize: 37888 bytes/workgroup (compile time only)
; SGPRBlocks: 0
; VGPRBlocks: 30
; NumSGPRsForWavesPerEU: 60
; NumVGPRsForWavesPerEU: 245
; Occupancy: 5
; WaveLimiterHint : 1
; COMPUTE_PGM_RSRC2:SCRATCH_EN: 0
; COMPUTE_PGM_RSRC2:USER_SGPR: 2
; COMPUTE_PGM_RSRC2:TRAP_HANDLER: 0
; COMPUTE_PGM_RSRC2:TGID_X_EN: 1
; COMPUTE_PGM_RSRC2:TGID_Y_EN: 1
; COMPUTE_PGM_RSRC2:TGID_Z_EN: 1
; COMPUTE_PGM_RSRC2:TIDIG_COMP_CNT: 1
	.section	.text._ZL25flash_attn_mask_to_KV_maxILi16EEvPK7__half2Piiii,"axG",@progbits,_ZL25flash_attn_mask_to_KV_maxILi16EEvPK7__half2Piiii,comdat
	.globl	_ZL25flash_attn_mask_to_KV_maxILi16EEvPK7__half2Piiii ; -- Begin function _ZL25flash_attn_mask_to_KV_maxILi16EEvPK7__half2Piiii
	.p2align	8
	.type	_ZL25flash_attn_mask_to_KV_maxILi16EEvPK7__half2Piiii,@function
_ZL25flash_attn_mask_to_KV_maxILi16EEvPK7__half2Piiii: ; @_ZL25flash_attn_mask_to_KV_maxILi16EEvPK7__half2Piiii
; %bb.0:
	s_load_b64 s[8:9], s[0:1], 0x0
	s_mov_b32 s2, exec_lo
	v_cmpx_gt_u32_e32 32, v0
; %bb.1:
	v_dual_mov_b32 v2, 1 :: v_dual_lshlrev_b32 v1, 2, v0
	ds_store_b32 v1, v2
; %bb.2:
	s_or_b32 exec_lo, exec_lo, s2
	s_clause 0x2
	s_load_b96 s[4:6], s[0:1], 0x10
	s_load_b64 s[2:3], s[0:1], 0x8
	s_load_b32 s1, s[0:1], 0x20
	v_dual_mov_b32 v2, 0 :: v_dual_and_b32 v1, 31, v0
	v_lshrrev_b32_e32 v5, 3, v0
	s_wait_dscnt 0x0
	s_barrier_signal -1
	s_delay_alu instid0(VALU_DEP_2)
	v_lshlrev_b32_e32 v6, 2, v1
	s_barrier_wait -1
	global_inv scope:SCOPE_SE
	s_wait_kmcnt 0x0
	s_mul_i32 s0, ttmp9, s5
	s_mul_i32 s6, s6, ttmp7
	s_lshl_b32 s0, s0, 4
	s_delay_alu instid0(SALU_CYCLE_1) | instskip(SKIP_2) | instid1(SALU_CYCLE_1)
	s_add_co_i32 s6, s6, s0
	v_cmp_eq_u32_e64 s0, 0, v1
	s_ashr_i32 s7, s6, 31
	s_lshl_b64 s[6:7], s[6:7], 2
	s_delay_alu instid0(SALU_CYCLE_1)
	s_add_nc_u64 s[6:7], s[8:9], s[6:7]
	s_lshl_b32 s8, s4, 8
	s_branch .LBB27_4
.LBB27_3:                               ;   in Loop: Header=BB27_4 Depth=1
	s_wait_alu 0xfffe
	s_or_b32 exec_lo, exec_lo, s9
	s_wait_dscnt 0x0
	s_barrier_signal -1
	s_barrier_wait -1
	global_inv scope:SCOPE_SE
	ds_load_b32 v1, v6
	s_wait_loadcnt_dscnt 0x0
	s_barrier_signal -1
	s_barrier_wait -1
	global_inv scope:SCOPE_SE
	v_cmp_ne_u32_e32 vcc_lo, 0, v1
	s_cmp_lg_u32 vcc_lo, exec_lo
	s_cselect_b32 s9, -1, 0
	s_wait_alu 0xfffe
	s_and_b32 vcc_lo, exec_lo, s9
	s_wait_alu 0xfffe
	s_cbranch_vccnz .LBB27_68
.LBB27_4:                               ; =>This Inner Loop Header: Depth=1
	s_mov_b32 s4, s8
	s_addk_co_i32 s8, 0xff00
	s_wait_alu 0xfffe
	s_cmp_lt_i32 s8, 0
	s_cbranch_scc1 .LBB27_67
; %bb.5:                                ;   in Loop: Header=BB27_4 Depth=1
	s_lshr_b32 s9, s8, 1
	s_wait_alu 0xfffe
	v_add_nc_u32_e32 v1, s9, v0
	s_delay_alu instid0(VALU_DEP_1) | instskip(NEXT) | instid1(VALU_DEP_1)
	v_lshlrev_b64_e32 v[3:4], 2, v[1:2]
	v_add_co_u32 v3, vcc_lo, s6, v3
	s_wait_alu 0xfffd
	s_delay_alu instid0(VALU_DEP_2) | instskip(SKIP_4) | instid1(VALU_DEP_2)
	v_add_co_ci_u32_e64 v4, null, s7, v4, vcc_lo
	global_load_b32 v3, v[3:4], off
	s_wait_loadcnt 0x0
	v_lshrrev_b32_e32 v4, 16, v3
	v_cmp_class_f16_e64 s9, v3, 0x204
	v_cmp_class_f16_e64 s10, v4, 0x204
	s_and_b32 s11, s9, s10
	s_mov_b32 s10, 0
	s_wait_alu 0xfffe
	s_and_saveexec_b32 s9, s11
	s_cbranch_execz .LBB27_65
; %bb.6:                                ;   in Loop: Header=BB27_4 Depth=1
	v_add_nc_u32_e32 v3, s5, v1
	s_mov_b32 s11, 0
	s_delay_alu instid0(VALU_DEP_1) | instskip(NEXT) | instid1(VALU_DEP_1)
	v_ashrrev_i32_e32 v4, 31, v3
	v_lshlrev_b64_e32 v[7:8], 2, v[3:4]
	s_delay_alu instid0(VALU_DEP_1) | instskip(SKIP_1) | instid1(VALU_DEP_2)
	v_add_co_u32 v7, vcc_lo, s6, v7
	s_wait_alu 0xfffd
	v_add_co_ci_u32_e64 v8, null, s7, v8, vcc_lo
	global_load_b32 v1, v[7:8], off
	s_wait_loadcnt 0x0
	v_cmp_class_f16_e64 s12, v1, 0x204
	s_and_saveexec_b32 s10, s12
	s_cbranch_execz .LBB27_64
; %bb.7:                                ;   in Loop: Header=BB27_4 Depth=1
	v_lshrrev_b32_e32 v1, 16, v1
	s_mov_b32 s12, 0
	s_delay_alu instid0(VALU_DEP_1)
	v_cmp_class_f16_e64 s13, v1, 0x204
	s_and_saveexec_b32 s11, s13
	s_cbranch_execz .LBB27_63
; %bb.8:                                ;   in Loop: Header=BB27_4 Depth=1
	v_add_nc_u32_e32 v3, s5, v3
	s_mov_b32 s13, 0
	s_delay_alu instid0(VALU_DEP_1) | instskip(NEXT) | instid1(VALU_DEP_1)
	v_ashrrev_i32_e32 v4, 31, v3
	v_lshlrev_b64_e32 v[7:8], 2, v[3:4]
	s_delay_alu instid0(VALU_DEP_1) | instskip(SKIP_1) | instid1(VALU_DEP_2)
	v_add_co_u32 v7, vcc_lo, s6, v7
	s_wait_alu 0xfffd
	v_add_co_ci_u32_e64 v8, null, s7, v8, vcc_lo
	global_load_b32 v1, v[7:8], off
	s_wait_loadcnt 0x0
	v_cmp_class_f16_e64 s14, v1, 0x204
	s_and_saveexec_b32 s12, s14
	s_cbranch_execz .LBB27_62
; %bb.9:                                ;   in Loop: Header=BB27_4 Depth=1
	v_lshrrev_b32_e32 v1, 16, v1
	s_mov_b32 s14, 0
	s_delay_alu instid0(VALU_DEP_1)
	v_cmp_class_f16_e64 s15, v1, 0x204
	s_and_saveexec_b32 s13, s15
	s_cbranch_execz .LBB27_61
; %bb.10:                               ;   in Loop: Header=BB27_4 Depth=1
	v_add_nc_u32_e32 v3, s5, v3
	s_mov_b32 s15, 0
	s_delay_alu instid0(VALU_DEP_1) | instskip(NEXT) | instid1(VALU_DEP_1)
	v_ashrrev_i32_e32 v4, 31, v3
	v_lshlrev_b64_e32 v[7:8], 2, v[3:4]
	s_delay_alu instid0(VALU_DEP_1) | instskip(SKIP_1) | instid1(VALU_DEP_2)
	v_add_co_u32 v7, vcc_lo, s6, v7
	s_wait_alu 0xfffd
	v_add_co_ci_u32_e64 v8, null, s7, v8, vcc_lo
	global_load_b32 v1, v[7:8], off
	s_wait_loadcnt 0x0
	v_cmp_class_f16_e64 s16, v1, 0x204
	s_and_saveexec_b32 s14, s16
	s_cbranch_execz .LBB27_60
; %bb.11:                               ;   in Loop: Header=BB27_4 Depth=1
	v_lshrrev_b32_e32 v1, 16, v1
	s_mov_b32 s16, 0
	s_delay_alu instid0(VALU_DEP_1)
	v_cmp_class_f16_e64 s17, v1, 0x204
	s_and_saveexec_b32 s15, s17
	s_cbranch_execz .LBB27_59
; %bb.12:                               ;   in Loop: Header=BB27_4 Depth=1
	v_add_nc_u32_e32 v3, s5, v3
	s_mov_b32 s17, 0
	s_delay_alu instid0(VALU_DEP_1) | instskip(NEXT) | instid1(VALU_DEP_1)
	v_ashrrev_i32_e32 v4, 31, v3
	v_lshlrev_b64_e32 v[7:8], 2, v[3:4]
	s_delay_alu instid0(VALU_DEP_1) | instskip(SKIP_1) | instid1(VALU_DEP_2)
	v_add_co_u32 v7, vcc_lo, s6, v7
	s_wait_alu 0xfffd
	v_add_co_ci_u32_e64 v8, null, s7, v8, vcc_lo
	global_load_b32 v1, v[7:8], off
	s_wait_loadcnt 0x0
	v_cmp_class_f16_e64 s18, v1, 0x204
	s_and_saveexec_b32 s16, s18
	s_cbranch_execz .LBB27_58
; %bb.13:                               ;   in Loop: Header=BB27_4 Depth=1
	;; [unrolled: 22-line block ×12, first 2 shown]
	v_lshrrev_b32_e32 v1, 16, v1
	s_mov_b32 s39, 0
	s_delay_alu instid0(VALU_DEP_1)
	v_cmp_class_f16_e64 s40, v1, 0x204
	s_and_saveexec_b32 s38, s40
	s_cbranch_execz .LBB27_37
; %bb.34:                               ;   in Loop: Header=BB27_4 Depth=1
	v_add_nc_u32_e32 v3, s5, v3
	s_delay_alu instid0(VALU_DEP_1) | instskip(NEXT) | instid1(VALU_DEP_1)
	v_ashrrev_i32_e32 v4, 31, v3
	v_lshlrev_b64_e32 v[3:4], 2, v[3:4]
	s_delay_alu instid0(VALU_DEP_1) | instskip(SKIP_1) | instid1(VALU_DEP_2)
	v_add_co_u32 v3, vcc_lo, s6, v3
	s_wait_alu 0xfffd
	v_add_co_ci_u32_e64 v4, null, s7, v4, vcc_lo
	global_load_b32 v1, v[3:4], off
	s_wait_loadcnt 0x0
	v_cmp_class_f16_e64 s41, v1, 0x204
	s_and_saveexec_b32 s40, s41
; %bb.35:                               ;   in Loop: Header=BB27_4 Depth=1
	v_lshrrev_b32_e32 v1, 16, v1
	s_delay_alu instid0(VALU_DEP_1)
	v_cmp_class_f16_e64 s39, v1, 0x204
	s_and_b32 s39, s39, exec_lo
; %bb.36:                               ;   in Loop: Header=BB27_4 Depth=1
	s_or_b32 exec_lo, exec_lo, s40
	s_delay_alu instid0(SALU_CYCLE_1)
	s_and_b32 s39, s39, exec_lo
.LBB27_37:                              ;   in Loop: Header=BB27_4 Depth=1
	s_or_b32 exec_lo, exec_lo, s38
	s_delay_alu instid0(SALU_CYCLE_1)
	s_and_b32 s38, s39, exec_lo
.LBB27_38:                              ;   in Loop: Header=BB27_4 Depth=1
	s_or_b32 exec_lo, exec_lo, s37
	s_delay_alu instid0(SALU_CYCLE_1)
	s_and_b32 s37, s38, exec_lo
.LBB27_39:                              ;   in Loop: Header=BB27_4 Depth=1
	s_or_b32 exec_lo, exec_lo, s36
	s_delay_alu instid0(SALU_CYCLE_1)
	s_and_b32 s36, s37, exec_lo
.LBB27_40:                              ;   in Loop: Header=BB27_4 Depth=1
	s_or_b32 exec_lo, exec_lo, s35
	s_delay_alu instid0(SALU_CYCLE_1)
	s_and_b32 s35, s36, exec_lo
.LBB27_41:                              ;   in Loop: Header=BB27_4 Depth=1
	s_or_b32 exec_lo, exec_lo, s34
	s_delay_alu instid0(SALU_CYCLE_1)
	s_and_b32 s34, s35, exec_lo
.LBB27_42:                              ;   in Loop: Header=BB27_4 Depth=1
	s_or_b32 exec_lo, exec_lo, s33
	s_delay_alu instid0(SALU_CYCLE_1)
	s_and_b32 s33, s34, exec_lo
.LBB27_43:                              ;   in Loop: Header=BB27_4 Depth=1
	s_or_b32 exec_lo, exec_lo, s31
	s_delay_alu instid0(SALU_CYCLE_1)
	s_and_b32 s31, s33, exec_lo
.LBB27_44:                              ;   in Loop: Header=BB27_4 Depth=1
	s_or_b32 exec_lo, exec_lo, s30
	s_delay_alu instid0(SALU_CYCLE_1)
	s_and_b32 s30, s31, exec_lo
.LBB27_45:                              ;   in Loop: Header=BB27_4 Depth=1
	s_or_b32 exec_lo, exec_lo, s29
	s_delay_alu instid0(SALU_CYCLE_1)
	s_and_b32 s29, s30, exec_lo
.LBB27_46:                              ;   in Loop: Header=BB27_4 Depth=1
	s_or_b32 exec_lo, exec_lo, s28
	s_delay_alu instid0(SALU_CYCLE_1)
	s_and_b32 s28, s29, exec_lo
.LBB27_47:                              ;   in Loop: Header=BB27_4 Depth=1
	s_or_b32 exec_lo, exec_lo, s27
	s_delay_alu instid0(SALU_CYCLE_1)
	s_and_b32 s27, s28, exec_lo
.LBB27_48:                              ;   in Loop: Header=BB27_4 Depth=1
	s_or_b32 exec_lo, exec_lo, s26
	s_delay_alu instid0(SALU_CYCLE_1)
	s_and_b32 s26, s27, exec_lo
.LBB27_49:                              ;   in Loop: Header=BB27_4 Depth=1
	s_or_b32 exec_lo, exec_lo, s25
	s_delay_alu instid0(SALU_CYCLE_1)
	s_and_b32 s25, s26, exec_lo
.LBB27_50:                              ;   in Loop: Header=BB27_4 Depth=1
	s_or_b32 exec_lo, exec_lo, s24
	s_delay_alu instid0(SALU_CYCLE_1)
	s_and_b32 s24, s25, exec_lo
.LBB27_51:                              ;   in Loop: Header=BB27_4 Depth=1
	s_or_b32 exec_lo, exec_lo, s23
	s_delay_alu instid0(SALU_CYCLE_1)
	s_and_b32 s23, s24, exec_lo
.LBB27_52:                              ;   in Loop: Header=BB27_4 Depth=1
	s_or_b32 exec_lo, exec_lo, s22
	s_delay_alu instid0(SALU_CYCLE_1)
	s_and_b32 s22, s23, exec_lo
.LBB27_53:                              ;   in Loop: Header=BB27_4 Depth=1
	s_or_b32 exec_lo, exec_lo, s21
	s_delay_alu instid0(SALU_CYCLE_1)
	s_and_b32 s21, s22, exec_lo
.LBB27_54:                              ;   in Loop: Header=BB27_4 Depth=1
	s_or_b32 exec_lo, exec_lo, s20
	s_delay_alu instid0(SALU_CYCLE_1)
	s_and_b32 s20, s21, exec_lo
.LBB27_55:                              ;   in Loop: Header=BB27_4 Depth=1
	s_or_b32 exec_lo, exec_lo, s19
	s_delay_alu instid0(SALU_CYCLE_1)
	s_and_b32 s19, s20, exec_lo
.LBB27_56:                              ;   in Loop: Header=BB27_4 Depth=1
	s_or_b32 exec_lo, exec_lo, s18
	s_delay_alu instid0(SALU_CYCLE_1)
	s_and_b32 s18, s19, exec_lo
.LBB27_57:                              ;   in Loop: Header=BB27_4 Depth=1
	s_or_b32 exec_lo, exec_lo, s17
	s_delay_alu instid0(SALU_CYCLE_1)
	s_and_b32 s17, s18, exec_lo
.LBB27_58:                              ;   in Loop: Header=BB27_4 Depth=1
	s_or_b32 exec_lo, exec_lo, s16
	s_delay_alu instid0(SALU_CYCLE_1)
	s_and_b32 s16, s17, exec_lo
.LBB27_59:                              ;   in Loop: Header=BB27_4 Depth=1
	s_or_b32 exec_lo, exec_lo, s15
	s_delay_alu instid0(SALU_CYCLE_1)
	s_and_b32 s15, s16, exec_lo
.LBB27_60:                              ;   in Loop: Header=BB27_4 Depth=1
	s_or_b32 exec_lo, exec_lo, s14
	s_delay_alu instid0(SALU_CYCLE_1)
	s_and_b32 s14, s15, exec_lo
.LBB27_61:                              ;   in Loop: Header=BB27_4 Depth=1
	s_or_b32 exec_lo, exec_lo, s13
	s_delay_alu instid0(SALU_CYCLE_1)
	s_and_b32 s13, s14, exec_lo
.LBB27_62:                              ;   in Loop: Header=BB27_4 Depth=1
	s_or_b32 exec_lo, exec_lo, s12
	s_delay_alu instid0(SALU_CYCLE_1)
	s_and_b32 s12, s13, exec_lo
.LBB27_63:                              ;   in Loop: Header=BB27_4 Depth=1
	s_wait_alu 0xfffe
	s_or_b32 exec_lo, exec_lo, s11
	s_delay_alu instid0(SALU_CYCLE_1)
	s_and_b32 s11, s12, exec_lo
.LBB27_64:                              ;   in Loop: Header=BB27_4 Depth=1
	s_wait_alu 0xfffe
	s_or_b32 exec_lo, exec_lo, s10
	s_delay_alu instid0(SALU_CYCLE_1)
	s_and_b32 s10, s11, exec_lo
.LBB27_65:                              ;   in Loop: Header=BB27_4 Depth=1
	s_wait_alu 0xfffe
	s_or_b32 exec_lo, exec_lo, s9
	v_cndmask_b32_e64 v1, 0, 1, s10
	s_mov_b32 s11, exec_lo
	s_delay_alu instid0(VALU_DEP_1)
	v_cmp_ne_u32_e32 vcc_lo, 0, v1
	s_and_saveexec_b32 s9, s0
	s_cbranch_execz .LBB27_3
; %bb.66:                               ;   in Loop: Header=BB27_4 Depth=1
	s_wait_alu 0xfffe
	s_cmp_eq_u32 vcc_lo, s11
	s_cselect_b32 s10, -1, 0
	s_wait_alu 0xfffe
	v_cndmask_b32_e64 v1, 0, 1, s10
	ds_store_b32 v5, v1
	s_branch .LBB27_3
.LBB27_67:                              ;   in Loop: Header=BB27_4 Depth=1
	s_cbranch_execz .LBB27_4
.LBB27_68:
	s_mov_b32 s0, exec_lo
	v_cmpx_eq_u32_e32 0, v0
	s_cbranch_execz .LBB27_70
; %bb.69:
	s_mul_i32 s0, s1, ttmp7
	v_dual_mov_b32 v0, 0 :: v_dual_mov_b32 v1, s4
	s_add_co_i32 s0, s0, ttmp9
	s_delay_alu instid0(SALU_CYCLE_1) | instskip(NEXT) | instid1(SALU_CYCLE_1)
	s_ashr_i32 s1, s0, 31
	s_lshl_b64 s[0:1], s[0:1], 2
	s_delay_alu instid0(SALU_CYCLE_1)
	s_add_nc_u64 s[0:1], s[2:3], s[0:1]
	global_store_b32 v0, v1, s[0:1]
.LBB27_70:
	s_endpgm
	.section	.rodata,"a",@progbits
	.p2align	6, 0x0
	.amdhsa_kernel _ZL25flash_attn_mask_to_KV_maxILi16EEvPK7__half2Piiii
		.amdhsa_group_segment_fixed_size 128
		.amdhsa_private_segment_fixed_size 0
		.amdhsa_kernarg_size 288
		.amdhsa_user_sgpr_count 2
		.amdhsa_user_sgpr_dispatch_ptr 0
		.amdhsa_user_sgpr_queue_ptr 0
		.amdhsa_user_sgpr_kernarg_segment_ptr 1
		.amdhsa_user_sgpr_dispatch_id 0
		.amdhsa_user_sgpr_private_segment_size 0
		.amdhsa_wavefront_size32 1
		.amdhsa_uses_dynamic_stack 0
		.amdhsa_enable_private_segment 0
		.amdhsa_system_sgpr_workgroup_id_x 1
		.amdhsa_system_sgpr_workgroup_id_y 1
		.amdhsa_system_sgpr_workgroup_id_z 0
		.amdhsa_system_sgpr_workgroup_info 0
		.amdhsa_system_vgpr_workitem_id 0
		.amdhsa_next_free_vgpr 9
		.amdhsa_next_free_sgpr 42
		.amdhsa_reserve_vcc 1
		.amdhsa_float_round_mode_32 0
		.amdhsa_float_round_mode_16_64 0
		.amdhsa_float_denorm_mode_32 3
		.amdhsa_float_denorm_mode_16_64 3
		.amdhsa_fp16_overflow 0
		.amdhsa_workgroup_processor_mode 1
		.amdhsa_memory_ordered 1
		.amdhsa_forward_progress 1
		.amdhsa_inst_pref_size 20
		.amdhsa_round_robin_scheduling 0
		.amdhsa_exception_fp_ieee_invalid_op 0
		.amdhsa_exception_fp_denorm_src 0
		.amdhsa_exception_fp_ieee_div_zero 0
		.amdhsa_exception_fp_ieee_overflow 0
		.amdhsa_exception_fp_ieee_underflow 0
		.amdhsa_exception_fp_ieee_inexact 0
		.amdhsa_exception_int_div_zero 0
	.end_amdhsa_kernel
	.section	.text._ZL25flash_attn_mask_to_KV_maxILi16EEvPK7__half2Piiii,"axG",@progbits,_ZL25flash_attn_mask_to_KV_maxILi16EEvPK7__half2Piiii,comdat
.Lfunc_end27:
	.size	_ZL25flash_attn_mask_to_KV_maxILi16EEvPK7__half2Piiii, .Lfunc_end27-_ZL25flash_attn_mask_to_KV_maxILi16EEvPK7__half2Piiii
                                        ; -- End function
	.set _ZL25flash_attn_mask_to_KV_maxILi16EEvPK7__half2Piiii.num_vgpr, 9
	.set _ZL25flash_attn_mask_to_KV_maxILi16EEvPK7__half2Piiii.num_agpr, 0
	.set _ZL25flash_attn_mask_to_KV_maxILi16EEvPK7__half2Piiii.numbered_sgpr, 42
	.set _ZL25flash_attn_mask_to_KV_maxILi16EEvPK7__half2Piiii.num_named_barrier, 0
	.set _ZL25flash_attn_mask_to_KV_maxILi16EEvPK7__half2Piiii.private_seg_size, 0
	.set _ZL25flash_attn_mask_to_KV_maxILi16EEvPK7__half2Piiii.uses_vcc, 1
	.set _ZL25flash_attn_mask_to_KV_maxILi16EEvPK7__half2Piiii.uses_flat_scratch, 0
	.set _ZL25flash_attn_mask_to_KV_maxILi16EEvPK7__half2Piiii.has_dyn_sized_stack, 0
	.set _ZL25flash_attn_mask_to_KV_maxILi16EEvPK7__half2Piiii.has_recursion, 0
	.set _ZL25flash_attn_mask_to_KV_maxILi16EEvPK7__half2Piiii.has_indirect_call, 0
	.section	.AMDGPU.csdata,"",@progbits
; Kernel info:
; codeLenInByte = 2544
; TotalNumSgprs: 44
; NumVgprs: 9
; ScratchSize: 0
; MemoryBound: 0
; FloatMode: 240
; IeeeMode: 1
; LDSByteSize: 128 bytes/workgroup (compile time only)
; SGPRBlocks: 0
; VGPRBlocks: 1
; NumSGPRsForWavesPerEU: 44
; NumVGPRsForWavesPerEU: 9
; Occupancy: 16
; WaveLimiterHint : 0
; COMPUTE_PGM_RSRC2:SCRATCH_EN: 0
; COMPUTE_PGM_RSRC2:USER_SGPR: 2
; COMPUTE_PGM_RSRC2:TRAP_HANDLER: 0
; COMPUTE_PGM_RSRC2:TGID_X_EN: 1
; COMPUTE_PGM_RSRC2:TGID_Y_EN: 1
; COMPUTE_PGM_RSRC2:TGID_Z_EN: 0
; COMPUTE_PGM_RSRC2:TIDIG_COMP_CNT: 0
	.section	.text._ZL33flash_attn_stream_k_fixup_uniformILi256ELi16ELi2EEvPfPK15HIP_vector_typeIfLj2EEiiiiiiS1_IjLj3EES5_S5_,"axG",@progbits,_ZL33flash_attn_stream_k_fixup_uniformILi256ELi16ELi2EEvPfPK15HIP_vector_typeIfLj2EEiiiiiiS1_IjLj3EES5_S5_,comdat
	.globl	_ZL33flash_attn_stream_k_fixup_uniformILi256ELi16ELi2EEvPfPK15HIP_vector_typeIfLj2EEiiiiiiS1_IjLj3EES5_S5_ ; -- Begin function _ZL33flash_attn_stream_k_fixup_uniformILi256ELi16ELi2EEvPfPK15HIP_vector_typeIfLj2EEiiiiiiS1_IjLj3EES5_S5_
	.p2align	8
	.type	_ZL33flash_attn_stream_k_fixup_uniformILi256ELi16ELi2EEvPfPK15HIP_vector_typeIfLj2EEiiiiiiS1_IjLj3EES5_S5_,@function
_ZL33flash_attn_stream_k_fixup_uniformILi256ELi16ELi2EEvPfPK15HIP_vector_typeIfLj2EEiiiiiiS1_IjLj3EES5_S5_: ; @_ZL33flash_attn_stream_k_fixup_uniformILi256ELi16ELi2EEvPfPK15HIP_vector_typeIfLj2EEiiiiiiS1_IjLj3EES5_S5_
; %bb.0:
	s_clause 0x1
	s_load_b256 s[4:11], s[0:1], 0x1c
	s_load_b128 s[12:15], s[0:1], 0x3c
	s_wait_kmcnt 0x0
	s_mul_hi_u32 s2, s7, ttmp9
	s_delay_alu instid0(SALU_CYCLE_1) | instskip(NEXT) | instid1(SALU_CYCLE_1)
	s_add_co_i32 s2, ttmp9, s2
	s_lshr_b32 s2, s2, s8
	s_delay_alu instid0(SALU_CYCLE_1) | instskip(SKIP_2) | instid1(SALU_CYCLE_1)
	s_mul_i32 s3, s2, s9
	s_load_b64 s[8:9], s[0:1], 0x10
	s_sub_co_i32 s7, ttmp9, s3
	s_mul_hi_u32 s3, s7, s10
	s_delay_alu instid0(SALU_CYCLE_1) | instskip(NEXT) | instid1(SALU_CYCLE_1)
	s_add_co_i32 s3, s7, s3
	s_lshr_b32 s3, s3, s11
	s_delay_alu instid0(SALU_CYCLE_1) | instskip(NEXT) | instid1(SALU_CYCLE_1)
	s_mul_i32 s10, s3, s12
	s_sub_co_i32 s7, s7, s10
	s_delay_alu instid0(SALU_CYCLE_1) | instskip(NEXT) | instid1(SALU_CYCLE_1)
	s_mul_hi_u32 s10, s7, s13
	s_add_co_i32 s10, s7, s10
	s_delay_alu instid0(SALU_CYCLE_1) | instskip(NEXT) | instid1(SALU_CYCLE_1)
	s_lshr_b32 s12, s10, s14
	s_mul_i32 s10, s12, s15
	s_lshl_b32 s12, s12, 1
	s_sub_co_i32 s11, s7, s10
	s_and_b32 s7, ttmp7, 0xffff
	s_lshl_b32 s13, s11, 4
	s_lshr_b32 s10, ttmp7, 16
	s_add_co_i32 s13, s13, s7
	s_wait_kmcnt 0x0
	s_cmp_lt_i32 s13, s8
	s_cselect_b32 s13, -1, 0
	s_add_co_i32 s14, s12, s10
	s_delay_alu instid0(SALU_CYCLE_1) | instskip(SKIP_1) | instid1(SALU_CYCLE_1)
	s_cmp_lt_i32 s14, s5
	s_cselect_b32 s14, -1, 0
	s_and_b32 s13, s13, s14
	s_delay_alu instid0(SALU_CYCLE_1)
	s_and_not1_b32 vcc_lo, exec_lo, s13
	s_cbranch_vccnz .LBB28_6
; %bb.1:
	s_mul_i32 s2, s2, s8
	s_mul_i32 s5, s3, s5
	s_add_co_i32 s2, s2, s7
	s_delay_alu instid0(SALU_CYCLE_1) | instskip(NEXT) | instid1(SALU_CYCLE_1)
	s_mul_i32 s2, s2, s9
	s_add_co_i32 s8, s2, s10
	s_load_b128 s[0:3], s[0:1], 0x0
	s_add_co_i32 s5, s8, s5
	s_mul_i32 s8, s9, s11
	s_add_co_i32 s5, s5, s12
	s_lshl_b32 s8, s8, 12
	s_lshl_b32 s5, s5, 8
	s_delay_alu instid0(SALU_CYCLE_1)
	s_add_co_i32 s8, s8, s5
	s_lshl_b32 s5, s7, 1
	v_or_b32_e32 v1, s8, v0
	s_mul_i32 s8, s6, ttmp9
	s_wait_alu 0xfffe
	s_add_co_i32 s9, s8, s6
	s_wait_alu 0xfffe
	s_add_co_i32 s12, s9, -2
	v_ashrrev_i32_e32 v2, 31, v1
	s_delay_alu instid0(VALU_DEP_1) | instskip(SKIP_1) | instid1(VALU_DEP_1)
	v_lshlrev_b64_e32 v[1:2], 2, v[1:2]
	s_wait_kmcnt 0x0
	v_add_co_u32 v1, vcc_lo, s0, v1
	s_delay_alu instid0(VALU_DEP_1)
	v_add_co_ci_u32_e64 v2, null, s1, v2, vcc_lo
	s_add_co_i32 s0, s5, s10
	s_lshl_b32 s1, s9, 5
	global_load_b32 v5, v[1:2], off
	s_wait_alu 0xfffe
	s_add_co_i32 s0, s0, s1
	s_wait_alu 0xfffe
	s_sub_co_i32 s0, s0, 32
	s_wait_alu 0xfffe
	s_ashr_i32 s1, s0, 31
	s_wait_alu 0xfffe
	s_lshl_b64 s[0:1], s[0:1], 3
	s_cmp_lt_i32 s12, s8
	s_wait_alu 0xfffe
	s_add_nc_u64 s[0:1], s[2:3], s[0:1]
	s_load_b32 s11, s[0:1], 0x4
	s_cbranch_scc1 .LBB28_4
; %bb.2:
	s_load_b32 s0, s[0:1], 0x0
	s_add_co_i32 s13, ttmp9, 1
	s_lshl_b32 s12, s4, 7
	s_mul_i32 s1, s6, s13
	s_lshl_b32 s6, s7, 9
	s_lshl_b32 s7, s10, 8
	s_wait_alu 0xfffe
	s_lshl_b32 s14, s1, 13
	s_add_co_i32 s6, s7, s6
	s_lshl_b32 s1, s1, 5
	s_add_co_i32 s14, s6, s14
	s_wait_alu 0xfffe
	s_add_co_i32 s1, s10, s1
	v_or_b32_e32 v0, s14, v0
	s_lshl_b32 s4, s4, 5
	s_ashr_i32 s13, s12, 31
	s_wait_alu 0xfffe
	s_add_co_i32 s1, s1, s4
	s_wait_kmcnt 0x0
	v_dual_mov_b32 v6, s11 :: v_dual_add_nc_u32 v3, 0xffffc000, v0
	s_lshl_b64 s[6:7], s[12:13], 2
	s_wait_alu 0xfffe
	s_add_co_i32 s4, s1, s5
	s_add_nc_u64 s[6:7], s[2:3], s[6:7]
	s_add_co_i32 s1, s9, -1
	s_sub_co_i32 s4, s4, 64
.LBB28_3:                               ; =>This Inner Loop Header: Depth=1
	v_ashrrev_i32_e32 v4, 31, v3
	s_ashr_i32 s5, s4, 31
	v_mov_b32_e32 v10, v6
	s_lshl_b64 s[10:11], s[4:5], 3
	s_wait_loadcnt 0x0
	v_mov_b32_e32 v9, v5
	v_lshlrev_b64_e32 v[7:8], 2, v[3:4]
	s_wait_alu 0xfffe
	s_add_nc_u64 s[10:11], s[2:3], s[10:11]
	v_max_num_f32_e64 v4, s0, s0
	s_load_b64 s[10:11], s[10:11], 0x0
	v_add_nc_u32_e32 v3, 0xffffe000, v3
	v_add_co_u32 v7, vcc_lo, s6, v7
	s_wait_alu 0xfffd
	v_add_co_ci_u32_e64 v8, null, s7, v8, vcc_lo
	v_readfirstlane_b32 s5, v4
	global_load_b32 v0, v[7:8], off
	s_wait_kmcnt 0x0
	v_max_num_f32_e64 v4, s10, s10
	s_delay_alu instid0(VALU_DEP_1) | instskip(SKIP_1) | instid1(SALU_CYCLE_3)
	v_readfirstlane_b32 s9, v4
	s_max_num_f32 s5, s5, s9
	s_sub_f32 s0, s0, s5
	s_sub_f32 s9, s10, s5
	s_wait_alu 0xfffe
	s_delay_alu instid0(SALU_CYCLE_1) | instskip(NEXT) | instid1(SALU_CYCLE_1)
	s_mul_f32 s10, s0, 0x3fb8aa3b
	s_mul_f32 s12, s9, 0x3fb8aa3b
	s_wait_alu 0xfffe
	s_delay_alu instid0(SALU_CYCLE_1)
	s_xor_b32 s13, s10, 0x80000000
	s_rndne_f32 s14, s10
	s_fmamk_f32 s13, s0, 0x3fb8aa3b, s13
	s_cmp_nlt_f32 s0, 0xc2ce8ed0
	s_rndne_f32 s15, s12
	s_wait_alu 0xfffe
	s_sub_f32 s10, s10, s14
	s_fmamk_f32 s13, s0, 0x32a5705f, s13
	s_cvt_i32_f32 s14, s14
	s_cselect_b32 vcc_lo, -1, 0
	s_cmp_ngt_f32 s0, 0x42b17218
	s_wait_alu 0xfffe
	s_add_f32 s10, s10, s13
	s_sub_f32 s13, s12, s15
	s_wait_alu 0xfffe
	s_delay_alu instid0(SALU_CYCLE_1) | instskip(SKIP_1) | instid1(TRANS32_DEP_1)
	v_s_exp_f32 s10, s10
	s_wait_alu 0xf1ff
	v_ldexp_f32 v4, s10, s14
	s_cvt_i32_f32 s10, s15
	s_delay_alu instid0(VALU_DEP_1) | instskip(SKIP_3) | instid1(VALU_DEP_1)
	v_cndmask_b32_e32 v4, 0, v4, vcc_lo
	s_cselect_b32 vcc_lo, -1, 0
	s_cmp_ge_f32 s0, 0xc1a00000
	s_wait_alu 0xfffe
	v_cndmask_b32_e32 v4, 0x7f800000, v4, vcc_lo
	s_cselect_b32 vcc_lo, -1, 0
	s_xor_b32 s0, s12, 0x80000000
	s_cmp_nlt_f32 s9, 0xc2ce8ed0
	s_wait_alu 0xfffe
	s_fmamk_f32 s0, s9, 0x3fb8aa3b, s0
	s_wait_alu 0xfffe
	s_delay_alu instid0(SALU_CYCLE_2) | instskip(SKIP_1) | instid1(SALU_CYCLE_2)
	s_fmamk_f32 s0, s9, 0x32a5705f, s0
	s_wait_alu 0xfffe
	s_add_f32 s0, s13, s0
	s_wait_alu 0xfffe
	s_delay_alu instid0(SALU_CYCLE_2) | instskip(SKIP_1) | instid1(TRANS32_DEP_1)
	v_s_exp_f32 s0, s0
	s_wait_alu 0xf1ff
	v_ldexp_f32 v7, s0, s10
	s_cselect_b32 s0, -1, 0
	s_cmp_ngt_f32 s9, 0x42b17218
	s_wait_alu 0xfffe
	s_delay_alu instid0(VALU_DEP_1) | instskip(SKIP_3) | instid1(VALU_DEP_1)
	v_cndmask_b32_e64 v7, 0, v7, s0
	s_cselect_b32 s0, -1, 0
	s_cmp_ge_f32 s9, 0xc1a00000
	s_wait_alu 0xfffe
	v_cndmask_b32_e64 v7, 0x7f800000, v7, s0
	s_cselect_b32 s0, -1, 0
	s_add_co_i32 s1, s1, -1
	s_sub_co_i32 s4, s4, 32
	s_wait_alu 0xfffe
	s_cmp_le_i32 s1, s8
	v_cndmask_b32_e64 v7, 0, v7, s0
	s_mov_b32 s0, s5
	s_wait_loadcnt 0x0
	s_delay_alu instid0(VALU_DEP_1) | instskip(NEXT) | instid1(VALU_DEP_1)
	v_dual_mul_f32 v5, v0, v7 :: v_dual_cndmask_b32 v4, 0, v4
	v_dual_mul_f32 v8, s11, v7 :: v_dual_fmac_f32 v5, v9, v4
	s_delay_alu instid0(VALU_DEP_1) | instskip(NEXT) | instid1(VALU_DEP_1)
	v_mov_b32_e32 v6, v8
	v_fmac_f32_e32 v6, v10, v4
	s_cbranch_scc0 .LBB28_3
	s_branch .LBB28_5
.LBB28_4:
	s_wait_kmcnt 0x0
	v_mov_b32_e32 v6, s11
.LBB28_5:
	s_wait_loadcnt 0x0
	s_delay_alu instid0(VALU_DEP_1) | instskip(NEXT) | instid1(VALU_DEP_1)
	v_div_scale_f32 v0, null, v6, v6, v5
	v_rcp_f32_e32 v3, v0
	s_delay_alu instid0(TRANS32_DEP_1) | instskip(NEXT) | instid1(VALU_DEP_1)
	v_fma_f32 v4, -v0, v3, 1.0
	v_fmac_f32_e32 v3, v4, v3
	v_div_scale_f32 v4, vcc_lo, v5, v6, v5
	s_delay_alu instid0(VALU_DEP_1) | instskip(NEXT) | instid1(VALU_DEP_1)
	v_mul_f32_e32 v7, v4, v3
	v_fma_f32 v8, -v0, v7, v4
	s_delay_alu instid0(VALU_DEP_1) | instskip(NEXT) | instid1(VALU_DEP_1)
	v_fmac_f32_e32 v7, v8, v3
	v_fma_f32 v0, -v0, v7, v4
	s_wait_alu 0xfffd
	s_delay_alu instid0(VALU_DEP_1) | instskip(NEXT) | instid1(VALU_DEP_1)
	v_div_fmas_f32 v0, v0, v3, v7
	v_div_fixup_f32 v0, v0, v6, v5
	global_store_b32 v[1:2], v0, off
.LBB28_6:
	s_endpgm
	.section	.rodata,"a",@progbits
	.p2align	6, 0x0
	.amdhsa_kernel _ZL33flash_attn_stream_k_fixup_uniformILi256ELi16ELi2EEvPfPK15HIP_vector_typeIfLj2EEiiiiiiS1_IjLj3EES5_S5_
		.amdhsa_group_segment_fixed_size 0
		.amdhsa_private_segment_fixed_size 0
		.amdhsa_kernarg_size 76
		.amdhsa_user_sgpr_count 2
		.amdhsa_user_sgpr_dispatch_ptr 0
		.amdhsa_user_sgpr_queue_ptr 0
		.amdhsa_user_sgpr_kernarg_segment_ptr 1
		.amdhsa_user_sgpr_dispatch_id 0
		.amdhsa_user_sgpr_private_segment_size 0
		.amdhsa_wavefront_size32 1
		.amdhsa_uses_dynamic_stack 0
		.amdhsa_enable_private_segment 0
		.amdhsa_system_sgpr_workgroup_id_x 1
		.amdhsa_system_sgpr_workgroup_id_y 1
		.amdhsa_system_sgpr_workgroup_id_z 1
		.amdhsa_system_sgpr_workgroup_info 0
		.amdhsa_system_vgpr_workitem_id 0
		.amdhsa_next_free_vgpr 11
		.amdhsa_next_free_sgpr 16
		.amdhsa_reserve_vcc 1
		.amdhsa_float_round_mode_32 0
		.amdhsa_float_round_mode_16_64 0
		.amdhsa_float_denorm_mode_32 3
		.amdhsa_float_denorm_mode_16_64 3
		.amdhsa_fp16_overflow 0
		.amdhsa_workgroup_processor_mode 1
		.amdhsa_memory_ordered 1
		.amdhsa_forward_progress 1
		.amdhsa_inst_pref_size 9
		.amdhsa_round_robin_scheduling 0
		.amdhsa_exception_fp_ieee_invalid_op 0
		.amdhsa_exception_fp_denorm_src 0
		.amdhsa_exception_fp_ieee_div_zero 0
		.amdhsa_exception_fp_ieee_overflow 0
		.amdhsa_exception_fp_ieee_underflow 0
		.amdhsa_exception_fp_ieee_inexact 0
		.amdhsa_exception_int_div_zero 0
	.end_amdhsa_kernel
	.section	.text._ZL33flash_attn_stream_k_fixup_uniformILi256ELi16ELi2EEvPfPK15HIP_vector_typeIfLj2EEiiiiiiS1_IjLj3EES5_S5_,"axG",@progbits,_ZL33flash_attn_stream_k_fixup_uniformILi256ELi16ELi2EEvPfPK15HIP_vector_typeIfLj2EEiiiiiiS1_IjLj3EES5_S5_,comdat
.Lfunc_end28:
	.size	_ZL33flash_attn_stream_k_fixup_uniformILi256ELi16ELi2EEvPfPK15HIP_vector_typeIfLj2EEiiiiiiS1_IjLj3EES5_S5_, .Lfunc_end28-_ZL33flash_attn_stream_k_fixup_uniformILi256ELi16ELi2EEvPfPK15HIP_vector_typeIfLj2EEiiiiiiS1_IjLj3EES5_S5_
                                        ; -- End function
	.set _ZL33flash_attn_stream_k_fixup_uniformILi256ELi16ELi2EEvPfPK15HIP_vector_typeIfLj2EEiiiiiiS1_IjLj3EES5_S5_.num_vgpr, 11
	.set _ZL33flash_attn_stream_k_fixup_uniformILi256ELi16ELi2EEvPfPK15HIP_vector_typeIfLj2EEiiiiiiS1_IjLj3EES5_S5_.num_agpr, 0
	.set _ZL33flash_attn_stream_k_fixup_uniformILi256ELi16ELi2EEvPfPK15HIP_vector_typeIfLj2EEiiiiiiS1_IjLj3EES5_S5_.numbered_sgpr, 16
	.set _ZL33flash_attn_stream_k_fixup_uniformILi256ELi16ELi2EEvPfPK15HIP_vector_typeIfLj2EEiiiiiiS1_IjLj3EES5_S5_.num_named_barrier, 0
	.set _ZL33flash_attn_stream_k_fixup_uniformILi256ELi16ELi2EEvPfPK15HIP_vector_typeIfLj2EEiiiiiiS1_IjLj3EES5_S5_.private_seg_size, 0
	.set _ZL33flash_attn_stream_k_fixup_uniformILi256ELi16ELi2EEvPfPK15HIP_vector_typeIfLj2EEiiiiiiS1_IjLj3EES5_S5_.uses_vcc, 1
	.set _ZL33flash_attn_stream_k_fixup_uniformILi256ELi16ELi2EEvPfPK15HIP_vector_typeIfLj2EEiiiiiiS1_IjLj3EES5_S5_.uses_flat_scratch, 0
	.set _ZL33flash_attn_stream_k_fixup_uniformILi256ELi16ELi2EEvPfPK15HIP_vector_typeIfLj2EEiiiiiiS1_IjLj3EES5_S5_.has_dyn_sized_stack, 0
	.set _ZL33flash_attn_stream_k_fixup_uniformILi256ELi16ELi2EEvPfPK15HIP_vector_typeIfLj2EEiiiiiiS1_IjLj3EES5_S5_.has_recursion, 0
	.set _ZL33flash_attn_stream_k_fixup_uniformILi256ELi16ELi2EEvPfPK15HIP_vector_typeIfLj2EEiiiiiiS1_IjLj3EES5_S5_.has_indirect_call, 0
	.section	.AMDGPU.csdata,"",@progbits
; Kernel info:
; codeLenInByte = 1140
; TotalNumSgprs: 18
; NumVgprs: 11
; ScratchSize: 0
; MemoryBound: 0
; FloatMode: 240
; IeeeMode: 1
; LDSByteSize: 0 bytes/workgroup (compile time only)
; SGPRBlocks: 0
; VGPRBlocks: 1
; NumSGPRsForWavesPerEU: 18
; NumVGPRsForWavesPerEU: 11
; Occupancy: 16
; WaveLimiterHint : 0
; COMPUTE_PGM_RSRC2:SCRATCH_EN: 0
; COMPUTE_PGM_RSRC2:USER_SGPR: 2
; COMPUTE_PGM_RSRC2:TRAP_HANDLER: 0
; COMPUTE_PGM_RSRC2:TGID_X_EN: 1
; COMPUTE_PGM_RSRC2:TGID_Y_EN: 1
; COMPUTE_PGM_RSRC2:TGID_Z_EN: 1
; COMPUTE_PGM_RSRC2:TIDIG_COMP_CNT: 0
	.section	.text._ZL33flash_attn_stream_k_fixup_generalILi256ELi16ELi2EEvPfPK15HIP_vector_typeIfLj2EEiiiiS1_IjLj3EES5_S5_S5_,"axG",@progbits,_ZL33flash_attn_stream_k_fixup_generalILi256ELi16ELi2EEvPfPK15HIP_vector_typeIfLj2EEiiiiS1_IjLj3EES5_S5_S5_,comdat
	.globl	_ZL33flash_attn_stream_k_fixup_generalILi256ELi16ELi2EEvPfPK15HIP_vector_typeIfLj2EEiiiiS1_IjLj3EES5_S5_S5_ ; -- Begin function _ZL33flash_attn_stream_k_fixup_generalILi256ELi16ELi2EEvPfPK15HIP_vector_typeIfLj2EEiiiiS1_IjLj3EES5_S5_S5_
	.p2align	8
	.type	_ZL33flash_attn_stream_k_fixup_generalILi256ELi16ELi2EEvPfPK15HIP_vector_typeIfLj2EEiiiiS1_IjLj3EES5_S5_S5_,@function
_ZL33flash_attn_stream_k_fixup_generalILi256ELi16ELi2EEvPfPK15HIP_vector_typeIfLj2EEiiiiS1_IjLj3EES5_S5_S5_: ; @_ZL33flash_attn_stream_k_fixup_generalILi256ELi16ELi2EEvPfPK15HIP_vector_typeIfLj2EEiiiiS1_IjLj3EES5_S5_S5_
; %bb.0:
	s_clause 0x1
	s_load_b128 s[4:7], s[0:1], 0x10
	s_load_b32 s16, s[0:1], 0x50
	s_mov_b32 s2, ttmp9
	s_ashr_i32 s3, ttmp9, 31
	s_mov_b32 s17, 0
	s_delay_alu instid0(SALU_CYCLE_1) | instskip(SKIP_3) | instid1(SALU_CYCLE_1)
	s_mov_b32 s8, s17
	s_wait_kmcnt 0x0
	s_ashr_i32 s19, s7, 31
	s_mov_b32 s18, s7
	s_mul_u64 s[2:3], s[18:19], s[2:3]
	s_delay_alu instid0(SALU_CYCLE_1) | instskip(NEXT) | instid1(SALU_CYCLE_1)
	s_mov_b32 s9, s3
	s_cmp_lg_u64 s[8:9], 0
	s_cbranch_scc0 .LBB29_21
; %bb.1:
	s_add_nc_u64 s[8:9], s[16:17], 0
	s_mov_b32 s15, s17
	s_xor_b64 s[8:9], s[8:9], 0
	s_mov_b32 s23, s17
	s_cvt_f32_u32 s7, s8
	s_cvt_f32_u32 s10, s9
	s_sub_nc_u64 s[12:13], 0, s[8:9]
	s_delay_alu instid0(SALU_CYCLE_2) | instskip(NEXT) | instid1(SALU_CYCLE_3)
	s_fmamk_f32 s7, s10, 0x4f800000, s7
	v_s_rcp_f32 s7, s7
	s_delay_alu instid0(TRANS32_DEP_1) | instskip(SKIP_1) | instid1(SALU_CYCLE_2)
	s_mul_f32 s7, s7, 0x5f7ffffc
	s_wait_alu 0xfffe
	s_mul_f32 s10, s7, 0x2f800000
	s_delay_alu instid0(SALU_CYCLE_3) | instskip(NEXT) | instid1(SALU_CYCLE_3)
	s_trunc_f32 s10, s10
	s_fmamk_f32 s7, s10, 0xcf800000, s7
	s_cvt_u32_f32 s11, s10
	s_wait_alu 0xfffe
	s_delay_alu instid0(SALU_CYCLE_1) | instskip(NEXT) | instid1(SALU_CYCLE_3)
	s_cvt_u32_f32 s10, s7
	s_mul_u64 s[20:21], s[12:13], s[10:11]
	s_delay_alu instid0(SALU_CYCLE_1)
	s_mul_hi_u32 s25, s10, s21
	s_mul_i32 s24, s10, s21
	s_mul_hi_u32 s14, s10, s20
	s_mul_i32 s22, s11, s20
	s_add_nc_u64 s[14:15], s[14:15], s[24:25]
	s_mul_hi_u32 s7, s11, s20
	s_mul_hi_u32 s26, s11, s21
	s_add_co_u32 s14, s14, s22
	s_wait_alu 0xfffe
	s_add_co_ci_u32 s22, s15, s7
	s_mul_i32 s20, s11, s21
	s_add_co_ci_u32 s21, s26, 0
	s_delay_alu instid0(SALU_CYCLE_1)
	s_add_nc_u64 s[14:15], s[22:23], s[20:21]
	s_mov_b32 s21, s17
	s_add_co_u32 s10, s10, s14
	s_cselect_b32 s7, -1, 0
	s_wait_alu 0xfffe
	s_cmp_lg_u32 s7, 0
	s_add_co_ci_u32 s11, s11, s15
	s_mov_b32 s15, s17
	s_mul_u64 s[12:13], s[12:13], s[10:11]
	s_delay_alu instid0(SALU_CYCLE_1)
	s_mul_hi_u32 s23, s10, s13
	s_mul_i32 s22, s10, s13
	s_mul_hi_u32 s14, s10, s12
	s_mul_i32 s20, s11, s12
	s_add_nc_u64 s[14:15], s[14:15], s[22:23]
	s_mul_hi_u32 s7, s11, s12
	s_mul_hi_u32 s24, s11, s13
	s_mul_i32 s12, s11, s13
	s_add_co_u32 s13, s14, s20
	s_wait_alu 0xfffe
	s_add_co_ci_u32 s20, s15, s7
	s_add_co_ci_u32 s13, s24, 0
	s_mov_b32 s15, s17
	s_add_nc_u64 s[12:13], s[20:21], s[12:13]
	s_delay_alu instid0(SALU_CYCLE_1) | instskip(SKIP_1) | instid1(SALU_CYCLE_1)
	s_add_co_u32 s7, s10, s12
	s_cselect_b32 s10, -1, 0
	s_cmp_lg_u32 s10, 0
	s_add_co_ci_u32 s20, s11, s13
	s_ashr_i32 s10, s3, 31
	s_delay_alu instid0(SALU_CYCLE_1) | instskip(NEXT) | instid1(SALU_CYCLE_1)
	s_mov_b32 s11, s10
	s_add_nc_u64 s[12:13], s[2:3], s[10:11]
	s_delay_alu instid0(SALU_CYCLE_1) | instskip(NEXT) | instid1(SALU_CYCLE_1)
	s_xor_b64 s[12:13], s[12:13], s[10:11]
	s_mul_hi_u32 s23, s12, s20
	s_mul_i32 s22, s12, s20
	s_wait_alu 0xfffe
	s_mul_hi_u32 s14, s12, s7
	s_mul_hi_u32 s24, s13, s7
	s_mul_i32 s7, s13, s7
	s_add_nc_u64 s[14:15], s[14:15], s[22:23]
	s_mul_hi_u32 s3, s13, s20
	s_wait_alu 0xfffe
	s_add_co_u32 s7, s14, s7
	s_mul_i32 s22, s13, s20
	s_add_co_ci_u32 s20, s15, s24
	s_add_co_ci_u32 s23, s3, 0
	s_delay_alu instid0(SALU_CYCLE_1) | instskip(NEXT) | instid1(SALU_CYCLE_1)
	s_add_nc_u64 s[14:15], s[20:21], s[22:23]
	s_mul_u64 s[20:21], s[8:9], s[14:15]
	s_delay_alu instid0(SALU_CYCLE_1)
	s_sub_co_u32 s3, s12, s20
	s_cselect_b32 s7, -1, 0
	s_sub_co_i32 s12, s13, s21
	s_wait_alu 0xfffe
	s_cmp_lg_u32 s7, 0
	s_sub_co_ci_u32 s12, s12, s9
	s_sub_co_u32 s20, s3, s8
	s_cselect_b32 s22, -1, 0
	s_delay_alu instid0(SALU_CYCLE_1) | instskip(SKIP_2) | instid1(SALU_CYCLE_1)
	s_cmp_lg_u32 s22, 0
	s_add_nc_u64 s[22:23], s[14:15], 1
	s_sub_co_ci_u32 s12, s12, 0
	s_cmp_ge_u32 s12, s9
	s_cselect_b32 s24, -1, 0
	s_cmp_ge_u32 s20, s8
	s_cselect_b32 s20, -1, 0
	s_cmp_eq_u32 s12, s9
	s_cselect_b32 s12, s20, s24
	s_add_nc_u64 s[24:25], s[14:15], 2
	s_cmp_lg_u32 s12, 0
	s_cselect_b32 s12, s24, s22
	s_cselect_b32 s20, s25, s23
	s_cmp_lg_u32 s7, 0
	s_sub_co_ci_u32 s7, s13, s21
	s_wait_alu 0xfffe
	s_cmp_ge_u32 s7, s9
	s_cselect_b32 s13, -1, 0
	s_cmp_ge_u32 s3, s8
	s_cselect_b32 s3, -1, 0
	s_cmp_eq_u32 s7, s9
	s_cselect_b32 s3, s3, s13
	s_delay_alu instid0(SALU_CYCLE_1) | instskip(SKIP_4) | instid1(SALU_CYCLE_1)
	s_cmp_lg_u32 s3, 0
	s_mov_b32 s3, s17
	s_cselect_b32 s9, s20, s15
	s_cselect_b32 s8, s12, s14
	s_xor_b64 s[10:11], s[10:11], 0
	s_xor_b64 s[8:9], s[8:9], s[10:11]
	s_delay_alu instid0(SALU_CYCLE_1)
	s_sub_nc_u64 s[20:21], s[8:9], s[10:11]
	s_and_not1_b32 vcc_lo, exec_lo, s3
	s_cbranch_vccnz .LBB29_3
.LBB29_2:
	v_cvt_f32_u32_e32 v1, s16
	s_sub_co_i32 s7, 0, s16
	s_delay_alu instid0(VALU_DEP_1) | instskip(NEXT) | instid1(TRANS32_DEP_1)
	v_rcp_iflag_f32_e32 v1, v1
	v_mul_f32_e32 v1, 0x4f7ffffe, v1
	s_delay_alu instid0(VALU_DEP_1) | instskip(NEXT) | instid1(VALU_DEP_1)
	v_cvt_u32_f32_e32 v1, v1
	v_readfirstlane_b32 s3, v1
	s_wait_alu 0xfffe
	s_mul_i32 s7, s7, s3
	s_wait_alu 0xfffe
	s_mul_hi_u32 s7, s3, s7
	s_wait_alu 0xfffe
	s_add_co_i32 s3, s3, s7
	s_delay_alu instid0(SALU_CYCLE_1) | instskip(NEXT) | instid1(SALU_CYCLE_1)
	s_mul_hi_u32 s3, s2, s3
	s_mul_i32 s7, s3, s16
	s_wait_alu 0xfffe
	s_sub_co_i32 s2, s2, s7
	s_add_co_i32 s7, s3, 1
	s_sub_co_i32 s8, s2, s16
	s_cmp_ge_u32 s2, s16
	s_wait_alu 0xfffe
	s_cselect_b32 s3, s7, s3
	s_cselect_b32 s2, s8, s2
	s_add_co_i32 s7, s3, 1
	s_cmp_ge_u32 s2, s16
	s_wait_alu 0xfffe
	s_cselect_b32 s20, s7, s3
.LBB29_3:
	s_add_co_i32 s2, ttmp9, 1
	s_mov_b32 s8, 0
	s_ashr_i32 s3, s2, 31
	s_delay_alu instid0(SALU_CYCLE_1) | instskip(NEXT) | instid1(SALU_CYCLE_1)
	s_mul_u64 s[2:3], s[18:19], s[2:3]
	s_mov_b32 s9, s3
	s_delay_alu instid0(SALU_CYCLE_1)
	s_cmp_lg_u64 s[8:9], 0
	s_cbranch_scc0 .LBB29_22
; %bb.4:
	s_add_nc_u64 s[10:11], s[16:17], 0
	s_mov_b32 s23, s8
	s_xor_b64 s[10:11], s[10:11], 0
	s_mov_b32 s27, s8
	s_cvt_f32_u32 s7, s10
	s_cvt_f32_u32 s9, s11
	s_sub_nc_u64 s[14:15], 0, s[10:11]
	s_wait_alu 0xfffe
	s_delay_alu instid0(SALU_CYCLE_1) | instskip(SKIP_1) | instid1(SALU_CYCLE_2)
	s_fmamk_f32 s7, s9, 0x4f800000, s7
	s_wait_alu 0xfffe
	v_s_rcp_f32 s7, s7
	s_delay_alu instid0(TRANS32_DEP_1) | instskip(SKIP_1) | instid1(SALU_CYCLE_2)
	s_mul_f32 s7, s7, 0x5f7ffffc
	s_wait_alu 0xfffe
	s_mul_f32 s9, s7, 0x2f800000
	s_delay_alu instid0(SALU_CYCLE_3) | instskip(NEXT) | instid1(SALU_CYCLE_3)
	s_trunc_f32 s9, s9
	s_fmamk_f32 s7, s9, 0xcf800000, s7
	s_cvt_u32_f32 s13, s9
	s_wait_alu 0xfffe
	s_delay_alu instid0(SALU_CYCLE_1) | instskip(NEXT) | instid1(SALU_CYCLE_3)
	s_cvt_u32_f32 s12, s7
	s_mul_u64 s[24:25], s[14:15], s[12:13]
	s_delay_alu instid0(SALU_CYCLE_1)
	s_mul_hi_u32 s29, s12, s25
	s_mul_i32 s28, s12, s25
	s_mul_hi_u32 s22, s12, s24
	s_mul_i32 s9, s13, s24
	s_add_nc_u64 s[22:23], s[22:23], s[28:29]
	s_mul_hi_u32 s7, s13, s24
	s_mul_hi_u32 s21, s13, s25
	s_add_co_u32 s9, s22, s9
	s_wait_alu 0xfffe
	s_add_co_ci_u32 s26, s23, s7
	s_mul_i32 s24, s13, s25
	s_add_co_ci_u32 s25, s21, 0
	s_delay_alu instid0(SALU_CYCLE_1)
	s_add_nc_u64 s[22:23], s[26:27], s[24:25]
	s_mov_b32 s25, s8
	s_add_co_u32 s12, s12, s22
	s_cselect_b32 s7, -1, 0
	s_wait_alu 0xfffe
	s_cmp_lg_u32 s7, 0
	s_add_co_ci_u32 s13, s13, s23
	s_mov_b32 s23, s8
	s_mul_u64 s[14:15], s[14:15], s[12:13]
	s_delay_alu instid0(SALU_CYCLE_1)
	s_mul_hi_u32 s27, s12, s15
	s_mul_i32 s26, s12, s15
	s_mul_hi_u32 s22, s12, s14
	s_mul_i32 s9, s13, s14
	s_add_nc_u64 s[22:23], s[22:23], s[26:27]
	s_mul_hi_u32 s7, s13, s14
	s_mul_hi_u32 s21, s13, s15
	s_add_co_u32 s9, s22, s9
	s_wait_alu 0xfffe
	s_add_co_ci_u32 s24, s23, s7
	s_mul_i32 s14, s13, s15
	s_add_co_ci_u32 s15, s21, 0
	s_mov_b32 s23, s8
	s_add_nc_u64 s[14:15], s[24:25], s[14:15]
	s_delay_alu instid0(SALU_CYCLE_1) | instskip(SKIP_1) | instid1(SALU_CYCLE_1)
	s_add_co_u32 s7, s12, s14
	s_cselect_b32 s9, -1, 0
	s_cmp_lg_u32 s9, 0
	s_add_co_ci_u32 s9, s13, s15
	s_ashr_i32 s12, s3, 31
	s_delay_alu instid0(SALU_CYCLE_1) | instskip(NEXT) | instid1(SALU_CYCLE_1)
	s_mov_b32 s13, s12
	s_add_nc_u64 s[14:15], s[2:3], s[12:13]
	s_delay_alu instid0(SALU_CYCLE_1) | instskip(NEXT) | instid1(SALU_CYCLE_1)
	s_xor_b64 s[14:15], s[14:15], s[12:13]
	s_mul_hi_u32 s27, s14, s9
	s_mul_i32 s26, s14, s9
	s_wait_alu 0xfffe
	s_mul_hi_u32 s22, s14, s7
	s_mul_hi_u32 s21, s15, s7
	s_mul_i32 s7, s15, s7
	s_add_nc_u64 s[22:23], s[22:23], s[26:27]
	s_mul_hi_u32 s3, s15, s9
	s_wait_alu 0xfffe
	s_add_co_u32 s7, s22, s7
	s_add_co_ci_u32 s24, s23, s21
	s_mul_i32 s26, s15, s9
	s_add_co_ci_u32 s27, s3, 0
	s_delay_alu instid0(SALU_CYCLE_1) | instskip(NEXT) | instid1(SALU_CYCLE_1)
	s_add_nc_u64 s[22:23], s[24:25], s[26:27]
	s_mul_u64 s[24:25], s[10:11], s[22:23]
	s_add_nc_u64 s[26:27], s[22:23], 1
	s_sub_co_u32 s3, s14, s24
	s_cselect_b32 s7, -1, 0
	s_sub_co_i32 s9, s15, s25
	s_wait_alu 0xfffe
	s_cmp_lg_u32 s7, 0
	s_add_nc_u64 s[28:29], s[22:23], 2
	s_sub_co_ci_u32 s9, s9, s11
	s_sub_co_u32 s14, s3, s10
	s_cselect_b32 s21, -1, 0
	s_delay_alu instid0(SALU_CYCLE_1) | instskip(SKIP_1) | instid1(SALU_CYCLE_1)
	s_cmp_lg_u32 s21, 0
	s_sub_co_ci_u32 s9, s9, 0
	s_cmp_ge_u32 s9, s11
	s_cselect_b32 s21, -1, 0
	s_cmp_ge_u32 s14, s10
	s_cselect_b32 s14, -1, 0
	s_cmp_eq_u32 s9, s11
	s_cselect_b32 s9, s14, s21
	s_delay_alu instid0(SALU_CYCLE_1)
	s_cmp_lg_u32 s9, 0
	s_cselect_b32 s9, s28, s26
	s_cselect_b32 s14, s29, s27
	s_cmp_lg_u32 s7, 0
	s_sub_co_ci_u32 s7, s15, s25
	s_wait_alu 0xfffe
	s_cmp_ge_u32 s7, s11
	s_cselect_b32 s15, -1, 0
	s_cmp_ge_u32 s3, s10
	s_cselect_b32 s3, -1, 0
	s_cmp_eq_u32 s7, s11
	s_cselect_b32 s3, s3, s15
	s_delay_alu instid0(SALU_CYCLE_1) | instskip(SKIP_3) | instid1(SALU_CYCLE_1)
	s_cmp_lg_u32 s3, 0
	s_cselect_b32 s11, s14, s23
	s_cselect_b32 s10, s9, s22
	s_xor_b64 s[12:13], s[12:13], 0
	s_xor_b64 s[10:11], s[10:11], s[12:13]
	s_delay_alu instid0(SALU_CYCLE_1)
	s_sub_nc_u64 s[10:11], s[10:11], s[12:13]
	s_load_b96 s[12:14], s[0:1], 0x44
	s_and_not1_b32 vcc_lo, exec_lo, s8
	s_cbranch_vccnz .LBB29_6
.LBB29_5:
	v_cvt_f32_u32_e32 v1, s16
	s_sub_co_i32 s7, 0, s16
	s_delay_alu instid0(VALU_DEP_1) | instskip(NEXT) | instid1(TRANS32_DEP_1)
	v_rcp_iflag_f32_e32 v1, v1
	v_mul_f32_e32 v1, 0x4f7ffffe, v1
	s_delay_alu instid0(VALU_DEP_1) | instskip(NEXT) | instid1(VALU_DEP_1)
	v_cvt_u32_f32_e32 v1, v1
	v_readfirstlane_b32 s3, v1
	s_wait_alu 0xfffe
	s_mul_i32 s7, s7, s3
	s_wait_alu 0xfffe
	s_mul_hi_u32 s7, s3, s7
	s_wait_alu 0xfffe
	s_add_co_i32 s3, s3, s7
	s_delay_alu instid0(SALU_CYCLE_1) | instskip(NEXT) | instid1(SALU_CYCLE_1)
	s_mul_hi_u32 s3, s2, s3
	s_mul_i32 s7, s3, s16
	s_wait_alu 0xfffe
	s_sub_co_i32 s2, s2, s7
	s_add_co_i32 s7, s3, 1
	s_sub_co_i32 s8, s2, s16
	s_cmp_ge_u32 s2, s16
	s_wait_alu 0xfffe
	s_cselect_b32 s3, s7, s3
	s_cselect_b32 s2, s8, s2
	s_add_co_i32 s7, s3, 1
	s_cmp_ge_u32 s2, s16
	s_wait_alu 0xfffe
	s_cselect_b32 s10, s7, s3
.LBB29_6:
	s_mov_b32 s21, 0
	s_wait_kmcnt 0x0
	s_mov_b32 s22, s12
	s_mov_b32 s23, s21
	s_cmp_eq_u32 s20, s10
	s_mul_u64 s[2:3], s[20:21], s[22:23]
	s_cselect_b32 s7, -1, 0
	s_add_co_i32 s2, s3, s20
	s_mov_b32 s11, s21
	s_lshr_b32 s12, s2, s13
	s_mul_u64 s[2:3], s[10:11], s[22:23]
	s_mul_i32 s2, s12, s14
	s_delay_alu instid0(SALU_CYCLE_1) | instskip(SKIP_2) | instid1(SALU_CYCLE_1)
	s_cmp_eq_u32 s2, s20
	s_cselect_b32 s2, -1, 0
	s_add_co_i32 s3, s3, s10
	s_lshr_b32 s3, s3, s13
	s_delay_alu instid0(SALU_CYCLE_1)
	s_cmp_eq_u32 s12, s3
	s_mul_i32 s3, s3, s14
	s_cselect_b32 s8, -1, 0
	s_cmp_lg_u32 s3, s10
	s_cselect_b32 s3, -1, 0
	s_wait_alu 0xfffe
	s_or_b32 s2, s7, s2
	s_and_b32 s3, s8, s3
	s_delay_alu instid0(SALU_CYCLE_1) | instskip(NEXT) | instid1(SALU_CYCLE_1)
	s_or_b32 s2, s2, s3
	s_and_b32 vcc_lo, exec_lo, s2
	s_cbranch_vccnz .LBB29_24
; %bb.7:
	s_load_b256 s[24:31], s[0:1], 0x20
	s_mov_b32 s3, s21
	s_wait_kmcnt 0x0
	s_mov_b32 s2, s24
	s_delay_alu instid0(SALU_CYCLE_1) | instskip(NEXT) | instid1(SALU_CYCLE_1)
	s_mul_u64 s[2:3], s[20:21], s[2:3]
	s_add_co_i32 s2, s3, s20
	s_delay_alu instid0(SALU_CYCLE_1) | instskip(SKIP_2) | instid1(SALU_CYCLE_1)
	s_lshr_b32 s7, s2, s25
	s_load_b32 s2, s[0:1], 0x40
	s_mul_i32 s3, s7, s26
	s_sub_co_i32 s3, s20, s3
	s_delay_alu instid0(SALU_CYCLE_1) | instskip(NEXT) | instid1(SALU_CYCLE_1)
	s_mul_hi_u32 s8, s3, s27
	s_add_co_i32 s8, s3, s8
	s_delay_alu instid0(SALU_CYCLE_1) | instskip(NEXT) | instid1(SALU_CYCLE_1)
	s_lshr_b32 s8, s8, s28
	s_mul_i32 s9, s8, s29
	s_delay_alu instid0(SALU_CYCLE_1) | instskip(NEXT) | instid1(SALU_CYCLE_1)
	s_sub_co_i32 s9, s3, s9
	s_mul_hi_u32 s3, s9, s30
	s_delay_alu instid0(SALU_CYCLE_1) | instskip(NEXT) | instid1(SALU_CYCLE_1)
	s_add_co_i32 s3, s9, s3
	s_lshr_b32 s24, s3, s31
	s_mov_b32 s3, s21
	s_wait_kmcnt 0x0
	s_mul_i32 s2, s24, s2
	s_lshl_b32 s21, s24, 1
	s_sub_co_i32 s2, s9, s2
	s_delay_alu instid0(SALU_CYCLE_1) | instskip(SKIP_2) | instid1(SALU_CYCLE_1)
	s_mul_u64 s[10:11], s[2:3], s[22:23]
	s_lshr_b32 s3, ttmp7, 16
	s_add_co_i32 s2, s2, s11
	s_lshr_b32 s15, s2, s13
	s_and_b32 s2, ttmp7, 0xffff
	s_lshl_b32 s9, s15, 4
	s_delay_alu instid0(SALU_CYCLE_1) | instskip(NEXT) | instid1(SALU_CYCLE_1)
	s_add_co_i32 s9, s9, s2
	s_cmp_lt_i32 s9, s4
	s_cselect_b32 s9, -1, 0
	s_add_co_i32 s10, s21, s3
	s_delay_alu instid0(SALU_CYCLE_1) | instskip(SKIP_1) | instid1(SALU_CYCLE_1)
	s_cmp_lt_i32 s10, s6
	s_cselect_b32 s10, -1, 0
	s_and_b32 s9, s9, s10
	s_delay_alu instid0(SALU_CYCLE_1)
	s_and_not1_b32 vcc_lo, exec_lo, s9
	s_cbranch_vccnz .LBB29_24
; %bb.8:
	s_mul_i32 s4, s7, s4
	s_mul_i32 s6, s8, s6
	s_add_co_i32 s4, s4, s2
	s_load_b128 s[8:11], s[0:1], 0x0
	s_mul_i32 s4, s4, s5
	s_mul_i32 s1, s5, s15
	s_add_co_i32 s4, s4, s3
	s_lshl_b32 s1, s1, 12
	s_add_co_i32 s0, s4, s6
	s_lshl_b32 s15, s2, 1
	s_add_co_i32 s0, s0, s21
	s_add_co_i32 s15, s15, s3
	s_lshl_b32 s0, s0, 8
	v_cvt_f32_u32_e32 v4, s16
	s_add_co_i32 s1, s1, s0
	s_add_co_i32 s34, ttmp9, -1
	v_or_b32_e32 v1, s1, v0
	s_add_nc_u64 s[0:1], s[16:17], 0
	v_rcp_iflag_f32_e32 v4, v4
	s_wait_alu 0xfffe
	s_xor_b64 s[6:7], s[0:1], 0
	s_lshl_b32 s0, ttmp9, 5
	v_ashrrev_i32_e32 v2, 31, v1
	s_wait_alu 0xfffe
	s_cvt_f32_u32 s1, s6
	s_cvt_f32_u32 s2, s7
	s_add_co_i32 s0, s15, s0
	v_lshl_or_b32 v0, s15, 8, v0
	v_lshlrev_b64_e32 v[1:2], 2, v[1:2]
	s_wait_alu 0xfffe
	s_fmamk_f32 s2, s2, 0x4f800000, s1
	s_ashr_i32 s1, s0, 31
	s_sub_nc_u64 s[30:31], 0, s[6:7]
	s_wait_alu 0xfffe
	s_lshl_b64 s[0:1], s[0:1], 3
	v_s_rcp_f32 s2, s2
	s_wait_kmcnt 0x0
	v_add_co_u32 v1, vcc_lo, s8, v1
	s_delay_alu instid0(VALU_DEP_1)
	v_add_co_ci_u32_e64 v2, null, s9, v2, vcc_lo
	s_wait_alu 0xfffe
	s_add_nc_u64 s[0:1], s[10:11], s[0:1]
	s_mov_b32 s8, 0
	s_load_b64 s[26:27], s[0:1], 0x0
	global_load_b32 v3, v[1:2], off
	s_mul_f32 s2, s2, 0x5f7ffffc
	v_mul_f32_e32 v4, 0x4f7ffffe, v4
	s_lshl_b32 s0, s16, 7
	s_wait_alu 0xfffe
	s_mul_f32 s1, s2, 0x2f800000
	s_wait_alu 0xfffe
	s_delay_alu instid0(SALU_CYCLE_2)
	s_trunc_f32 s3, s1
	s_mov_b32 s1, s8
	s_wait_alu 0xfffe
	s_lshl_b64 s[0:1], s[0:1], 2
	s_fmamk_f32 s2, s3, 0xcf800000, s2
	s_cvt_u32_f32 s29, s3
	s_wait_alu 0xfffe
	s_add_nc_u64 s[24:25], s[10:11], s[0:1]
	s_cvt_u32_f32 s28, s2
	s_wait_kmcnt 0x0
	v_mov_b32_e32 v5, s27
	v_cvt_u32_f32_e32 v4, v4
.LBB29_9:                               ; =>This Inner Loop Header: Depth=1
	s_wait_alu 0xfffe
	s_ashr_i32 s35, s34, 31
	s_mov_b32 s2, -1
	s_wait_alu 0xfffe
	s_mul_u64 s[0:1], s[34:35], s[18:19]
                                        ; implicit-def: $sgpr38_sgpr39
	s_wait_alu 0xfffe
	s_mov_b32 s9, s1
	s_wait_alu 0xfffe
	s_cmp_lg_u64 s[8:9], 0
	s_cbranch_scc0 .LBB29_11
; %bb.10:                               ;   in Loop: Header=BB29_9 Depth=1
	s_mul_u64 s[2:3], s[30:31], s[28:29]
	s_mov_b32 s37, s8
	s_wait_alu 0xfffe
	s_mul_hi_u32 s5, s28, s3
	s_mul_i32 s4, s28, s3
	s_mul_hi_u32 s36, s28, s2
	s_mul_hi_u32 s9, s29, s2
	s_wait_alu 0xfffe
	s_add_nc_u64 s[4:5], s[36:37], s[4:5]
	s_mul_i32 s2, s29, s2
	s_mul_hi_u32 s17, s29, s3
	s_wait_alu 0xfffe
	s_add_co_u32 s2, s4, s2
	s_add_co_ci_u32 s2, s5, s9
	s_add_co_ci_u32 s5, s17, 0
	s_mul_i32 s4, s29, s3
	s_mov_b32 s3, s8
	s_mov_b32 s39, s8
	s_wait_alu 0xfffe
	s_add_nc_u64 s[2:3], s[2:3], s[4:5]
	s_wait_alu 0xfffe
	s_add_co_u32 s2, s28, s2
	s_cselect_b32 s4, -1, 0
	s_wait_alu 0xfffe
	s_cmp_lg_u32 s4, 0
	s_add_co_ci_u32 s3, s29, s3
	s_wait_alu 0xfffe
	s_mul_u64 s[4:5], s[30:31], s[2:3]
	s_wait_alu 0xfffe
	s_mul_hi_u32 s37, s2, s5
	s_mul_i32 s36, s2, s5
	s_mul_hi_u32 s38, s2, s4
	s_mul_hi_u32 s9, s3, s4
	s_mul_i32 s4, s3, s4
	s_wait_alu 0xfffe
	s_add_nc_u64 s[36:37], s[38:39], s[36:37]
	s_mul_hi_u32 s17, s3, s5
	s_wait_alu 0xfffe
	s_add_co_u32 s4, s36, s4
	s_add_co_ci_u32 s4, s37, s9
	s_add_co_ci_u32 s37, s17, 0
	s_mul_i32 s36, s3, s5
	s_mov_b32 s5, s8
	s_wait_alu 0xfffe
	s_add_nc_u64 s[4:5], s[4:5], s[36:37]
	s_mov_b32 s37, s8
	s_wait_alu 0xfffe
	s_add_co_u32 s9, s2, s4
	s_cselect_b32 s2, -1, 0
	s_wait_alu 0xfffe
	s_cmp_lg_u32 s2, 0
	s_add_co_ci_u32 s17, s3, s5
	s_ashr_i32 s2, s1, 31
	s_wait_alu 0xfffe
	s_mov_b32 s3, s2
	s_wait_alu 0xfffe
	s_add_nc_u64 s[4:5], s[0:1], s[2:3]
	s_wait_alu 0xfffe
	s_xor_b64 s[4:5], s[4:5], s[2:3]
	s_wait_alu 0xfffe
	s_mul_hi_u32 s39, s4, s17
	s_mul_i32 s38, s4, s17
	s_mul_hi_u32 s36, s4, s9
	s_mul_i32 s21, s5, s9
	s_wait_alu 0xfffe
	s_add_nc_u64 s[36:37], s[36:37], s[38:39]
	s_mul_hi_u32 s9, s5, s9
	s_mul_hi_u32 s1, s5, s17
	s_wait_alu 0xfffe
	s_add_co_u32 s21, s36, s21
	s_add_co_ci_u32 s36, s37, s9
	s_add_co_ci_u32 s39, s1, 0
	s_mul_i32 s38, s5, s17
	s_mov_b32 s37, s8
	s_wait_alu 0xfffe
	s_add_nc_u64 s[36:37], s[36:37], s[38:39]
	s_wait_alu 0xfffe
	s_mul_u64 s[38:39], s[6:7], s[36:37]
	s_add_nc_u64 s[40:41], s[36:37], 1
	s_sub_co_u32 s1, s4, s38
	s_cselect_b32 s4, -1, 0
	s_sub_co_i32 s9, s5, s39
	s_wait_alu 0xfffe
	s_cmp_lg_u32 s4, 0
	s_add_nc_u64 s[42:43], s[36:37], 2
	s_sub_co_ci_u32 s9, s9, s7
	s_sub_co_u32 s17, s1, s6
	s_cselect_b32 s21, -1, 0
	s_delay_alu instid0(SALU_CYCLE_1)
	s_cmp_lg_u32 s21, 0
	s_wait_alu 0xfffe
	s_sub_co_ci_u32 s9, s9, 0
	s_wait_alu 0xfffe
	s_cmp_ge_u32 s9, s7
	s_cselect_b32 s21, -1, 0
	s_cmp_ge_u32 s17, s6
	s_cselect_b32 s17, -1, 0
	s_cmp_eq_u32 s9, s7
	s_wait_alu 0xfffe
	s_cselect_b32 s9, s17, s21
	s_wait_alu 0xfffe
	s_cmp_lg_u32 s9, 0
	s_cselect_b32 s9, s42, s40
	s_cselect_b32 s17, s43, s41
	s_cmp_lg_u32 s4, 0
	s_sub_co_ci_u32 s4, s5, s39
	s_wait_alu 0xfffe
	s_cmp_ge_u32 s4, s7
	s_cselect_b32 s5, -1, 0
	s_cmp_ge_u32 s1, s6
	s_cselect_b32 s1, -1, 0
	s_cmp_eq_u32 s4, s7
	s_wait_alu 0xfffe
	s_cselect_b32 s1, s1, s5
	s_wait_alu 0xfffe
	s_cmp_lg_u32 s1, 0
	s_cselect_b32 s5, s17, s37
	s_cselect_b32 s4, s9, s36
	s_xor_b64 s[2:3], s[2:3], 0
	s_wait_alu 0xfffe
	s_xor_b64 s[4:5], s[4:5], s[2:3]
	s_wait_alu 0xfffe
	s_sub_nc_u64 s[38:39], s[4:5], s[2:3]
	s_mov_b32 s2, 0
.LBB29_11:                              ;   in Loop: Header=BB29_9 Depth=1
	s_wait_alu 0xfffe
	s_and_not1_b32 vcc_lo, exec_lo, s2
	s_wait_alu 0xfffe
	s_cbranch_vccnz .LBB29_13
; %bb.12:                               ;   in Loop: Header=BB29_9 Depth=1
	v_readfirstlane_b32 s1, v4
	s_sub_co_i32 s2, 0, s16
	s_wait_alu 0xfffe
	s_mul_i32 s2, s2, s1
	s_wait_alu 0xfffe
	s_mul_hi_u32 s2, s1, s2
	s_wait_alu 0xfffe
	s_add_co_i32 s1, s1, s2
	s_wait_alu 0xfffe
	s_mul_hi_u32 s1, s0, s1
	s_wait_alu 0xfffe
	s_mul_i32 s2, s1, s16
	s_wait_alu 0xfffe
	s_sub_co_i32 s0, s0, s2
	s_add_co_i32 s2, s1, 1
	s_wait_alu 0xfffe
	s_sub_co_i32 s3, s0, s16
	s_cmp_ge_u32 s0, s16
	s_cselect_b32 s1, s2, s1
	s_wait_alu 0xfffe
	s_cselect_b32 s0, s3, s0
	s_add_co_i32 s2, s1, 1
	s_wait_alu 0xfffe
	s_cmp_ge_u32 s0, s16
	s_cselect_b32 s38, s2, s1
.LBB29_13:                              ;   in Loop: Header=BB29_9 Depth=1
	v_readfirstlane_b32 s9, v0
	s_cmp_lg_u32 s20, s38
	s_mov_b32 s0, -1
                                        ; implicit-def: $sgpr21
                                        ; implicit-def: $vgpr6
                                        ; implicit-def: $vgpr7
                                        ; implicit-def: $sgpr17
                                        ; implicit-def: $sgpr27
	s_cbranch_scc1 .LBB29_16
; %bb.14:                               ;   in Loop: Header=BB29_9 Depth=1
	s_wait_alu 0xfffe
	s_and_not1_b32 vcc_lo, exec_lo, s0
	s_wait_alu 0xfffe
	s_cbranch_vccz .LBB29_19
.LBB29_15:                              ;   in Loop: Header=BB29_9 Depth=1
	s_and_not1_b32 vcc_lo, exec_lo, s21
	s_wait_alu 0xfffe
	s_cbranch_vccnz .LBB29_20
	s_branch .LBB29_23
.LBB29_16:                              ;   in Loop: Header=BB29_9 Depth=1
	s_add_co_i32 s0, s34, s16
	s_mov_b32 s1, s8
	s_wait_alu 0xfffe
	s_lshl_b32 s0, s0, 5
	v_max_num_f32_e64 v6, s26, s26
	s_wait_alu 0xfffe
	s_add_co_i32 s0, s0, s15
	s_mov_b32 s39, s8
	s_wait_alu 0xfffe
	s_lshl_b64 s[0:1], s[0:1], 3
	s_mul_u64 s[40:41], s[38:39], s[22:23]
	s_wait_alu 0xfffe
	s_add_nc_u64 s[0:1], s[10:11], s[0:1]
	s_mov_b32 s27, s20
	s_load_b64 s[36:37], s[0:1], 0x0
	v_readfirstlane_b32 s0, v6
	s_wait_kmcnt 0x0
	v_max_num_f32_e64 v7, s36, s36
	s_delay_alu instid0(VALU_DEP_1) | instskip(SKIP_2) | instid1(SALU_CYCLE_2)
	v_readfirstlane_b32 s1, v7
	s_max_num_f32 s9, s0, s1
	s_wait_alu 0xfffe
	s_sub_f32 s33, s26, s9
	s_sub_f32 s35, s36, s9
	s_wait_alu 0xfffe
	s_delay_alu instid0(SALU_CYCLE_1)
	s_cmp_nlt_f32 s33, 0xc2ce8ed0
	s_cselect_b32 s0, -1, 0
	s_cmp_ngt_f32 s33, 0x42b17218
	s_cselect_b32 s1, -1, 0
	s_cmp_ge_f32 s33, 0xc1a00000
	s_cselect_b32 s2, -1, 0
	s_cmp_nlt_f32 s35, 0xc2ce8ed0
	s_cselect_b32 s3, -1, 0
	s_cmp_ngt_f32 s35, 0x42b17218
	s_cselect_b32 s4, -1, 0
	s_cmp_ge_f32 s35, 0xc1a00000
	s_cselect_b32 s5, -1, 0
	s_add_co_i32 s17, s41, s38
	s_wait_alu 0xfffe
	s_lshr_b32 s17, s17, s13
	s_wait_alu 0xfffe
	s_mul_i32 s21, s17, s14
	s_delay_alu instid0(SALU_CYCLE_1)
	s_cmp_eq_u32 s21, s38
	s_cselect_b32 s21, -1, 0
	s_cmp_lt_u32 s17, s12
	s_cselect_b32 s17, -1, 0
	s_wait_alu 0xfffe
	s_or_b32 s17, s17, s21
	s_mov_b32 s21, -1
	s_wait_alu 0xfffe
	s_and_b32 vcc_lo, exec_lo, s17
	s_mov_b32 s17, s34
	s_wait_alu 0xfffe
	s_cbranch_vccnz .LBB29_18
; %bb.17:                               ;   in Loop: Header=BB29_9 Depth=1
	s_add_co_i32 s17, s34, -1
	s_mov_b32 s21, 0
	s_mov_b32 s27, s38
.LBB29_18:                              ;   in Loop: Header=BB29_9 Depth=1
	v_lshl_add_u32 v6, s34, 13, v0
	s_mul_f32 s36, s35, 0x3fb8aa3b
	s_mul_f32 s38, s33, 0x3fb8aa3b
	s_wait_alu 0xfffe
	s_delay_alu instid0(SALU_CYCLE_1)
	s_xor_b32 s39, s36, 0x80000000
	v_ashrrev_i32_e32 v7, 31, v6
	s_rndne_f32 s40, s36
	s_fmamk_f32 s39, s35, 0x3fb8aa3b, s39
	s_xor_b32 s41, s38, 0x80000000
	s_rndne_f32 s42, s38
	v_lshlrev_b64_e32 v[6:7], 2, v[6:7]
	s_sub_f32 s36, s36, s40
	s_fmamk_f32 s35, s35, 0x32a5705f, s39
	s_fmamk_f32 s39, s33, 0x3fb8aa3b, s41
	s_sub_f32 s38, s38, s42
	s_delay_alu instid0(VALU_DEP_1)
	v_add_co_u32 v6, vcc_lo, s24, v6
	s_wait_alu 0xfffd
	v_add_co_ci_u32_e64 v7, null, s25, v7, vcc_lo
	s_wait_alu 0xfffe
	s_add_f32 s35, s36, s35
	s_fmamk_f32 s33, s33, 0x32a5705f, s39
	s_cvt_i32_f32 s36, s40
	global_load_b32 v6, v[6:7], off
	s_wait_alu 0xfffe
	v_s_exp_f32 s35, s35
	s_add_f32 s33, s38, s33
	s_wait_alu 0xfffe
	s_delay_alu instid0(SALU_CYCLE_2) | instskip(NEXT) | instid1(TRANS32_DEP_2)
	v_s_exp_f32 s33, s33
	v_ldexp_f32 v7, s35, s36
	s_cvt_i32_f32 s35, s42
	s_wait_alu 0xf1fe
	s_delay_alu instid0(TRANS32_DEP_1) | instid1(SALU_CYCLE_2)
	v_ldexp_f32 v8, s33, s35
	s_delay_alu instid0(VALU_DEP_2) | instskip(NEXT) | instid1(VALU_DEP_2)
	v_cndmask_b32_e64 v7, 0, v7, s3
	v_cndmask_b32_e64 v8, 0, v8, s0
	s_delay_alu instid0(VALU_DEP_2) | instskip(NEXT) | instid1(VALU_DEP_2)
	v_cndmask_b32_e64 v7, 0x7f800000, v7, s4
	v_cndmask_b32_e64 v8, 0x7f800000, v8, s1
	;; [unrolled: 3-line block ×3, first 2 shown]
	s_wait_loadcnt 0x0
	s_delay_alu instid0(VALU_DEP_2) | instskip(SKIP_1) | instid1(VALU_DEP_1)
	v_mul_f32_e32 v6, v6, v7
	v_mul_f32_e32 v7, s37, v7
	v_fmac_f32_e32 v7, v5, v8
	s_delay_alu instid0(VALU_DEP_3)
	v_fmac_f32_e32 v6, v3, v8
	s_cbranch_execnz .LBB29_15
.LBB29_19:                              ;   in Loop: Header=BB29_9 Depth=1
	s_wait_loadcnt 0x0
	v_dual_mov_b32 v7, v5 :: v_dual_mov_b32 v6, v3
	s_add_co_i32 s17, s34, -1
	s_mov_b32 s27, s20
	s_mov_b32 s9, s26
	s_cbranch_execz .LBB29_23
.LBB29_20:                              ;   in Loop: Header=BB29_9 Depth=1
	v_mov_b32_e32 v5, v7
	s_wait_loadcnt 0x0
	v_mov_b32_e32 v3, v6
	s_wait_alu 0xfffe
	s_mov_b32 s20, s27
	s_mov_b32 s34, s17
	;; [unrolled: 1-line block ×3, first 2 shown]
	s_branch .LBB29_9
.LBB29_21:
                                        ; implicit-def: $sgpr20_sgpr21
	s_branch .LBB29_2
.LBB29_22:
                                        ; implicit-def: $sgpr10_sgpr11
	s_load_b96 s[12:14], s[0:1], 0x44
	s_branch .LBB29_5
.LBB29_23:
	v_div_scale_f32 v0, null, v7, v7, v6
	s_wait_loadcnt 0x0
	s_delay_alu instid0(VALU_DEP_1) | instskip(NEXT) | instid1(TRANS32_DEP_1)
	v_rcp_f32_e32 v3, v0
	v_fma_f32 v4, -v0, v3, 1.0
	s_delay_alu instid0(VALU_DEP_1) | instskip(SKIP_1) | instid1(VALU_DEP_1)
	v_fmac_f32_e32 v3, v4, v3
	v_div_scale_f32 v4, vcc_lo, v6, v7, v6
	v_mul_f32_e32 v5, v4, v3
	s_delay_alu instid0(VALU_DEP_1) | instskip(NEXT) | instid1(VALU_DEP_1)
	v_fma_f32 v8, -v0, v5, v4
	v_fmac_f32_e32 v5, v8, v3
	s_delay_alu instid0(VALU_DEP_1) | instskip(SKIP_1) | instid1(VALU_DEP_1)
	v_fma_f32 v0, -v0, v5, v4
	s_wait_alu 0xfffd
	v_div_fmas_f32 v0, v0, v3, v5
	s_delay_alu instid0(VALU_DEP_1)
	v_div_fixup_f32 v0, v0, v7, v6
	global_store_b32 v[1:2], v0, off
.LBB29_24:
	s_endpgm
	.section	.rodata,"a",@progbits
	.p2align	6, 0x0
	.amdhsa_kernel _ZL33flash_attn_stream_k_fixup_generalILi256ELi16ELi2EEvPfPK15HIP_vector_typeIfLj2EEiiiiS1_IjLj3EES5_S5_S5_
		.amdhsa_group_segment_fixed_size 0
		.amdhsa_private_segment_fixed_size 0
		.amdhsa_kernarg_size 336
		.amdhsa_user_sgpr_count 2
		.amdhsa_user_sgpr_dispatch_ptr 0
		.amdhsa_user_sgpr_queue_ptr 0
		.amdhsa_user_sgpr_kernarg_segment_ptr 1
		.amdhsa_user_sgpr_dispatch_id 0
		.amdhsa_user_sgpr_private_segment_size 0
		.amdhsa_wavefront_size32 1
		.amdhsa_uses_dynamic_stack 0
		.amdhsa_enable_private_segment 0
		.amdhsa_system_sgpr_workgroup_id_x 1
		.amdhsa_system_sgpr_workgroup_id_y 1
		.amdhsa_system_sgpr_workgroup_id_z 1
		.amdhsa_system_sgpr_workgroup_info 0
		.amdhsa_system_vgpr_workitem_id 0
		.amdhsa_next_free_vgpr 9
		.amdhsa_next_free_sgpr 44
		.amdhsa_reserve_vcc 1
		.amdhsa_float_round_mode_32 0
		.amdhsa_float_round_mode_16_64 0
		.amdhsa_float_denorm_mode_32 3
		.amdhsa_float_denorm_mode_16_64 3
		.amdhsa_fp16_overflow 0
		.amdhsa_workgroup_processor_mode 1
		.amdhsa_memory_ordered 1
		.amdhsa_forward_progress 1
		.amdhsa_inst_pref_size 28
		.amdhsa_round_robin_scheduling 0
		.amdhsa_exception_fp_ieee_invalid_op 0
		.amdhsa_exception_fp_denorm_src 0
		.amdhsa_exception_fp_ieee_div_zero 0
		.amdhsa_exception_fp_ieee_overflow 0
		.amdhsa_exception_fp_ieee_underflow 0
		.amdhsa_exception_fp_ieee_inexact 0
		.amdhsa_exception_int_div_zero 0
	.end_amdhsa_kernel
	.section	.text._ZL33flash_attn_stream_k_fixup_generalILi256ELi16ELi2EEvPfPK15HIP_vector_typeIfLj2EEiiiiS1_IjLj3EES5_S5_S5_,"axG",@progbits,_ZL33flash_attn_stream_k_fixup_generalILi256ELi16ELi2EEvPfPK15HIP_vector_typeIfLj2EEiiiiS1_IjLj3EES5_S5_S5_,comdat
.Lfunc_end29:
	.size	_ZL33flash_attn_stream_k_fixup_generalILi256ELi16ELi2EEvPfPK15HIP_vector_typeIfLj2EEiiiiS1_IjLj3EES5_S5_S5_, .Lfunc_end29-_ZL33flash_attn_stream_k_fixup_generalILi256ELi16ELi2EEvPfPK15HIP_vector_typeIfLj2EEiiiiS1_IjLj3EES5_S5_S5_
                                        ; -- End function
	.set _ZL33flash_attn_stream_k_fixup_generalILi256ELi16ELi2EEvPfPK15HIP_vector_typeIfLj2EEiiiiS1_IjLj3EES5_S5_S5_.num_vgpr, 9
	.set _ZL33flash_attn_stream_k_fixup_generalILi256ELi16ELi2EEvPfPK15HIP_vector_typeIfLj2EEiiiiS1_IjLj3EES5_S5_S5_.num_agpr, 0
	.set _ZL33flash_attn_stream_k_fixup_generalILi256ELi16ELi2EEvPfPK15HIP_vector_typeIfLj2EEiiiiS1_IjLj3EES5_S5_S5_.numbered_sgpr, 44
	.set _ZL33flash_attn_stream_k_fixup_generalILi256ELi16ELi2EEvPfPK15HIP_vector_typeIfLj2EEiiiiS1_IjLj3EES5_S5_S5_.num_named_barrier, 0
	.set _ZL33flash_attn_stream_k_fixup_generalILi256ELi16ELi2EEvPfPK15HIP_vector_typeIfLj2EEiiiiS1_IjLj3EES5_S5_S5_.private_seg_size, 0
	.set _ZL33flash_attn_stream_k_fixup_generalILi256ELi16ELi2EEvPfPK15HIP_vector_typeIfLj2EEiiiiS1_IjLj3EES5_S5_S5_.uses_vcc, 1
	.set _ZL33flash_attn_stream_k_fixup_generalILi256ELi16ELi2EEvPfPK15HIP_vector_typeIfLj2EEiiiiS1_IjLj3EES5_S5_S5_.uses_flat_scratch, 0
	.set _ZL33flash_attn_stream_k_fixup_generalILi256ELi16ELi2EEvPfPK15HIP_vector_typeIfLj2EEiiiiS1_IjLj3EES5_S5_S5_.has_dyn_sized_stack, 0
	.set _ZL33flash_attn_stream_k_fixup_generalILi256ELi16ELi2EEvPfPK15HIP_vector_typeIfLj2EEiiiiS1_IjLj3EES5_S5_S5_.has_recursion, 0
	.set _ZL33flash_attn_stream_k_fixup_generalILi256ELi16ELi2EEvPfPK15HIP_vector_typeIfLj2EEiiiiS1_IjLj3EES5_S5_S5_.has_indirect_call, 0
	.section	.AMDGPU.csdata,"",@progbits
; Kernel info:
; codeLenInByte = 3548
; TotalNumSgprs: 46
; NumVgprs: 9
; ScratchSize: 0
; MemoryBound: 0
; FloatMode: 240
; IeeeMode: 1
; LDSByteSize: 0 bytes/workgroup (compile time only)
; SGPRBlocks: 0
; VGPRBlocks: 1
; NumSGPRsForWavesPerEU: 46
; NumVGPRsForWavesPerEU: 9
; Occupancy: 16
; WaveLimiterHint : 0
; COMPUTE_PGM_RSRC2:SCRATCH_EN: 0
; COMPUTE_PGM_RSRC2:USER_SGPR: 2
; COMPUTE_PGM_RSRC2:TRAP_HANDLER: 0
; COMPUTE_PGM_RSRC2:TGID_X_EN: 1
; COMPUTE_PGM_RSRC2:TGID_Y_EN: 1
; COMPUTE_PGM_RSRC2:TGID_Z_EN: 1
; COMPUTE_PGM_RSRC2:TIDIG_COMP_CNT: 0
	.section	.text._ZL15flash_attn_tileILi256ELi256ELi8ELi2ELb0EEvPKcS1_S1_S1_S1_PKiPfP15HIP_vector_typeIfLj2EEffffjfiS5_IjLj3EEiiiiiiiiiiiliiliiiiil,"axG",@progbits,_ZL15flash_attn_tileILi256ELi256ELi8ELi2ELb0EEvPKcS1_S1_S1_S1_PKiPfP15HIP_vector_typeIfLj2EEffffjfiS5_IjLj3EEiiiiiiiiiiiliiliiiiil,comdat
	.globl	_ZL15flash_attn_tileILi256ELi256ELi8ELi2ELb0EEvPKcS1_S1_S1_S1_PKiPfP15HIP_vector_typeIfLj2EEffffjfiS5_IjLj3EEiiiiiiiiiiiliiliiiiil ; -- Begin function _ZL15flash_attn_tileILi256ELi256ELi8ELi2ELb0EEvPKcS1_S1_S1_S1_PKiPfP15HIP_vector_typeIfLj2EEffffjfiS5_IjLj3EEiiiiiiiiiiiliiliiiiil
	.p2align	8
	.type	_ZL15flash_attn_tileILi256ELi256ELi8ELi2ELb0EEvPKcS1_S1_S1_S1_PKiPfP15HIP_vector_typeIfLj2EEffffjfiS5_IjLj3EEiiiiiiiiiiiliiliiiiil,@function
_ZL15flash_attn_tileILi256ELi256ELi8ELi2ELb0EEvPKcS1_S1_S1_S1_PKiPfP15HIP_vector_typeIfLj2EEffffjfiS5_IjLj3EEiiiiiiiiiiiliiliiiiil: ; @_ZL15flash_attn_tileILi256ELi256ELi8ELi2ELb0EEvPKcS1_S1_S1_S1_PKiPfP15HIP_vector_typeIfLj2EEffffjfiS5_IjLj3EEiiiiiiiiiiiliiliiiiil
; %bb.0:
	s_clause 0x1
	s_load_b128 s[20:23], s[0:1], 0x5c
	s_load_b64 s[34:35], s[0:1], 0x80
	s_lshr_b32 s5, ttmp7, 16
	s_load_b64 s[38:39], s[0:1], 0xb8
	s_mov_b64 s[36:37], 0
	s_wait_kmcnt 0x0
	s_lshr_b32 s2, s23, 31
	s_delay_alu instid0(SALU_CYCLE_1) | instskip(NEXT) | instid1(SALU_CYCLE_1)
	s_add_co_i32 s2, s23, s2
	s_ashr_i32 s2, s2, 1
	s_delay_alu instid0(SALU_CYCLE_1) | instskip(SKIP_1) | instid1(SALU_CYCLE_2)
	s_cvt_f32_u32 s3, s2
	s_sub_co_i32 s4, 0, s2
	v_rcp_iflag_f32_e32 v1, s3
	s_delay_alu instid0(TRANS32_DEP_1) | instskip(SKIP_2) | instid1(SALU_CYCLE_2)
	v_readfirstlane_b32 s3, v1
	s_mul_f32 s3, s3, 0x4f7ffffe
	s_wait_alu 0xfffe
	s_cvt_u32_f32 s3, s3
	s_wait_alu 0xfffe
	s_delay_alu instid0(SALU_CYCLE_2) | instskip(NEXT) | instid1(SALU_CYCLE_1)
	s_mul_i32 s4, s4, s3
	s_mul_hi_u32 s4, s3, s4
	s_delay_alu instid0(SALU_CYCLE_1)
	s_add_co_i32 s3, s3, s4
	s_wait_alu 0xfffe
	s_mul_hi_u32 s3, s5, s3
	s_wait_alu 0xfffe
	s_mul_i32 s4, s3, s2
	s_add_co_i32 s6, s3, 1
	s_sub_co_i32 s4, s5, s4
	s_delay_alu instid0(SALU_CYCLE_1)
	s_sub_co_i32 s7, s4, s2
	s_cmp_ge_u32 s4, s2
	s_cselect_b32 s3, s6, s3
	s_cselect_b32 s4, s7, s4
	s_wait_alu 0xfffe
	s_add_co_i32 s6, s3, 1
	s_cmp_ge_u32 s4, s2
	s_cselect_b32 s28, s6, s3
	s_abs_i32 s2, s35
	s_abs_i32 s7, s23
	s_wait_alu 0xfffe
	s_cvt_f32_u32 s3, s2
	s_sub_co_i32 s4, 0, s2
	s_lshl_b32 s5, s5, 1
	s_mul_i32 s6, s28, s23
	s_wait_alu 0xfffe
	v_rcp_iflag_f32_e32 v1, s3
	s_sub_co_i32 s30, s5, s6
	s_delay_alu instid0(TRANS32_DEP_1) | instskip(SKIP_2) | instid1(SALU_CYCLE_2)
	v_readfirstlane_b32 s3, v1
	s_mul_f32 s3, s3, 0x4f7ffffe
	s_wait_alu 0xfffe
	s_cvt_u32_f32 s3, s3
	s_wait_alu 0xfffe
	s_delay_alu instid0(SALU_CYCLE_2) | instskip(NEXT) | instid1(SALU_CYCLE_1)
	s_mul_i32 s4, s4, s3
	s_mul_hi_u32 s4, s3, s4
	s_delay_alu instid0(SALU_CYCLE_1)
	s_add_co_i32 s3, s3, s4
	s_xor_b32 s4, s23, s35
	s_wait_alu 0xfffe
	s_mul_hi_u32 s3, s7, s3
	s_ashr_i32 s24, s4, 31
	s_wait_alu 0xfffe
	s_mul_i32 s5, s3, s2
	s_delay_alu instid0(SALU_CYCLE_1)
	s_sub_co_i32 s4, s7, s5
	s_add_co_i32 s5, s3, 1
	s_sub_co_i32 s6, s4, s2
	s_cmp_ge_u32 s4, s2
	s_cselect_b32 s3, s5, s3
	s_cselect_b32 s4, s6, s4
	s_wait_alu 0xfffe
	s_add_co_i32 s5, s3, 1
	s_cmp_ge_u32 s4, s2
	s_cselect_b32 s2, s5, s3
	s_load_b512 s[4:19], s[0:1], 0x0
	s_xor_b32 s2, s2, s24
	s_mov_b32 s3, 0
	s_wait_alu 0xfffe
	s_sub_co_i32 s33, s2, s24
	s_delay_alu instid0(SALU_CYCLE_1) | instskip(NEXT) | instid1(SALU_CYCLE_1)
	s_abs_i32 s31, s33
	s_cvt_f32_u32 s2, s31
	s_wait_alu 0xfffe
	s_delay_alu instid0(SALU_CYCLE_2) | instskip(SKIP_2) | instid1(TRANS32_DEP_1)
	v_rcp_iflag_f32_e32 v1, s2
	s_wait_kmcnt 0x0
	s_cmp_eq_u64 s[10:11], 0
	v_readfirstlane_b32 s2, v1
	s_cbranch_scc1 .LBB30_2
; %bb.1:
	s_abs_i32 s26, s38
	s_delay_alu instid0(SALU_CYCLE_1) | instskip(NEXT) | instid1(SALU_CYCLE_3)
	s_cvt_f32_u32 s24, s26
	v_rcp_iflag_f32_e32 v1, s24
	s_delay_alu instid0(TRANS32_DEP_1) | instskip(SKIP_2) | instid1(SALU_CYCLE_2)
	v_readfirstlane_b32 s24, v1
	s_mul_f32 s24, s24, 0x4f7ffffe
	s_wait_alu 0xfffe
	s_cvt_u32_f32 s27, s24
	s_sub_co_i32 s24, 0, s26
	s_wait_alu 0xfffe
	s_delay_alu instid0(SALU_CYCLE_1) | instskip(SKIP_4) | instid1(SALU_CYCLE_1)
	s_mul_i32 s24, s24, s27
	s_wait_alu 0xfffe
	s_mul_hi_u32 s29, s27, s24
	s_load_b64 s[24:25], s[0:1], 0xc8
	s_add_co_i32 s27, s27, s29
	s_mul_hi_u32 s27, s28, s27
	s_delay_alu instid0(SALU_CYCLE_1) | instskip(NEXT) | instid1(SALU_CYCLE_1)
	s_mul_i32 s27, s27, s26
	s_sub_co_i32 s27, s28, s27
	s_delay_alu instid0(SALU_CYCLE_1) | instskip(SKIP_2) | instid1(SALU_CYCLE_1)
	s_sub_co_i32 s29, s27, s26
	s_cmp_ge_u32 s27, s26
	s_cselect_b32 s27, s29, s27
	s_sub_co_i32 s29, s27, s26
	s_cmp_ge_u32 s27, s26
	s_cselect_b32 s26, s29, s27
	s_delay_alu instid0(SALU_CYCLE_1)
	s_ashr_i32 s27, s26, 31
	s_wait_kmcnt 0x0
	s_mul_u64 s[24:25], s[24:25], s[26:27]
	s_wait_alu 0xfffe
	s_add_nc_u64 s[36:37], s[10:11], s[24:25]
.LBB30_2:
	v_bfe_u32 v4, v0, 10, 10
	s_load_b96 s[24:26], s[0:1], 0x70
	v_and_b32_e32 v0, 0x3ff, v0
	s_delay_alu instid0(VALU_DEP_2) | instskip(SKIP_1) | instid1(VALU_DEP_3)
	v_lshl_add_u32 v1, ttmp9, 3, v4
	v_lshl_add_u32 v22, v4, 10, 0x4200
	v_lshlrev_b32_e32 v23, 3, v0
	s_delay_alu instid0(VALU_DEP_3) | instskip(NEXT) | instid1(VALU_DEP_1)
	v_mul_hi_u32 v2, s20, v1
	v_add_nc_u32_e32 v2, v1, v2
	s_wait_kmcnt 0x0
	s_ashr_i32 s11, s24, 31
	s_mov_b32 s10, s24
	s_delay_alu instid0(VALU_DEP_1) | instskip(SKIP_2) | instid1(VALU_DEP_1)
	v_lshrrev_b32_e32 v2, s21, v2
	s_lshr_b64 s[20:21], s[10:11], 2
	s_lshr_b32 s10, s11, 2
	v_mul_lo_u32 v2, v2, s22
	s_delay_alu instid0(VALU_DEP_1) | instskip(SKIP_1) | instid1(VALU_DEP_1)
	v_sub_nc_u32_e32 v2, v1, v2
	s_wait_alu 0xfffe
	v_mad_co_u64_u32 v[5:6], null, s20, v2, 0
	s_mul_i32 s20, s30, s25
	s_wait_alu 0xfffe
	s_ashr_i32 s21, s20, 31
	v_mov_b32_e32 v3, v6
	s_delay_alu instid0(VALU_DEP_1)
	v_mad_co_u64_u32 v[6:7], null, s10, v2, v[3:4]
	s_mul_i32 s10, s28, s26
	v_lshlrev_b32_e32 v3, 4, v0
	s_wait_alu 0xfffe
	s_ashr_i32 s11, s10, 31
	s_wait_alu 0xfffe
	s_add_nc_u64 s[4:5], s[4:5], s[10:11]
	s_delay_alu instid0(SALU_CYCLE_1) | instskip(SKIP_1) | instid1(VALU_DEP_1)
	s_add_nc_u64 s[4:5], s[4:5], s[20:21]
	v_lshlrev_b64_e32 v[5:6], 2, v[5:6]
	v_add_co_u32 v5, vcc_lo, s4, v5
	s_delay_alu instid0(VALU_DEP_1)
	v_add_co_ci_u32_e64 v6, null, s5, v6, vcc_lo
	s_and_b32 s5, s25, -4
	v_add_co_u32 v13, vcc_lo, v5, v3
	s_wait_alu 0xfffd
	v_add_co_ci_u32_e64 v14, null, 0, v6, vcc_lo
	s_ashr_i32 s4, s25, 31
	s_wait_alu 0xfffe
	v_add_co_u32 v17, vcc_lo, v13, s5
	s_clause 0x1
	global_load_b128 v[5:8], v[13:14], off
	global_load_b128 v[9:12], v[13:14], off offset:512
	s_wait_alu 0xfffd
	v_add_co_ci_u32_e64 v18, null, s4, v14, vcc_lo
	s_load_b32 s4, s[0:1], 0x40
	s_clause 0x1
	global_load_b128 v[13:16], v[17:18], off
	global_load_b128 v[17:20], v[17:18], off offset:512
	v_add_nc_u32_e32 v3, v22, v23
	s_cmp_eq_u64 s[14:15], 0
	s_wait_loadcnt 0x3
	s_wait_kmcnt 0x0
	v_fma_mixlo_f16 v5, s4, v5, 0
	v_fma_mixlo_f16 v6, s4, v6, 0
	;; [unrolled: 1-line block ×4, first 2 shown]
	s_wait_loadcnt 0x2
	v_fma_mixlo_f16 v9, s4, v9, 0
	v_fma_mixlo_f16 v10, s4, v10, 0
	;; [unrolled: 1-line block ×4, first 2 shown]
	v_lshlrev_b32_e32 v6, 16, v6
	v_and_b32_e32 v5, 0xffff, v5
	v_lshlrev_b32_e32 v8, 16, v8
	v_and_b32_e32 v7, 0xffff, v7
	v_lshlrev_b32_e32 v10, 16, v10
	v_and_b32_e32 v9, 0xffff, v9
	s_wait_loadcnt 0x1
	v_fma_mixlo_f16 v13, s4, v13, 0
	v_fma_mixlo_f16 v14, s4, v14, 0
	s_wait_loadcnt 0x0
	v_fma_mixlo_f16 v17, s4, v17, 0
	v_fma_mixlo_f16 v18, s4, v18, 0
	v_lshlrev_b32_e32 v12, 16, v12
	v_and_b32_e32 v11, 0xffff, v11
	v_fma_mixlo_f16 v15, s4, v15, 0
	v_fma_mixlo_f16 v16, s4, v16, 0
	;; [unrolled: 1-line block ×4, first 2 shown]
	v_or_b32_e32 v5, v6, v5
	v_or3_b32 v6, v8, v7, 0
	v_or_b32_e32 v7, v10, v9
	v_lshlrev_b32_e32 v9, 16, v14
	v_and_b32_e32 v10, 0xffff, v13
	v_lshlrev_b32_e32 v13, 16, v18
	v_and_b32_e32 v14, 0xffff, v17
	v_or3_b32 v8, v12, v11, 0
	v_lshlrev_b32_e32 v11, 16, v16
	v_and_b32_e32 v12, 0xffff, v15
	v_lshlrev_b32_e32 v15, 16, v20
	v_and_b32_e32 v16, 0xffff, v19
	v_or_b32_e32 v9, v9, v10
	v_or_b32_e32 v13, v13, v14
	v_or3_b32 v5, 0, 0, v5
	v_or3_b32 v7, 0, 0, v7
	;; [unrolled: 1-line block ×6, first 2 shown]
	ds_store_2addr_b64 v3, v[5:6], v[7:8] offset1:32
	ds_store_2addr_b64 v3, v[9:10], v[11:12] offset0:64 offset1:96
	s_wait_dscnt 0x0
	s_barrier_signal -1
	s_barrier_wait -1
	global_inv scope:SCOPE_SE
	s_cbranch_scc1 .LBB30_4
; %bb.3:
	s_load_b32 s4, s[0:1], 0xd0
	s_mov_b32 s5, 0
	s_wait_kmcnt 0x0
	s_mul_i32 s4, s4, s28
	s_wait_alu 0xfffe
	s_add_co_i32 s4, s4, ttmp9
	s_wait_alu 0xfffe
	s_lshl_b64 s[4:5], s[4:5], 2
	s_wait_alu 0xfffe
	s_add_nc_u64 s[4:5], s[14:15], s[4:5]
	s_load_b32 s34, s[4:5], 0x0
.LBB30_4:
	s_and_b32 s10, ttmp7, 0xffff
	v_lshlrev_b32_e32 v21, 2, v0
	v_mbcnt_lo_u32_b32 v24, -1, 0
	s_wait_alu 0xfffe
	s_lshl_b32 s14, s10, 5
	s_wait_kmcnt 0x0
	s_cmp_lt_i32 s14, s34
	s_cbranch_scc1 .LBB30_7
; %bb.5:
	v_mbcnt_lo_u32_b32 v3, -1, 0
	v_mov_b32_e32 v25, 32
	s_delay_alu instid0(VALU_DEP_2)
	v_xor_b32_e32 v30, 16, v3
	v_xor_b32_e32 v29, 8, v3
	;; [unrolled: 1-line block ×5, first 2 shown]
	s_mov_b32 s29, 0
	s_cbranch_execz .LBB30_8
; %bb.6:
	v_dual_mov_b32 v54, 0 :: v_dual_mov_b32 v19, 0xfeffffff
	v_dual_mov_b32 v58, 0 :: v_dual_mov_b32 v57, 0
	;; [unrolled: 1-line block ×5, first 2 shown]
	v_mov_b32_e32 v52, 0
	v_mov_b32_e32 v50, 0
	s_branch .LBB30_11
.LBB30_7:
                                        ; implicit-def: $vgpr3
                                        ; implicit-def: $vgpr25
                                        ; implicit-def: $vgpr30
                                        ; implicit-def: $vgpr29
                                        ; implicit-def: $vgpr28
                                        ; implicit-def: $vgpr27
                                        ; implicit-def: $vgpr26
	s_mov_b32 s29, 0
.LBB30_8:
	s_clause 0x1
	s_load_b128 s[24:27], s[0:1], 0x98
	s_load_b64 s[4:5], s[0:1], 0x8c
	s_mul_f32 s2, s2, 0x4f7ffffe
	s_load_b64 s[40:41], s[0:1], 0xa8
	s_mov_b32 s21, s3
	v_dual_mov_b32 v60, 0 :: v_dual_lshlrev_b32 v31, 2, v21
	s_cvt_u32_f32 s11, s2
	s_sub_co_i32 s2, 0, s31
	v_lshl_add_u32 v38, v4, 7, 0x6200
	s_delay_alu instid0(VALU_DEP_2)
	v_mad_u32_u24 v32, 0x210, v4, v31
	s_wait_alu 0xfffe
	s_mul_i32 s15, s2, s11
	s_abs_i32 s2, s30
	s_mul_hi_u32 s15, s11, s15
	v_lshl_add_u32 v37, v4, 9, v31
	s_add_co_i32 s20, s11, s15
	s_ashr_i32 s11, s30, 31
	s_wait_alu 0xfffe
	s_mul_u64 s[20:21], s[2:3], s[20:21]
	s_ashr_i32 s3, s33, 31
	s_ashr_i32 s15, s39, 1
	s_wait_alu 0xfffe
	s_xor_b32 s11, s11, s3
	s_mul_i32 s3, s21, s31
	s_wait_kmcnt 0x0
	s_ashr_i32 s20, s26, 2
	s_ashr_i32 s26, s4, 2
	s_wait_alu 0xfffe
	s_sub_co_i32 s4, s2, s3
	s_add_co_i32 s33, s21, 1
	s_wait_alu 0xfffe
	s_sub_co_i32 s35, s4, s31
	s_cmp_ge_u32 s4, s31
	s_mul_u64 s[2:3], s[24:25], s[28:29]
	s_cselect_b32 s21, s33, s21
	s_cselect_b32 s4, s35, s4
	s_mul_u64 s[24:25], s[40:41], s[28:29]
	s_wait_alu 0xfffe
	s_add_co_i32 s29, s21, 1
	s_cmp_ge_u32 s4, s31
	v_mul_lo_u32 v5, s26, v4
	s_cselect_b32 s4, s29, s21
	s_add_nc_u64 s[2:3], s[6:7], s[2:3]
	s_wait_alu 0xfffe
	s_xor_b32 s4, s4, s11
	v_mul_lo_u32 v11, s20, v4
	s_wait_alu 0xfffe
	s_sub_co_i32 s6, s4, s11
	s_add_nc_u64 s[8:9], s[8:9], s[24:25]
	s_mul_i32 s4, s6, s5
	s_lshl_b32 s11, s26, 3
	s_wait_alu 0xfffe
	s_ashr_i32 s5, s4, 31
	s_mul_i32 s24, s6, s27
	s_wait_alu 0xfffe
	s_add_nc_u64 s[6:7], s[2:3], s[4:5]
	s_lshl_b32 s2, s20, 3
	v_dual_mov_b32 v50, 0 :: v_dual_add_nc_u32 v7, s11, v5
	s_wait_alu 0xfffe
	v_dual_mov_b32 v20, 0xfeffffff :: v_dual_add_nc_u32 v15, s2, v11
	s_delay_alu instid0(VALU_DEP_2) | instskip(SKIP_1) | instid1(VALU_DEP_3)
	v_dual_mov_b32 v52, 0 :: v_dual_add_nc_u32 v9, s11, v7
	v_ashrrev_i32_e32 v6, 31, v5
	v_add_nc_u32_e32 v17, s2, v15
	v_ashrrev_i32_e32 v8, 31, v7
	v_ashrrev_i32_e32 v12, 31, v11
	v_dual_mov_b32 v54, 0 :: v_dual_add_nc_u32 v13, s11, v9
	s_delay_alu instid0(VALU_DEP_4) | instskip(SKIP_2) | instid1(VALU_DEP_4)
	v_add_nc_u32_e32 v43, s2, v17
	v_ashrrev_i32_e32 v10, 31, v9
	v_ashrrev_i32_e32 v16, 31, v15
	;; [unrolled: 1-line block ×5, first 2 shown]
	v_mad_co_u64_u32 v[2:3], null, v2, s15, v[0:1]
	v_lshlrev_b64_e32 v[3:4], 2, v[5:6]
	v_lshlrev_b64_e32 v[5:6], 2, v[7:8]
	;; [unrolled: 1-line block ×8, first 2 shown]
	v_dual_mov_b32 v56, 0 :: v_dual_add_nc_u32 v33, 0x1080, v32
	v_dual_mov_b32 v25, 32 :: v_dual_add_nc_u32 v34, 0x2100, v32
	;; [unrolled: 1-line block ×3, first 2 shown]
	v_mul_u32_u24_e32 v36, 0x210, v0
	v_add_nc_u32_e32 v39, 0x1000, v37
	v_dual_mov_b32 v53, 0 :: v_dual_add_nc_u32 v40, 0x2000, v37
	v_add_nc_u32_e32 v41, 0x3000, v37
	v_dual_mov_b32 v19, 0xfeffffff :: v_dual_add_nc_u32 v42, v38, v21
	v_xor_b32_e32 v30, 16, v24
	v_xor_b32_e32 v29, 8, v24
	;; [unrolled: 1-line block ×5, first 2 shown]
	v_add_nc_u32_e32 v43, 0x800, v23
	v_dual_mov_b32 v51, 0 :: v_dual_add_nc_u32 v44, 0x1000, v23
	v_add_nc_u32_e32 v45, 0x1800, v23
	v_dual_mov_b32 v55, 0 :: v_dual_add_nc_u32 v46, 0x2000, v23
	;; [unrolled: 2-line block ×3, first 2 shown]
	v_add_nc_u32_e32 v49, 0x3800, v23
	s_ashr_i32 s25, s24, 31
	s_ashr_i32 s27, s26, 31
	s_wait_alu 0xfffe
	s_add_nc_u64 s[8:9], s[8:9], s[24:25]
	s_ashr_i32 s21, s20, 31
	s_add_nc_u64 s[24:25], s[0:1], 0xd0
.LBB30_9:                               ; =>This Inner Loop Header: Depth=1
	v_cmp_gt_i32_e32 vcc_lo, 32, v30
	v_mov_b32_e32 v61, v19
	s_ashr_i32 s15, s14, 31
	v_dual_mov_b32 v59, v60 :: v_dual_mov_b32 v60, v20
	s_wait_alu 0xfffd
	v_dual_cndmask_b32 v65, v24, v30 :: v_dual_mov_b32 v62, v58
	v_cmp_gt_i32_e32 vcc_lo, 32, v29
	v_mov_b32_e32 v19, 0
	s_wait_alu 0xfffe
	s_mul_u64 s[2:3], s[14:15], s[26:27]
	s_mul_u64 s[4:5], s[14:15], s[20:21]
	s_wait_alu 0xfffe
	s_lshl_b64 s[2:3], s[2:3], 2
	s_wait_alu 0xfffd
	v_cndmask_b32_e32 v66, v24, v29, vcc_lo
	v_cmp_gt_i32_e32 vcc_lo, 32, v28
	s_wait_alu 0xfffe
	s_add_nc_u64 s[2:3], s[6:7], s[2:3]
	v_lshlrev_b32_e32 v58, 2, v65
	s_lshl_b64 s[4:5], s[4:5], 2
	v_dual_max_num_f32 v94, v60, v60 :: v_dual_lshlrev_b32 v89, 2, v66
	s_wait_alu 0xfffd
	v_cndmask_b32_e32 v67, v24, v28, vcc_lo
	v_cmp_gt_i32_e32 vcc_lo, 32, v27
	v_add_nc_u32_e32 v63, s14, v2
	s_wait_alu 0xfffe
	s_add_nc_u64 s[4:5], s[8:9], s[4:5]
	v_mov_b32_e32 v20, 0
	v_lshlrev_b32_e32 v90, 2, v67
	s_wait_alu 0xfffd
	v_cndmask_b32_e32 v68, v24, v27, vcc_lo
	v_cmp_gt_i32_e32 vcc_lo, 32, v26
	v_ashrrev_i32_e32 v64, 31, v63
	s_delay_alu instid0(VALU_DEP_3)
	v_lshlrev_b32_e32 v91, 2, v68
	s_wait_alu 0xfffd
	v_cndmask_b32_e32 v69, v24, v26, vcc_lo
	v_add_co_u32 v65, vcc_lo, s2, v3
	s_wait_alu 0xfffd
	v_add_co_ci_u32_e64 v66, null, s3, v4, vcc_lo
	v_add_co_u32 v67, vcc_lo, s2, v5
	v_lshlrev_b32_e32 v92, 2, v69
	s_wait_alu 0xfffd
	v_add_co_ci_u32_e64 v68, null, s3, v6, vcc_lo
	v_add_co_u32 v69, vcc_lo, s2, v7
	s_wait_alu 0xfffd
	v_add_co_ci_u32_e64 v70, null, s3, v8, vcc_lo
	v_add_co_u32 v73, vcc_lo, s2, v9
	s_wait_alu 0xfffd
	v_add_co_ci_u32_e64 v74, null, s3, v10, vcc_lo
	s_wait_alu 0xfffe
	v_add_co_u32 v77, vcc_lo, s4, v11
	s_wait_alu 0xfffd
	v_add_co_ci_u32_e64 v78, null, s5, v12, vcc_lo
	v_add_co_u32 v83, vcc_lo, s4, v13
	s_wait_alu 0xfffd
	v_add_co_ci_u32_e64 v84, null, s5, v14, vcc_lo
	;; [unrolled: 3-line block ×4, first 2 shown]
	v_add_co_u32 v65, vcc_lo, v65, v31
	v_lshlrev_b64_e32 v[63:64], 1, v[63:64]
	s_wait_alu 0xfffd
	v_add_co_ci_u32_e64 v66, null, 0, v66, vcc_lo
	v_add_co_u32 v67, vcc_lo, v67, v31
	s_wait_alu 0xfffd
	v_add_co_ci_u32_e64 v68, null, 0, v68, vcc_lo
	v_add_co_u32 v71, vcc_lo, v69, v31
	;; [unrolled: 3-line block ×5, first 2 shown]
	s_wait_alu 0xfffd
	v_add_co_ci_u32_e64 v82, null, 0, v78, vcc_lo
	s_clause 0x3
	global_load_b128 v[63:66], v[65:66], off
	global_load_b128 v[67:70], v[67:68], off
	;; [unrolled: 1-line block ×4, first 2 shown]
	v_add_co_u32 v83, vcc_lo, v83, v31
	s_wait_alu 0xfffd
	v_add_co_ci_u32_e64 v84, null, 0, v84, vcc_lo
	v_add_co_u32 v85, vcc_lo, v85, v31
	s_wait_alu 0xfffd
	v_add_co_ci_u32_e64 v86, null, 0, v86, vcc_lo
	;; [unrolled: 3-line block ×3, first 2 shown]
	s_wait_loadcnt 0x3
	ds_store_b128 v32, v[63:66]
	s_wait_loadcnt 0x2
	ds_store_b128 v33, v[67:70]
	;; [unrolled: 2-line block ×4, first 2 shown]
	s_wait_dscnt 0x0
	s_barrier_signal -1
	s_barrier_wait -1
	global_inv scope:SCOPE_SE
	ds_load_b128 v[63:66], v36
	ds_load_b128 v[67:70], v22
	ds_load_b128 v[71:74], v22 offset:512
	s_wait_dscnt 0x1
	;;#ASMSTART
	v_dot2_f32_f16 v19, v63, v67, v19
	;;#ASMEND
	;;#ASMSTART
	v_dot2_f32_f16 v19, v64, v68, v19
	;;#ASMEND
	;;#ASMSTART
	v_dot2_f32_f16 v19, v65, v69, v19
	;;#ASMEND
	;;#ASMSTART
	v_dot2_f32_f16 v19, v66, v70, v19
	;;#ASMEND
	s_wait_dscnt 0x0
	;;#ASMSTART
	v_dot2_f32_f16 v20, v63, v71, v20
	;;#ASMEND
	;;#ASMSTART
	v_dot2_f32_f16 v20, v64, v72, v20
	;;#ASMEND
	;;#ASMSTART
	v_dot2_f32_f16 v20, v65, v73, v20
	;;#ASMEND
	;;#ASMSTART
	v_dot2_f32_f16 v20, v66, v74, v20
	;;#ASMEND
	ds_load_b128 v[63:66], v36 offset:16
	ds_load_b128 v[67:70], v22 offset:16
	ds_load_b128 v[71:74], v22 offset:528
	s_wait_dscnt 0x1
	;;#ASMSTART
	v_dot2_f32_f16 v19, v63, v67, v19
	;;#ASMEND
	;;#ASMSTART
	v_dot2_f32_f16 v19, v64, v68, v19
	;;#ASMEND
	;;#ASMSTART
	v_dot2_f32_f16 v19, v65, v69, v19
	;;#ASMEND
	;;#ASMSTART
	v_dot2_f32_f16 v19, v66, v70, v19
	;;#ASMEND
	s_wait_dscnt 0x0
	;;#ASMSTART
	v_dot2_f32_f16 v20, v63, v71, v20
	;;#ASMEND
	;;#ASMSTART
	v_dot2_f32_f16 v20, v64, v72, v20
	;;#ASMEND
	;;#ASMSTART
	v_dot2_f32_f16 v20, v65, v73, v20
	;;#ASMEND
	;;#ASMSTART
	v_dot2_f32_f16 v20, v66, v74, v20
	;;#ASMEND
	ds_load_b128 v[63:66], v36 offset:32
	ds_load_b128 v[67:70], v22 offset:32
	;; [unrolled: 29-line block ×31, first 2 shown]
	ds_load_b128 v[71:74], v22 offset:1008
	s_wait_dscnt 0x1
	;;#ASMSTART
	v_dot2_f32_f16 v19, v63, v67, v19
	;;#ASMEND
	;;#ASMSTART
	v_dot2_f32_f16 v19, v64, v68, v19
	;;#ASMEND
	;; [unrolled: 3-line block ×4, first 2 shown]
	s_wait_dscnt 0x0
	;;#ASMSTART
	v_dot2_f32_f16 v20, v63, v71, v20
	;;#ASMEND
	;;#ASMSTART
	v_dot2_f32_f16 v20, v64, v72, v20
	;;#ASMEND
	;; [unrolled: 3-line block ×4, first 2 shown]
	global_load_u16 v79, v[79:80], off
	s_wait_loadcnt 0x0
	s_barrier_signal -1
	s_barrier_wait -1
	global_inv scope:SCOPE_SE
	s_clause 0x3
	global_load_b128 v[63:66], v[81:82], off
	global_load_b128 v[67:70], v[83:84], off
	;; [unrolled: 1-line block ×4, first 2 shown]
	v_cvt_f32_f16_e32 v79, v79
	s_delay_alu instid0(VALU_DEP_1) | instskip(SKIP_2) | instid1(VALU_DEP_2)
	v_add_f32_e32 v80, v19, v79
	v_add_f32_e32 v79, v20, v79
	v_max_num_f32_e32 v93, v61, v61
	v_dual_add_f32 v19, 0x40051340, v80 :: v_dual_add_f32 v20, 0x40051340, v79
	s_delay_alu instid0(VALU_DEP_1) | instskip(SKIP_4) | instid1(VALU_DEP_1)
	v_dual_max_num_f32 v19, v93, v19 :: v_dual_max_num_f32 v20, v94, v20
	ds_bpermute_b32 v81, v58, v19
	ds_bpermute_b32 v58, v58, v20
	s_wait_dscnt 0x0
	v_dual_max_num_f32 v58, v58, v58 :: v_dual_max_num_f32 v81, v81, v81
	v_dual_max_num_f32 v20, v20, v58 :: v_dual_max_num_f32 v19, v19, v81
	ds_bpermute_b32 v81, v89, v20
	ds_bpermute_b32 v58, v89, v19
	s_wait_dscnt 0x0
	v_max_num_f32_e32 v58, v58, v58
	s_delay_alu instid0(VALU_DEP_1) | instskip(SKIP_3) | instid1(VALU_DEP_1)
	v_max_num_f32_e32 v19, v19, v58
	ds_bpermute_b32 v58, v90, v19
	s_wait_dscnt 0x0
	v_dual_max_num_f32 v81, v81, v81 :: v_dual_max_num_f32 v58, v58, v58
	v_dual_max_num_f32 v20, v20, v81 :: v_dual_max_num_f32 v19, v19, v58
	ds_bpermute_b32 v81, v90, v20
	ds_bpermute_b32 v58, v91, v19
	s_wait_dscnt 0x0
	v_dual_max_num_f32 v81, v81, v81 :: v_dual_max_num_f32 v58, v58, v58
	s_delay_alu instid0(VALU_DEP_1) | instskip(SKIP_4) | instid1(VALU_DEP_1)
	v_dual_max_num_f32 v20, v20, v81 :: v_dual_max_num_f32 v19, v19, v58
	ds_bpermute_b32 v81, v91, v20
	ds_bpermute_b32 v58, v92, v19
	s_wait_dscnt 0x0
	v_dual_max_num_f32 v81, v81, v81 :: v_dual_max_num_f32 v58, v58, v58
	v_max_num_f32_e32 v20, v20, v81
	ds_bpermute_b32 v81, v92, v20
	s_wait_dscnt 0x0
	v_max_num_f32_e32 v81, v81, v81
	s_delay_alu instid0(VALU_DEP_1) | instskip(NEXT) | instid1(VALU_DEP_1)
	v_dual_max_num_f32 v19, v19, v58 :: v_dual_max_num_f32 v20, v20, v81
	v_dual_sub_f32 v58, v61, v19 :: v_dual_sub_f32 v79, v79, v20
	s_delay_alu instid0(VALU_DEP_1) | instskip(SKIP_2) | instid1(VALU_DEP_4)
	v_dual_sub_f32 v61, v80, v19 :: v_dual_mul_f32 v80, 0x3fb8aa3b, v58
	v_sub_f32_e32 v60, v60, v20
	v_cmp_ngt_f32_e64 s4, 0xc2ce8ed0, v58
	v_cmp_ngt_f32_e64 s3, 0xc2ce8ed0, v79
	s_delay_alu instid0(VALU_DEP_4) | instskip(SKIP_3) | instid1(VALU_DEP_4)
	v_mul_f32_e32 v81, 0x3fb8aa3b, v61
	v_rndne_f32_e32 v85, v80
	v_dual_mul_f32 v82, 0x3fb8aa3b, v60 :: v_dual_mul_f32 v83, 0x3fb8aa3b, v79
	v_fma_f32 v84, 0x3fb8aa3b, v58, -v80
	v_fma_f32 v86, 0x3fb8aa3b, v61, -v81
	v_rndne_f32_e32 v87, v81
	s_delay_alu instid0(VALU_DEP_4)
	v_fma_f32 v88, 0x3fb8aa3b, v60, -v82
	v_rndne_f32_e32 v89, v82
	v_sub_f32_e32 v80, v80, v85
	v_fma_f32 v90, 0x3fb8aa3b, v79, -v83
	v_rndne_f32_e32 v91, v83
	v_dual_fmac_f32 v84, 0x32a5705f, v58 :: v_dual_sub_f32 v81, v81, v87
	v_fmac_f32_e32 v86, 0x32a5705f, v61
	s_delay_alu instid0(VALU_DEP_4) | instskip(NEXT) | instid1(VALU_DEP_4)
	v_fmac_f32_e32 v90, 0x32a5705f, v79
	v_dual_sub_f32 v83, v83, v91 :: v_dual_fmac_f32 v88, 0x32a5705f, v60
	v_sub_f32_e32 v82, v82, v89
	s_delay_alu instid0(VALU_DEP_4) | instskip(NEXT) | instid1(VALU_DEP_3)
	v_dual_add_f32 v80, v80, v84 :: v_dual_add_f32 v81, v81, v86
	v_add_f32_e32 v83, v83, v90
	v_cvt_i32_f32_e32 v85, v85
	s_delay_alu instid0(VALU_DEP_4) | instskip(NEXT) | instid1(VALU_DEP_4)
	v_add_f32_e32 v82, v82, v88
	v_exp_f32_e32 v80, v80
	v_exp_f32_e32 v81, v81
	v_exp_f32_e32 v83, v83
	v_cvt_i32_f32_e32 v87, v87
	v_exp_f32_e32 v82, v82
	v_cvt_i32_f32_e32 v89, v89
	v_cvt_i32_f32_e32 v91, v91
	v_cmp_ngt_f32_e32 vcc_lo, 0xc2ce8ed0, v61
	v_cmp_ngt_f32_e64 s2, 0xc2ce8ed0, v60
	v_ldexp_f32 v80, v80, v85
	s_delay_alu instid0(TRANS32_DEP_3) | instskip(NEXT) | instid1(TRANS32_DEP_2)
	v_ldexp_f32 v81, v81, v87
	v_ldexp_f32 v83, v83, v91
	s_delay_alu instid0(TRANS32_DEP_1)
	v_ldexp_f32 v82, v82, v89
	s_wait_alu 0xf1ff
	v_cndmask_b32_e64 v80, 0, v80, s4
	v_cmp_nlt_f32_e64 s4, 0x42b17218, v58
	s_wait_alu 0xfffd
	v_cndmask_b32_e32 v58, 0, v81, vcc_lo
	v_cmp_nlt_f32_e32 vcc_lo, 0x42b17218, v60
	v_cndmask_b32_e64 v81, 0, v82, s2
	v_cndmask_b32_e64 v82, 0, v83, s3
	v_cmp_nlt_f32_e64 s2, 0x42b17218, v79
	v_cmp_nlt_f32_e64 s3, 0x42b17218, v61
	s_wait_alu 0xfffd
	v_cndmask_b32_e32 v61, 0x7f800000, v81, vcc_lo
	s_wait_alu 0xf1ff
	v_cndmask_b32_e64 v79, 0x7f800000, v82, s2
	v_cndmask_b32_e64 v60, 0x7f800000, v58, s3
	;; [unrolled: 1-line block ×3, first 2 shown]
	v_cvt_f16_f32_e32 v82, v61
	s_delay_alu instid0(VALU_DEP_4) | instskip(NEXT) | instid1(VALU_DEP_4)
	v_cvt_f16_f32_e32 v83, v79
	v_cvt_f16_f32_e32 v80, v60
	s_delay_alu instid0(VALU_DEP_4) | instskip(SKIP_2) | instid1(VALU_DEP_4)
	v_cvt_f16_f32_e32 v81, v58
	v_fmac_f32_e32 v60, v59, v58
	v_dual_mov_b32 v58, v79 :: v_dual_and_b32 v79, 0xffff, v82
	v_pack_b32_f16 v80, v80, v83
	s_delay_alu instid0(VALU_DEP_4)
	v_and_b32_e32 v59, 0xffff, v81
	ds_store_b32 v42, v80
	s_wait_loadcnt 0x3
	ds_store_b128 v37, v[63:66]
	s_wait_loadcnt 0x2
	ds_store_b128 v39, v[67:70]
	;; [unrolled: 2-line block ×4, first 2 shown]
	v_fmac_f32_e32 v58, v62, v61
	v_mul_u32_u24_e32 v137, 0x10001, v79
	s_wait_dscnt 0x0
	s_barrier_signal -1
	s_barrier_wait -1
	global_inv scope:SCOPE_SE
	ds_load_2addr_b64 v[61:64], v23 offset1:32
	ds_load_b128 v[65:68], v38
	ds_load_b128 v[69:72], v38 offset:16
	ds_load_b128 v[73:76], v38 offset:32
	;; [unrolled: 1-line block ×3, first 2 shown]
	ds_load_2addr_b64 v[81:84], v23 offset0:64 offset1:96
	ds_load_2addr_b64 v[85:88], v23 offset0:128 offset1:160
	ds_load_2addr_b64 v[89:92], v23 offset0:192 offset1:224
	ds_load_2addr_b64 v[93:96], v43 offset1:32
	ds_load_2addr_b64 v[97:100], v43 offset0:64 offset1:96
	ds_load_2addr_b64 v[101:104], v43 offset0:128 offset1:160
	ds_load_2addr_b64 v[105:108], v43 offset0:192 offset1:224
	ds_load_2addr_b64 v[109:112], v44 offset1:32
	ds_load_2addr_b64 v[113:116], v44 offset0:64 offset1:96
	ds_load_2addr_b64 v[117:120], v44 offset0:128 offset1:160
	ds_load_2addr_b64 v[121:124], v44 offset0:192 offset1:224
	ds_load_2addr_b64 v[125:128], v45 offset1:32
	ds_load_2addr_b64 v[129:132], v45 offset0:64 offset1:96
	ds_load_2addr_b64 v[133:136], v45 offset0:128 offset1:160
	v_mul_u32_u24_e32 v59, 0x10001, v59
	v_pk_mul_f16 v53, v53, v137
	s_wait_dscnt 0x11
	v_and_b32_e32 v138, 0xffff, v65
	v_lshrrev_b32_e32 v65, 16, v65
	v_pk_mul_f16 v52, v52, v137
	v_pk_mul_f16 v50, v50, v137
	;; [unrolled: 1-line block ×3, first 2 shown]
	v_mul_u32_u24_e32 v138, 0x10001, v138
	v_mul_u32_u24_e32 v65, 0x10001, v65
	v_pk_mul_f16 v55, v55, v59
	v_pk_mul_f16 v56, v56, v59
	s_wait_dscnt 0xf
	v_and_b32_e32 v144, 0xffff, v76
	v_pk_mul_f16 v139, v61, v138
	v_pk_mul_f16 v140, v61, v65
	v_pk_fma_f16 v141, v62, v65, v53
	v_pk_fma_f16 v143, v63, v65, v52
	;; [unrolled: 1-line block ×3, first 2 shown]
	v_and_b32_e32 v65, 0xffff, v66
	v_pk_fma_f16 v57, v62, v138, v57
	v_pk_fma_f16 v142, v63, v138, v55
	v_pk_fma_f16 v56, v64, v138, v56
	v_pk_fma_f16 v59, v54, v59, v139
	v_lshrrev_b32_e32 v66, 16, v66
	v_mul_u32_u24_e32 v65, 0x10001, v65
	v_pk_fma_f16 v51, v51, v137, v140
	v_lshrrev_b32_e32 v140, 16, v67
	ds_load_2addr_b64 v[61:64], v45 offset0:192 offset1:224
	v_mul_u32_u24_e32 v66, 0x10001, v66
	s_wait_dscnt 0xe
	v_pk_fma_f16 v57, v82, v65, v57
	v_pk_fma_f16 v138, v83, v65, v142
	;; [unrolled: 1-line block ×4, first 2 shown]
	v_and_b32_e32 v65, 0xffff, v67
	v_pk_fma_f16 v137, v82, v66, v141
	v_pk_fma_f16 v139, v83, v66, v143
	;; [unrolled: 1-line block ×4, first 2 shown]
	v_and_b32_e32 v142, 0xffff, v68
	v_mul_u32_u24_e32 v65, 0x10001, v65
	v_mul_u32_u24_e32 v140, 0x10001, v140
	v_lshrrev_b32_e32 v141, 16, v68
	ds_load_b128 v[81:84], v38 offset:64
	v_lshrrev_b32_e32 v143, 16, v76
	s_wait_dscnt 0xe
	v_pk_fma_f16 v57, v86, v65, v57
	v_pk_fma_f16 v138, v87, v65, v138
	;; [unrolled: 1-line block ×8, first 2 shown]
	v_mul_u32_u24_e32 v140, 0x10001, v142
	v_mul_u32_u24_e32 v141, 0x10001, v141
	v_and_b32_e32 v142, 0xffff, v72
	v_and_b32_e32 v146, 0xffff, v79
	v_lshrrev_b32_e32 v145, 16, v79
	s_wait_dscnt 0xd
	v_pk_fma_f16 v57, v90, v140, v57
	v_pk_fma_f16 v138, v91, v140, v138
	;; [unrolled: 1-line block ×4, first 2 shown]
	v_and_b32_e32 v140, 0xffff, v69
	v_lshrrev_b32_e32 v69, 16, v69
	v_pk_fma_f16 v137, v90, v141, v137
	v_pk_fma_f16 v139, v91, v141, v139
	;; [unrolled: 1-line block ×4, first 2 shown]
	v_mul_u32_u24_e32 v69, 0x10001, v69
	v_mul_u32_u24_e32 v140, 0x10001, v140
	v_lshrrev_b32_e32 v141, 16, v72
	v_mul_u32_u24_e32 v142, 0x10001, v142
	ds_load_2addr_b64 v[52:55], v46 offset1:32
	s_wait_dscnt 0xd
	v_pk_fma_f16 v137, v94, v69, v137
	v_pk_fma_f16 v139, v95, v69, v139
	;; [unrolled: 1-line block ×4, first 2 shown]
	v_and_b32_e32 v69, 0xffff, v70
	v_pk_fma_f16 v57, v94, v140, v57
	v_pk_fma_f16 v138, v95, v140, v138
	;; [unrolled: 1-line block ×4, first 2 shown]
	v_lshrrev_b32_e32 v70, 16, v70
	v_mul_u32_u24_e32 v69, 0x10001, v69
	v_lshrrev_b32_e32 v140, 16, v71
	v_mul_u32_u24_e32 v141, 0x10001, v141
	v_and_b32_e32 v148, 0xffff, v80
	v_mul_u32_u24_e32 v70, 0x10001, v70
	s_wait_dscnt 0xc
	v_pk_fma_f16 v57, v98, v69, v57
	v_pk_fma_f16 v138, v99, v69, v138
	;; [unrolled: 1-line block ×4, first 2 shown]
	v_and_b32_e32 v69, 0xffff, v71
	v_pk_fma_f16 v137, v98, v70, v137
	v_pk_fma_f16 v139, v99, v70, v139
	;; [unrolled: 1-line block ×4, first 2 shown]
	v_mul_u32_u24_e32 v69, 0x10001, v69
	v_mul_u32_u24_e32 v140, 0x10001, v140
	ds_load_b128 v[97:100], v38 offset:80
	ds_load_2addr_b64 v[65:68], v46 offset0:64 offset1:96
	v_lshrrev_b32_e32 v147, 16, v80
	s_wait_dscnt 0xd
	v_pk_fma_f16 v138, v103, v69, v138
	v_pk_fma_f16 v59, v101, v69, v59
	;; [unrolled: 1-line block ×6, first 2 shown]
	v_lshrrev_b32_e32 v140, 16, v73
	v_and_b32_e32 v73, 0xffff, v73
	v_pk_fma_f16 v57, v102, v69, v57
	v_pk_fma_f16 v56, v104, v69, v56
	s_wait_dscnt 0xc
	v_pk_fma_f16 v138, v107, v142, v138
	v_pk_fma_f16 v59, v105, v142, v59
	;; [unrolled: 1-line block ×4, first 2 shown]
	v_and_b32_e32 v139, 0xffff, v74
	v_mul_u32_u24_e32 v73, 0x10001, v73
	v_mul_u32_u24_e32 v105, 0x10001, v140
	v_pk_fma_f16 v57, v106, v142, v57
	v_pk_fma_f16 v56, v108, v142, v56
	;; [unrolled: 1-line block ×4, first 2 shown]
	v_lshrrev_b32_e32 v137, 16, v74
	s_wait_dscnt 0xb
	v_pk_fma_f16 v138, v111, v73, v138
	v_pk_fma_f16 v59, v109, v73, v59
	;; [unrolled: 1-line block ×3, first 2 shown]
	v_mul_u32_u24_e32 v109, 0x10001, v139
	v_lshrrev_b32_e32 v141, 16, v75
	v_and_b32_e32 v142, 0xffff, v75
	v_pk_fma_f16 v57, v110, v73, v57
	v_pk_fma_f16 v56, v112, v73, v56
	v_pk_fma_f16 v110, v110, v105, v106
	v_pk_fma_f16 v111, v111, v105, v107
	v_pk_fma_f16 v50, v112, v105, v50
	v_lshrrev_b32_e32 v140, 16, v77
	s_wait_dscnt 0xa
	v_pk_fma_f16 v112, v115, v109, v138
	v_and_b32_e32 v138, 0xffff, v77
	v_mul_u32_u24_e32 v77, 0x10001, v137
	v_pk_fma_f16 v57, v114, v109, v57
	v_pk_fma_f16 v56, v116, v109, v56
	;; [unrolled: 1-line block ×3, first 2 shown]
	v_lshrrev_b32_e32 v137, 16, v78
	v_pk_fma_f16 v109, v114, v77, v110
	v_pk_fma_f16 v110, v115, v77, v111
	;; [unrolled: 1-line block ×4, first 2 shown]
	v_mul_u32_u24_e32 v77, 0x10001, v142
	v_mul_u32_u24_e32 v111, 0x10001, v141
	s_wait_dscnt 0x3
	v_lshrrev_b32_e32 v141, 16, v81
	v_mul_u32_u24_e32 v116, 0x10001, v144
	v_and_b32_e32 v142, 0xffff, v81
	v_pk_fma_f16 v113, v119, v77, v112
	v_pk_fma_f16 v114, v118, v111, v109
	;; [unrolled: 1-line block ×5, first 2 shown]
	v_mul_u32_u24_e32 v81, 0x10001, v143
	v_pk_fma_f16 v57, v118, v77, v57
	v_pk_fma_f16 v59, v117, v77, v59
	;; [unrolled: 1-line block ×3, first 2 shown]
	v_and_b32_e32 v139, 0xffff, v78
	v_pk_fma_f16 v114, v122, v81, v114
	v_pk_fma_f16 v115, v123, v81, v115
	;; [unrolled: 1-line block ×4, first 2 shown]
	v_mul_u32_u24_e32 v81, 0x10001, v138
	v_pk_fma_f16 v56, v120, v77, v56
	v_pk_fma_f16 v57, v122, v116, v57
	;; [unrolled: 1-line block ×3, first 2 shown]
	v_mul_u32_u24_e32 v120, 0x10001, v139
	v_pk_fma_f16 v117, v127, v81, v113
	v_mul_u32_u24_e32 v113, 0x10001, v140
	v_pk_fma_f16 v56, v124, v116, v56
	v_pk_fma_f16 v57, v126, v81, v57
	;; [unrolled: 1-line block ×8, first 2 shown]
	s_wait_dscnt 0x1
	v_lshrrev_b32_e32 v125, 16, v97
	v_and_b32_e32 v126, 0xffff, v97
	v_mul_u32_u24_e32 v97, 0x10001, v137
	v_pk_fma_f16 v56, v128, v81, v56
	v_pk_fma_f16 v57, v130, v120, v57
	;; [unrolled: 1-line block ×3, first 2 shown]
	ds_load_2addr_b64 v[85:88], v46 offset0:128 offset1:160
	v_pk_fma_f16 v118, v130, v97, v118
	v_pk_fma_f16 v119, v131, v97, v119
	;; [unrolled: 1-line block ×4, first 2 shown]
	v_mul_u32_u24_e32 v97, 0x10001, v146
	v_pk_fma_f16 v56, v132, v120, v56
	ds_load_2addr_b64 v[89:92], v46 offset0:192 offset1:224
	v_lshrrev_b32_e32 v121, 16, v82
	v_and_b32_e32 v122, 0xffff, v82
	v_pk_fma_f16 v137, v135, v97, v117
	v_mul_u32_u24_e32 v117, 0x10001, v145
	v_pk_fma_f16 v57, v134, v97, v57
	v_pk_fma_f16 v56, v136, v97, v56
	;; [unrolled: 1-line block ×3, first 2 shown]
	v_mul_u32_u24_e32 v140, 0x10001, v141
	v_pk_fma_f16 v50, v136, v117, v50
	v_mul_u32_u24_e32 v136, 0x10001, v148
	v_pk_fma_f16 v134, v134, v117, v118
	v_pk_fma_f16 v135, v135, v117, v119
	;; [unrolled: 1-line block ×3, first 2 shown]
	ds_load_2addr_b64 v[93:96], v47 offset1:32
	v_pk_fma_f16 v57, v62, v136, v57
	v_pk_fma_f16 v137, v63, v136, v137
	;; [unrolled: 1-line block ×4, first 2 shown]
	v_mul_u32_u24_e32 v136, 0x10001, v147
	v_lshrrev_b32_e32 v123, 16, v83
	v_and_b32_e32 v124, 0xffff, v83
	v_mul_u32_u24_e32 v122, 0x10001, v122
	v_mul_u32_u24_e32 v121, 0x10001, v121
	v_pk_fma_f16 v134, v62, v136, v134
	v_pk_fma_f16 v135, v63, v136, v135
	;; [unrolled: 1-line block ×4, first 2 shown]
	v_mul_u32_u24_e32 v61, 0x10001, v142
	v_pk_fma_f16 v134, v53, v140, v134
	ds_load_2addr_b64 v[69:72], v47 offset0:64 offset1:96
	v_lshrrev_b32_e32 v143, 16, v84
	v_and_b32_e32 v144, 0xffff, v84
	v_pk_fma_f16 v57, v53, v61, v57
	v_pk_fma_f16 v137, v54, v61, v137
	;; [unrolled: 1-line block ×7, first 2 shown]
	s_wait_dscnt 0x4
	v_pk_fma_f16 v57, v66, v122, v57
	v_pk_fma_f16 v137, v67, v122, v137
	;; [unrolled: 1-line block ×8, first 2 shown]
	v_mul_u32_u24_e32 v65, 0x10001, v124
	v_mul_u32_u24_e32 v123, 0x10001, v123
	ds_load_2addr_b64 v[101:104], v47 offset0:128 offset1:160
	ds_load_b128 v[77:80], v38 offset:96
	ds_load_b128 v[117:120], v38 offset:112
	s_wait_dscnt 0x6
	v_pk_fma_f16 v57, v86, v65, v57
	v_pk_fma_f16 v124, v87, v65, v137
	v_pk_fma_f16 v56, v88, v65, v56
	v_pk_fma_f16 v59, v85, v65, v59
	v_mul_u32_u24_e32 v137, 0x10001, v144
	v_mul_u32_u24_e32 v142, 0x10001, v143
	v_pk_fma_f16 v86, v86, v123, v122
	v_pk_fma_f16 v54, v87, v123, v54
	;; [unrolled: 1-line block ×4, first 2 shown]
	ds_load_2addr_b64 v[73:76], v47 offset0:192 offset1:224
	v_lshrrev_b32_e32 v127, 16, v98
	v_and_b32_e32 v128, 0xffff, v98
	v_mul_u32_u24_e32 v126, 0x10001, v126
	v_mul_u32_u24_e32 v125, 0x10001, v125
	s_wait_dscnt 0x6
	v_pk_fma_f16 v57, v90, v137, v57
	v_pk_fma_f16 v86, v90, v142, v86
	;; [unrolled: 1-line block ×8, first 2 shown]
	ds_load_2addr_b64 v[105:108], v48 offset1:32
	v_lshrrev_b32_e32 v129, 16, v99
	v_and_b32_e32 v130, 0xffff, v99
	v_mul_u32_u24_e32 v128, 0x10001, v128
	v_mul_u32_u24_e32 v127, 0x10001, v127
	s_wait_dscnt 0x6
	v_pk_fma_f16 v57, v94, v126, v57
	v_pk_fma_f16 v86, v94, v125, v86
	;; [unrolled: 1-line block ×8, first 2 shown]
	ds_load_2addr_b64 v[109:112], v48 offset0:64 offset1:96
	v_lshrrev_b32_e32 v131, 16, v100
	v_and_b32_e32 v132, 0xffff, v100
	v_mul_u32_u24_e32 v130, 0x10001, v130
	v_mul_u32_u24_e32 v129, 0x10001, v129
	s_wait_dscnt 0x6
	v_pk_fma_f16 v57, v70, v128, v57
	v_pk_fma_f16 v70, v70, v127, v86
	v_pk_fma_f16 v86, v71, v128, v87
	v_pk_fma_f16 v54, v71, v127, v54
	v_pk_fma_f16 v56, v72, v128, v56
	v_pk_fma_f16 v55, v72, v127, v55
	v_pk_fma_f16 v59, v69, v128, v59
	v_pk_fma_f16 v69, v69, v127, v85
	ds_load_2addr_b64 v[81:84], v48 offset0:128 offset1:160
	s_wait_dscnt 0x5
	v_lshrrev_b32_e32 v133, 16, v77
	v_and_b32_e32 v77, 0xffff, v77
	v_mul_u32_u24_e32 v132, 0x10001, v132
	v_mul_u32_u24_e32 v131, 0x10001, v131
	v_pk_fma_f16 v57, v102, v130, v57
	v_pk_fma_f16 v70, v102, v129, v70
	;; [unrolled: 1-line block ×8, first 2 shown]
	ds_load_2addr_b64 v[113:116], v48 offset0:192 offset1:224
	v_lshrrev_b32_e32 v136, 16, v78
	v_and_b32_e32 v78, 0xffff, v78
	v_mul_u32_u24_e32 v77, 0x10001, v77
	v_mul_u32_u24_e32 v133, 0x10001, v133
	s_wait_dscnt 0x4
	v_pk_fma_f16 v57, v74, v132, v57
	v_pk_fma_f16 v70, v74, v131, v70
	;; [unrolled: 1-line block ×8, first 2 shown]
	ds_load_2addr_b64 v[97:100], v49 offset1:32
	v_lshrrev_b32_e32 v138, 16, v79
	v_and_b32_e32 v79, 0xffff, v79
	v_mul_u32_u24_e32 v78, 0x10001, v78
	v_mul_u32_u24_e32 v136, 0x10001, v136
	s_wait_dscnt 0x4
	v_pk_fma_f16 v57, v106, v77, v57
	v_pk_fma_f16 v70, v106, v133, v70
	;; [unrolled: 1-line block ×8, first 2 shown]
	v_lshrrev_b32_e32 v139, 16, v80
	v_and_b32_e32 v80, 0xffff, v80
	ds_load_2addr_b64 v[61:64], v49 offset0:64 offset1:96
	v_mul_u32_u24_e32 v79, 0x10001, v79
	v_mul_u32_u24_e32 v138, 0x10001, v138
	s_wait_dscnt 0x4
	v_pk_fma_f16 v57, v110, v78, v57
	v_pk_fma_f16 v70, v110, v136, v70
	;; [unrolled: 1-line block ×8, first 2 shown]
	ds_load_2addr_b64 v[50:53], v49 offset0:128 offset1:160
	v_lshrrev_b32_e32 v140, 16, v117
	v_and_b32_e32 v117, 0xffff, v117
	v_mul_u32_u24_e32 v80, 0x10001, v80
	v_mul_u32_u24_e32 v139, 0x10001, v139
	s_wait_dscnt 0x4
	v_pk_fma_f16 v57, v82, v79, v57
	v_pk_fma_f16 v70, v82, v138, v70
	;; [unrolled: 1-line block ×8, first 2 shown]
	ds_load_2addr_b64 v[65:68], v49 offset0:192 offset1:224
	s_wait_loadcnt_dscnt 0x0
	s_barrier_signal -1
	s_barrier_wait -1
	global_inv scope:SCOPE_SE
	s_load_b32 s2, s[24:25], 0x4
	v_lshrrev_b32_e32 v134, 16, v118
	v_and_b32_e32 v118, 0xffff, v118
	v_mul_u32_u24_e32 v117, 0x10001, v117
	v_mul_u32_u24_e32 v140, 0x10001, v140
	v_pk_fma_f16 v57, v114, v80, v57
	v_pk_fma_f16 v70, v114, v139, v70
	v_pk_fma_f16 v71, v115, v80, v71
	v_pk_fma_f16 v54, v115, v139, v54
	v_pk_fma_f16 v56, v116, v80, v56
	v_pk_fma_f16 v55, v116, v139, v55
	v_pk_fma_f16 v59, v113, v80, v59
	v_pk_fma_f16 v69, v113, v139, v69
	v_lshrrev_b32_e32 v135, 16, v119
	v_and_b32_e32 v119, 0xffff, v119
	v_mul_u32_u24_e32 v118, 0x10001, v118
	v_mul_u32_u24_e32 v134, 0x10001, v134
	v_pk_fma_f16 v57, v98, v117, v57
	v_pk_fma_f16 v70, v98, v140, v70
	v_pk_fma_f16 v71, v99, v117, v71
	v_pk_fma_f16 v54, v99, v140, v54
	v_pk_fma_f16 v56, v100, v117, v56
	v_pk_fma_f16 v55, v100, v140, v55
	v_pk_fma_f16 v59, v97, v117, v59
	v_pk_fma_f16 v69, v97, v140, v69
	;; [unrolled: 12-line block ×3, first 2 shown]
	v_mul_u32_u24_e32 v120, 0x10001, v120
	v_mul_u32_u24_e32 v141, 0x10001, v141
	v_pk_fma_f16 v57, v51, v119, v57
	v_pk_fma_f16 v51, v51, v135, v62
	;; [unrolled: 1-line block ×8, first 2 shown]
	s_wait_kmcnt 0x0
	s_lshl_b32 s2, s2, 5
	v_pk_fma_f16 v57, v66, v120, v57
	v_pk_fma_f16 v53, v66, v141, v51
	;; [unrolled: 1-line block ×8, first 2 shown]
	s_wait_alu 0xfffe
	s_add_co_i32 s14, s2, s14
	s_wait_alu 0xfffe
	s_cmp_ge_i32 s14, s34
	s_cbranch_scc0 .LBB30_9
; %bb.10:
	v_mov_b32_e32 v3, v24
.LBB30_11:
	v_cmp_lt_i32_e32 vcc_lo, v30, v25
	s_cmp_lg_u64 s[12:13], 0
	s_cselect_b32 s2, -1, 0
	s_cmp_eq_u32 s10, 0
	s_wait_alu 0xfffd
	v_cndmask_b32_e32 v2, v3, v30, vcc_lo
	v_cmp_lt_i32_e32 vcc_lo, v29, v25
	s_cselect_b32 s3, -1, 0
	s_wait_alu 0xfffe
	s_and_b32 s2, s3, s2
	s_wait_alu 0xfffd
	v_cndmask_b32_e32 v5, v3, v29, vcc_lo
	v_cmp_lt_i32_e32 vcc_lo, v28, v25
	s_delay_alu instid0(VALU_DEP_2)
	v_lshlrev_b32_e32 v5, 2, v5
	s_wait_alu 0xfffd
	v_dual_cndmask_b32 v7, v3, v28 :: v_dual_lshlrev_b32 v2, 2, v2
	v_cmp_lt_i32_e32 vcc_lo, v27, v25
	ds_bpermute_b32 v4, v2, v60
	ds_bpermute_b32 v2, v2, v58
	s_wait_dscnt 0x1
	v_dual_add_f32 v4, v60, v4 :: v_dual_lshlrev_b32 v7, 2, v7
	s_wait_dscnt 0x0
	v_add_f32_e32 v2, v58, v2
	ds_bpermute_b32 v6, v5, v4
	ds_bpermute_b32 v5, v5, v2
	s_wait_dscnt 0x1
	v_add_f32_e32 v4, v4, v6
	s_wait_dscnt 0x0
	v_add_f32_e32 v2, v2, v5
	ds_bpermute_b32 v5, v7, v4
	ds_bpermute_b32 v6, v7, v2
	s_wait_alu 0xfffd
	v_cndmask_b32_e32 v7, v3, v27, vcc_lo
	v_cmp_lt_i32_e32 vcc_lo, v26, v25
	s_delay_alu instid0(VALU_DEP_2)
	v_lshlrev_b32_e32 v7, 2, v7
	s_wait_alu 0xfffd
	v_cndmask_b32_e32 v3, v3, v26, vcc_lo
	s_wait_alu 0xfffe
	s_and_b32 vcc_lo, exec_lo, s2
	s_wait_dscnt 0x1
	s_delay_alu instid0(VALU_DEP_1)
	v_dual_add_f32 v4, v4, v5 :: v_dual_lshlrev_b32 v3, 2, v3
	s_wait_dscnt 0x0
	v_add_f32_e32 v2, v2, v6
	ds_bpermute_b32 v5, v7, v4
	ds_bpermute_b32 v6, v7, v2
	s_wait_dscnt 0x0
	v_dual_add_f32 v4, v4, v5 :: v_dual_add_f32 v5, v2, v6
	ds_bpermute_b32 v2, v3, v4
	ds_bpermute_b32 v3, v3, v5
	s_wait_dscnt 0x0
	v_dual_add_f32 v2, v4, v2 :: v_dual_add_f32 v3, v5, v3
	s_wait_alu 0xfffe
	s_cbranch_vccz .LBB30_14
; %bb.12:
	s_ashr_i32 s31, s30, 31
	v_mov_b32_e32 v4, 0
	s_lshl_b64 s[2:3], s[30:31], 2
	s_wait_alu 0xfffe
	s_add_nc_u64 s[2:3], s[12:13], s[2:3]
	global_load_b64 v[4:5], v4, s[2:3]
	v_max_num_f32_e32 v6, v19, v19
	v_max_num_f32_e32 v8, v20, v20
	s_wait_loadcnt 0x0
	v_max_num_f32_e32 v7, v4, v4
	s_delay_alu instid0(VALU_DEP_1) | instskip(NEXT) | instid1(VALU_DEP_1)
	v_dual_max_num_f32 v9, v5, v5 :: v_dual_max_num_f32 v6, v6, v7
	v_dual_max_num_f32 v7, v8, v9 :: v_dual_sub_f32 v8, v19, v6
	s_delay_alu instid0(VALU_DEP_1) | instskip(SKIP_1) | instid1(VALU_DEP_3)
	v_sub_f32_e32 v9, v20, v7
	v_dual_sub_f32 v5, v5, v7 :: v_dual_sub_f32 v4, v4, v6
	v_cmp_ngt_f32_e32 vcc_lo, 0xc2ce8ed0, v8
	s_delay_alu instid0(VALU_DEP_3) | instskip(NEXT) | instid1(VALU_DEP_3)
	v_mul_f32_e32 v12, 0x3fb8aa3b, v9
	v_mul_f32_e32 v13, 0x3fb8aa3b, v5
	s_delay_alu instid0(VALU_DEP_4) | instskip(NEXT) | instid1(VALU_DEP_3)
	v_mul_f32_e32 v11, 0x3fb8aa3b, v4
	v_fma_f32 v18, 0x3fb8aa3b, v9, -v12
	v_rndne_f32_e32 v19, v12
	s_delay_alu instid0(VALU_DEP_3)
	v_rndne_f32_e32 v17, v11
	v_mul_f32_e32 v10, 0x3fb8aa3b, v8
	v_fma_f32 v16, 0x3fb8aa3b, v4, -v11
	v_fma_f32 v20, 0x3fb8aa3b, v5, -v13
	v_rndne_f32_e32 v22, v13
	v_sub_f32_e32 v11, v11, v17
	v_fma_f32 v14, 0x3fb8aa3b, v8, -v10
	v_rndne_f32_e32 v15, v10
	v_fmac_f32_e32 v16, 0x32a5705f, v4
	v_sub_f32_e32 v12, v12, v19
	v_fmac_f32_e32 v20, 0x32a5705f, v5
	v_dual_fmac_f32 v14, 0x32a5705f, v8 :: v_dual_sub_f32 v13, v13, v22
	s_delay_alu instid0(VALU_DEP_4) | instskip(SKIP_2) | instid1(VALU_DEP_3)
	v_dual_sub_f32 v10, v10, v15 :: v_dual_add_f32 v11, v11, v16
	v_fmac_f32_e32 v18, 0x32a5705f, v9
	v_cvt_i32_f32_e32 v16, v19
	v_dual_add_f32 v13, v13, v20 :: v_dual_add_f32 v10, v10, v14
	v_cvt_i32_f32_e32 v14, v15
	s_delay_alu instid0(VALU_DEP_4)
	v_add_f32_e32 v12, v12, v18
	v_exp_f32_e32 v11, v11
	v_cvt_i32_f32_e32 v15, v17
	v_exp_f32_e32 v10, v10
	v_exp_f32_e32 v13, v13
	;; [unrolled: 1-line block ×3, first 2 shown]
	v_dual_mov_b32 v20, v7 :: v_dual_mov_b32 v19, v6
	v_ldexp_f32 v11, v11, v15
	s_delay_alu instid0(TRANS32_DEP_3) | instskip(SKIP_1) | instid1(TRANS32_DEP_1)
	v_ldexp_f32 v10, v10, v14
	v_cvt_i32_f32_e32 v14, v22
	v_ldexp_f32 v12, v12, v16
	s_wait_alu 0xfffd
	s_delay_alu instid0(VALU_DEP_3)
	v_cndmask_b32_e32 v10, 0, v10, vcc_lo
	v_cmp_ngt_f32_e32 vcc_lo, 0xc2ce8ed0, v9
	v_ldexp_f32 v13, v13, v14
	s_wait_alu 0xfffd
	v_cndmask_b32_e32 v12, 0, v12, vcc_lo
	v_cmp_nlt_f32_e32 vcc_lo, 0x42b17218, v8
	s_wait_alu 0xfffd
	v_cndmask_b32_e32 v8, 0x7f800000, v10, vcc_lo
	v_cmp_ngt_f32_e32 vcc_lo, 0xc2ce8ed0, v4
	s_wait_alu 0xfffd
	v_cndmask_b32_e32 v10, 0, v11, vcc_lo
	v_cmp_nlt_f32_e32 vcc_lo, 0x42b17218, v9
	v_cvt_f16_f32_e32 v11, v8
	s_wait_alu 0xfffd
	v_cndmask_b32_e32 v9, 0x7f800000, v12, vcc_lo
	v_cmp_ngt_f32_e32 vcc_lo, 0xc2ce8ed0, v5
	s_wait_alu 0xfffd
	v_dual_cndmask_b32 v12, 0, v13 :: v_dual_and_b32 v11, 0xffff, v11
	v_cmp_nlt_f32_e32 vcc_lo, 0x42b17218, v4
	s_wait_alu 0xfffd
	v_cndmask_b32_e32 v4, 0x7f800000, v10, vcc_lo
	v_cvt_f16_f32_e32 v10, v9
	v_cmp_nlt_f32_e32 vcc_lo, 0x42b17218, v5
	s_delay_alu instid0(VALU_DEP_3) | instskip(NEXT) | instid1(VALU_DEP_3)
	v_fmac_f32_e32 v4, v2, v8
	v_and_b32_e32 v8, 0xffff, v10
	s_wait_alu 0xfffd
	v_cndmask_b32_e32 v5, 0x7f800000, v12, vcc_lo
	v_mul_u32_u24_e32 v10, 0x10001, v11
	s_delay_alu instid0(VALU_DEP_2) | instskip(SKIP_1) | instid1(VALU_DEP_3)
	v_dual_mov_b32 v2, v4 :: v_dual_fmac_f32 v5, v3, v9
	v_mul_u32_u24_e32 v3, 0x10001, v8
	v_pk_mul_f16 v54, v54, v10
	v_pk_mul_f16 v57, v57, v10
	;; [unrolled: 1-line block ×8, first 2 shown]
	v_mov_b32_e32 v3, v5
	s_mov_b32 s2, exec_lo
	v_cmpx_gt_i32_e64 s22, v1
	s_cbranch_execnz .LBB30_15
.LBB30_13:
	s_nop 0
	s_sendmsg sendmsg(MSG_DEALLOC_VGPRS)
	s_endpgm
.LBB30_14:
	s_delay_alu instid0(VALU_DEP_1)
	v_dual_mov_b32 v5, v3 :: v_dual_mov_b32 v4, v2
	s_mov_b32 s2, exec_lo
	v_cmpx_gt_i32_e64 s22, v1
	s_cbranch_execz .LBB30_13
.LBB30_15:
	s_load_b32 s1, s[0:1], 0xd4
	v_mov_b32_e32 v6, 1.0
	s_wait_kmcnt 0x0
	s_cmp_lg_u32 s1, 1
	s_cselect_b32 s3, -1, 0
	s_cmp_eq_u32 s1, 1
	s_cselect_b32 s2, -1, 0
	s_wait_alu 0xfffe
	s_and_b32 vcc_lo, exec_lo, s3
	s_wait_alu 0xfffe
	s_cbranch_vccnz .LBB30_17
; %bb.16:
	v_div_scale_f32 v6, null, v2, v2, 1.0
	s_delay_alu instid0(VALU_DEP_1) | instskip(NEXT) | instid1(TRANS32_DEP_1)
	v_rcp_f32_e32 v7, v6
	v_fma_f32 v8, -v6, v7, 1.0
	s_delay_alu instid0(VALU_DEP_1) | instskip(SKIP_1) | instid1(VALU_DEP_1)
	v_fmac_f32_e32 v7, v8, v7
	v_div_scale_f32 v8, vcc_lo, 1.0, v2, 1.0
	v_mul_f32_e32 v9, v8, v7
	s_delay_alu instid0(VALU_DEP_1) | instskip(NEXT) | instid1(VALU_DEP_1)
	v_fma_f32 v10, -v6, v9, v8
	v_fmac_f32_e32 v9, v10, v7
	s_delay_alu instid0(VALU_DEP_1) | instskip(SKIP_1) | instid1(VALU_DEP_1)
	v_fma_f32 v6, -v6, v9, v8
	s_wait_alu 0xfffd
	v_div_fmas_f32 v6, v6, v7, v9
	s_delay_alu instid0(VALU_DEP_1)
	v_div_fixup_f32 v6, v6, v2, 1.0
.LBB30_17:
	v_mad_co_u64_u32 v[1:2], null, s28, s22, v[1:2]
	v_cmp_eq_u32_e32 vcc_lo, 0, v0
	v_lshrrev_b32_e32 v7, 16, v57
	v_cvt_f32_f16_e32 v8, v57
	v_lshrrev_b32_e32 v10, 16, v54
	v_cvt_f32_f16_e32 v11, v54
	v_mov_b32_e32 v2, 0
	v_mad_co_u64_u32 v[0:1], null, v1, s23, s[30:31]
	v_cvt_f32_f16_e32 v15, v55
	v_cvt_f32_f16_e32 v17, v7
	v_mul_f32_e32 v9, v6, v8
	v_cvt_f32_f16_e32 v8, v10
	v_mul_f32_e32 v7, v6, v11
	v_mul_f32_e32 v11, v6, v15
	v_mad_co_u64_u32 v[0:1], null, s1, v0, s[10:11]
	v_lshrrev_b32_e32 v12, 16, v56
	v_lshrrev_b32_e32 v14, 16, v55
	v_cvt_f32_f16_e32 v13, v56
	v_mul_f32_e32 v10, v6, v17
	v_mul_f32_e32 v8, v6, v8
	v_cvt_f32_f16_e32 v12, v12
	v_lshl_add_u32 v1, v0, 8, v21
	v_cvt_f32_f16_e32 v18, v14
	v_mul_f32_e32 v13, v6, v13
	s_delay_alu instid0(VALU_DEP_4) | instskip(NEXT) | instid1(VALU_DEP_4)
	v_mul_f32_e32 v14, v6, v12
	v_lshlrev_b64_e32 v[15:16], 2, v[1:2]
	s_delay_alu instid0(VALU_DEP_4) | instskip(NEXT) | instid1(VALU_DEP_1)
	v_dual_mul_f32 v12, v6, v18 :: v_dual_add_nc_u32 v1, 0x80, v1
	v_lshlrev_b64_e32 v[1:2], 2, v[1:2]
	s_delay_alu instid0(VALU_DEP_3) | instskip(SKIP_1) | instid1(VALU_DEP_4)
	v_add_co_u32 v15, s0, s16, v15
	s_wait_alu 0xf1ff
	v_add_co_ci_u32_e64 v16, null, s17, v16, s0
	s_delay_alu instid0(VALU_DEP_3)
	v_add_co_u32 v1, s0, s16, v1
	s_wait_alu 0xf1ff
	v_add_co_ci_u32_e64 v2, null, s17, v2, s0
	s_and_b32 s0, vcc_lo, s3
	s_clause 0x1
	global_store_b128 v[15:16], v[7:10], off
	global_store_b128 v[1:2], v[11:14], off
	s_wait_alu 0xfffe
	s_and_saveexec_b32 s3, s0
	s_cbranch_execz .LBB30_19
; %bb.18:
	v_ashrrev_i32_e32 v1, 31, v0
	v_dual_mov_b32 v6, v19 :: v_dual_mov_b32 v7, v4
	s_delay_alu instid0(VALU_DEP_2) | instskip(NEXT) | instid1(VALU_DEP_1)
	v_lshlrev_b64_e32 v[1:2], 3, v[0:1]
	v_add_co_u32 v1, vcc_lo, s18, v1
	s_wait_alu 0xfffd
	s_delay_alu instid0(VALU_DEP_2)
	v_add_co_ci_u32_e64 v2, null, s19, v2, vcc_lo
	global_store_b64 v[1:2], v[6:7], off
.LBB30_19:
	s_wait_alu 0xfffe
	s_or_b32 exec_lo, exec_lo, s3
	v_mov_b32_e32 v1, 1.0
	s_and_not1_b32 vcc_lo, exec_lo, s2
	s_wait_alu 0xfffe
	s_cbranch_vccnz .LBB30_21
; %bb.20:
	v_div_scale_f32 v1, null, v3, v3, 1.0
	s_delay_alu instid0(VALU_DEP_1) | instskip(NEXT) | instid1(TRANS32_DEP_1)
	v_rcp_f32_e32 v2, v1
	v_fma_f32 v4, -v1, v2, 1.0
	s_delay_alu instid0(VALU_DEP_1) | instskip(SKIP_1) | instid1(VALU_DEP_1)
	v_fmac_f32_e32 v2, v4, v2
	v_div_scale_f32 v4, vcc_lo, 1.0, v3, 1.0
	v_mul_f32_e32 v6, v4, v2
	s_delay_alu instid0(VALU_DEP_1) | instskip(NEXT) | instid1(VALU_DEP_1)
	v_fma_f32 v7, -v1, v6, v4
	v_fmac_f32_e32 v6, v7, v2
	s_delay_alu instid0(VALU_DEP_1) | instskip(SKIP_1) | instid1(VALU_DEP_1)
	v_fma_f32 v1, -v1, v6, v4
	s_wait_alu 0xfffd
	v_div_fmas_f32 v1, v1, v2, v6
	s_delay_alu instid0(VALU_DEP_1)
	v_div_fixup_f32 v1, v1, v3, 1.0
.LBB30_21:
	v_lshrrev_b32_e32 v2, 16, v53
	v_dual_mov_b32 v3, 0 :: v_dual_add_nc_u32 v0, s1, v0
	v_lshrrev_b32_e32 v4, 16, v51
	v_cvt_f32_f16_e32 v6, v53
	s_delay_alu instid0(VALU_DEP_4) | instskip(NEXT) | instid1(VALU_DEP_4)
	v_cvt_f32_f16_e32 v7, v2
	v_lshl_add_u32 v2, v0, 8, v21
	v_cvt_f32_f16_e32 v12, v51
	v_cvt_f32_f16_e32 v4, v4
	v_mul_f32_e32 v8, v1, v6
	v_mul_f32_e32 v9, v1, v7
	v_lshlrev_b64_e32 v[10:11], 2, v[2:3]
	v_mul_f32_e32 v6, v1, v12
	v_lshrrev_b32_e32 v12, 16, v52
	v_dual_mul_f32 v7, v1, v4 :: v_dual_add_nc_u32 v2, 0x80, v2
	v_lshrrev_b32_e32 v4, 16, v50
	v_cvt_f32_f16_e32 v14, v50
	s_delay_alu instid0(VALU_DEP_4) | instskip(NEXT) | instid1(VALU_DEP_4)
	v_cvt_f32_f16_e32 v15, v12
	v_lshlrev_b64_e32 v[12:13], 2, v[2:3]
	v_cvt_f32_f16_e32 v16, v52
	v_cvt_f32_f16_e32 v4, v4
	v_add_co_u32 v10, vcc_lo, s16, v10
	s_wait_alu 0xfffd
	v_add_co_ci_u32_e64 v11, null, s17, v11, vcc_lo
	v_add_co_u32 v12, vcc_lo, s16, v12
	v_mul_f32_e32 v4, v1, v4
	v_mul_f32_e32 v3, v1, v14
	;; [unrolled: 1-line block ×4, first 2 shown]
	s_wait_alu 0xfffd
	v_add_co_ci_u32_e64 v13, null, s17, v13, vcc_lo
	s_clause 0x1
	global_store_b128 v[10:11], v[6:9], off
	global_store_b128 v[12:13], v[1:4], off
	s_and_b32 exec_lo, exec_lo, s0
	s_cbranch_execz .LBB30_13
; %bb.22:
	v_ashrrev_i32_e32 v1, 31, v0
	v_mov_b32_e32 v4, v20
	s_delay_alu instid0(VALU_DEP_2) | instskip(NEXT) | instid1(VALU_DEP_1)
	v_lshlrev_b64_e32 v[0:1], 3, v[0:1]
	v_add_co_u32 v0, vcc_lo, s18, v0
	s_wait_alu 0xfffd
	s_delay_alu instid0(VALU_DEP_2)
	v_add_co_ci_u32_e64 v1, null, s19, v1, vcc_lo
	global_store_b64 v[0:1], v[4:5], off
	s_nop 0
	s_sendmsg sendmsg(MSG_DEALLOC_VGPRS)
	s_endpgm
	.section	.rodata,"a",@progbits
	.p2align	6, 0x0
	.amdhsa_kernel _ZL15flash_attn_tileILi256ELi256ELi8ELi2ELb0EEvPKcS1_S1_S1_S1_PKiPfP15HIP_vector_typeIfLj2EEffffjfiS5_IjLj3EEiiiiiiiiiiiliiliiiiil
		.amdhsa_group_segment_fixed_size 26112
		.amdhsa_private_segment_fixed_size 0
		.amdhsa_kernarg_size 464
		.amdhsa_user_sgpr_count 2
		.amdhsa_user_sgpr_dispatch_ptr 0
		.amdhsa_user_sgpr_queue_ptr 0
		.amdhsa_user_sgpr_kernarg_segment_ptr 1
		.amdhsa_user_sgpr_dispatch_id 0
		.amdhsa_user_sgpr_private_segment_size 0
		.amdhsa_wavefront_size32 1
		.amdhsa_uses_dynamic_stack 0
		.amdhsa_enable_private_segment 0
		.amdhsa_system_sgpr_workgroup_id_x 1
		.amdhsa_system_sgpr_workgroup_id_y 1
		.amdhsa_system_sgpr_workgroup_id_z 1
		.amdhsa_system_sgpr_workgroup_info 0
		.amdhsa_system_vgpr_workitem_id 1
		.amdhsa_next_free_vgpr 149
		.amdhsa_next_free_sgpr 42
		.amdhsa_reserve_vcc 1
		.amdhsa_float_round_mode_32 0
		.amdhsa_float_round_mode_16_64 0
		.amdhsa_float_denorm_mode_32 3
		.amdhsa_float_denorm_mode_16_64 3
		.amdhsa_fp16_overflow 0
		.amdhsa_workgroup_processor_mode 1
		.amdhsa_memory_ordered 1
		.amdhsa_forward_progress 1
		.amdhsa_inst_pref_size 78
		.amdhsa_round_robin_scheduling 0
		.amdhsa_exception_fp_ieee_invalid_op 0
		.amdhsa_exception_fp_denorm_src 0
		.amdhsa_exception_fp_ieee_div_zero 0
		.amdhsa_exception_fp_ieee_overflow 0
		.amdhsa_exception_fp_ieee_underflow 0
		.amdhsa_exception_fp_ieee_inexact 0
		.amdhsa_exception_int_div_zero 0
	.end_amdhsa_kernel
	.section	.text._ZL15flash_attn_tileILi256ELi256ELi8ELi2ELb0EEvPKcS1_S1_S1_S1_PKiPfP15HIP_vector_typeIfLj2EEffffjfiS5_IjLj3EEiiiiiiiiiiiliiliiiiil,"axG",@progbits,_ZL15flash_attn_tileILi256ELi256ELi8ELi2ELb0EEvPKcS1_S1_S1_S1_PKiPfP15HIP_vector_typeIfLj2EEffffjfiS5_IjLj3EEiiiiiiiiiiiliiliiiiil,comdat
.Lfunc_end30:
	.size	_ZL15flash_attn_tileILi256ELi256ELi8ELi2ELb0EEvPKcS1_S1_S1_S1_PKiPfP15HIP_vector_typeIfLj2EEffffjfiS5_IjLj3EEiiiiiiiiiiiliiliiiiil, .Lfunc_end30-_ZL15flash_attn_tileILi256ELi256ELi8ELi2ELb0EEvPKcS1_S1_S1_S1_PKiPfP15HIP_vector_typeIfLj2EEffffjfiS5_IjLj3EEiiiiiiiiiiiliiliiiiil
                                        ; -- End function
	.set _ZL15flash_attn_tileILi256ELi256ELi8ELi2ELb0EEvPKcS1_S1_S1_S1_PKiPfP15HIP_vector_typeIfLj2EEffffjfiS5_IjLj3EEiiiiiiiiiiiliiliiiiil.num_vgpr, 149
	.set _ZL15flash_attn_tileILi256ELi256ELi8ELi2ELb0EEvPKcS1_S1_S1_S1_PKiPfP15HIP_vector_typeIfLj2EEffffjfiS5_IjLj3EEiiiiiiiiiiiliiliiiiil.num_agpr, 0
	.set _ZL15flash_attn_tileILi256ELi256ELi8ELi2ELb0EEvPKcS1_S1_S1_S1_PKiPfP15HIP_vector_typeIfLj2EEffffjfiS5_IjLj3EEiiiiiiiiiiiliiliiiiil.numbered_sgpr, 42
	.set _ZL15flash_attn_tileILi256ELi256ELi8ELi2ELb0EEvPKcS1_S1_S1_S1_PKiPfP15HIP_vector_typeIfLj2EEffffjfiS5_IjLj3EEiiiiiiiiiiiliiliiiiil.num_named_barrier, 0
	.set _ZL15flash_attn_tileILi256ELi256ELi8ELi2ELb0EEvPKcS1_S1_S1_S1_PKiPfP15HIP_vector_typeIfLj2EEffffjfiS5_IjLj3EEiiiiiiiiiiiliiliiiiil.private_seg_size, 0
	.set _ZL15flash_attn_tileILi256ELi256ELi8ELi2ELb0EEvPKcS1_S1_S1_S1_PKiPfP15HIP_vector_typeIfLj2EEffffjfiS5_IjLj3EEiiiiiiiiiiiliiliiiiil.uses_vcc, 1
	.set _ZL15flash_attn_tileILi256ELi256ELi8ELi2ELb0EEvPKcS1_S1_S1_S1_PKiPfP15HIP_vector_typeIfLj2EEffffjfiS5_IjLj3EEiiiiiiiiiiiliiliiiiil.uses_flat_scratch, 0
	.set _ZL15flash_attn_tileILi256ELi256ELi8ELi2ELb0EEvPKcS1_S1_S1_S1_PKiPfP15HIP_vector_typeIfLj2EEffffjfiS5_IjLj3EEiiiiiiiiiiiliiliiiiil.has_dyn_sized_stack, 0
	.set _ZL15flash_attn_tileILi256ELi256ELi8ELi2ELb0EEvPKcS1_S1_S1_S1_PKiPfP15HIP_vector_typeIfLj2EEffffjfiS5_IjLj3EEiiiiiiiiiiiliiliiiiil.has_recursion, 0
	.set _ZL15flash_attn_tileILi256ELi256ELi8ELi2ELb0EEvPKcS1_S1_S1_S1_PKiPfP15HIP_vector_typeIfLj2EEffffjfiS5_IjLj3EEiiiiiiiiiiiliiliiiiil.has_indirect_call, 0
	.section	.AMDGPU.csdata,"",@progbits
; Kernel info:
; codeLenInByte = 9904
; TotalNumSgprs: 44
; NumVgprs: 149
; ScratchSize: 0
; MemoryBound: 0
; FloatMode: 240
; IeeeMode: 1
; LDSByteSize: 26112 bytes/workgroup (compile time only)
; SGPRBlocks: 0
; VGPRBlocks: 18
; NumSGPRsForWavesPerEU: 44
; NumVGPRsForWavesPerEU: 149
; Occupancy: 9
; WaveLimiterHint : 1
; COMPUTE_PGM_RSRC2:SCRATCH_EN: 0
; COMPUTE_PGM_RSRC2:USER_SGPR: 2
; COMPUTE_PGM_RSRC2:TRAP_HANDLER: 0
; COMPUTE_PGM_RSRC2:TGID_X_EN: 1
; COMPUTE_PGM_RSRC2:TGID_Y_EN: 1
; COMPUTE_PGM_RSRC2:TGID_Z_EN: 1
; COMPUTE_PGM_RSRC2:TIDIG_COMP_CNT: 1
	.section	.text._ZL33flash_attn_stream_k_fixup_uniformILi256ELi8ELi2EEvPfPK15HIP_vector_typeIfLj2EEiiiiiiS1_IjLj3EES5_S5_,"axG",@progbits,_ZL33flash_attn_stream_k_fixup_uniformILi256ELi8ELi2EEvPfPK15HIP_vector_typeIfLj2EEiiiiiiS1_IjLj3EES5_S5_,comdat
	.globl	_ZL33flash_attn_stream_k_fixup_uniformILi256ELi8ELi2EEvPfPK15HIP_vector_typeIfLj2EEiiiiiiS1_IjLj3EES5_S5_ ; -- Begin function _ZL33flash_attn_stream_k_fixup_uniformILi256ELi8ELi2EEvPfPK15HIP_vector_typeIfLj2EEiiiiiiS1_IjLj3EES5_S5_
	.p2align	8
	.type	_ZL33flash_attn_stream_k_fixup_uniformILi256ELi8ELi2EEvPfPK15HIP_vector_typeIfLj2EEiiiiiiS1_IjLj3EES5_S5_,@function
_ZL33flash_attn_stream_k_fixup_uniformILi256ELi8ELi2EEvPfPK15HIP_vector_typeIfLj2EEiiiiiiS1_IjLj3EES5_S5_: ; @_ZL33flash_attn_stream_k_fixup_uniformILi256ELi8ELi2EEvPfPK15HIP_vector_typeIfLj2EEiiiiiiS1_IjLj3EES5_S5_
; %bb.0:
	s_clause 0x1
	s_load_b256 s[4:11], s[0:1], 0x1c
	s_load_b128 s[12:15], s[0:1], 0x3c
	s_wait_kmcnt 0x0
	s_mul_hi_u32 s2, s7, ttmp9
	s_delay_alu instid0(SALU_CYCLE_1) | instskip(NEXT) | instid1(SALU_CYCLE_1)
	s_add_co_i32 s2, ttmp9, s2
	s_lshr_b32 s2, s2, s8
	s_delay_alu instid0(SALU_CYCLE_1) | instskip(SKIP_2) | instid1(SALU_CYCLE_1)
	s_mul_i32 s3, s2, s9
	s_load_b64 s[8:9], s[0:1], 0x10
	s_sub_co_i32 s7, ttmp9, s3
	s_mul_hi_u32 s3, s7, s10
	s_delay_alu instid0(SALU_CYCLE_1) | instskip(NEXT) | instid1(SALU_CYCLE_1)
	s_add_co_i32 s3, s7, s3
	s_lshr_b32 s3, s3, s11
	s_delay_alu instid0(SALU_CYCLE_1) | instskip(NEXT) | instid1(SALU_CYCLE_1)
	s_mul_i32 s10, s3, s12
	s_sub_co_i32 s7, s7, s10
	s_delay_alu instid0(SALU_CYCLE_1) | instskip(NEXT) | instid1(SALU_CYCLE_1)
	s_mul_hi_u32 s10, s7, s13
	s_add_co_i32 s10, s7, s10
	s_delay_alu instid0(SALU_CYCLE_1) | instskip(NEXT) | instid1(SALU_CYCLE_1)
	s_lshr_b32 s12, s10, s14
	s_mul_i32 s10, s12, s15
	s_lshl_b32 s12, s12, 1
	s_sub_co_i32 s11, s7, s10
	s_and_b32 s7, ttmp7, 0xffff
	s_lshl_b32 s13, s11, 3
	s_lshr_b32 s10, ttmp7, 16
	s_add_co_i32 s13, s13, s7
	s_wait_kmcnt 0x0
	s_cmp_lt_i32 s13, s8
	s_cselect_b32 s13, -1, 0
	s_add_co_i32 s14, s12, s10
	s_delay_alu instid0(SALU_CYCLE_1) | instskip(SKIP_1) | instid1(SALU_CYCLE_1)
	s_cmp_lt_i32 s14, s5
	s_cselect_b32 s14, -1, 0
	s_and_b32 s13, s13, s14
	s_delay_alu instid0(SALU_CYCLE_1)
	s_and_not1_b32 vcc_lo, exec_lo, s13
	s_cbranch_vccnz .LBB31_6
; %bb.1:
	s_mul_i32 s2, s2, s8
	s_mul_i32 s5, s3, s5
	s_add_co_i32 s2, s2, s7
	s_delay_alu instid0(SALU_CYCLE_1) | instskip(NEXT) | instid1(SALU_CYCLE_1)
	s_mul_i32 s2, s2, s9
	s_add_co_i32 s8, s2, s10
	s_load_b128 s[0:3], s[0:1], 0x0
	s_add_co_i32 s5, s8, s5
	s_mul_i32 s8, s9, s11
	s_add_co_i32 s5, s5, s12
	s_lshl_b32 s8, s8, 11
	s_lshl_b32 s5, s5, 8
	s_delay_alu instid0(SALU_CYCLE_1)
	s_add_co_i32 s8, s8, s5
	s_lshl_b32 s5, s7, 1
	v_or_b32_e32 v1, s8, v0
	s_mul_i32 s8, s6, ttmp9
	s_wait_alu 0xfffe
	s_add_co_i32 s9, s8, s6
	s_wait_alu 0xfffe
	s_add_co_i32 s12, s9, -2
	v_ashrrev_i32_e32 v2, 31, v1
	s_delay_alu instid0(VALU_DEP_1) | instskip(SKIP_1) | instid1(VALU_DEP_1)
	v_lshlrev_b64_e32 v[1:2], 2, v[1:2]
	s_wait_kmcnt 0x0
	v_add_co_u32 v1, vcc_lo, s0, v1
	s_delay_alu instid0(VALU_DEP_1)
	v_add_co_ci_u32_e64 v2, null, s1, v2, vcc_lo
	s_add_co_i32 s0, s5, s10
	s_lshl_b32 s1, s9, 4
	global_load_b32 v5, v[1:2], off
	s_wait_alu 0xfffe
	s_add_co_i32 s0, s0, s1
	s_wait_alu 0xfffe
	s_add_co_i32 s0, s0, -16
	s_wait_alu 0xfffe
	s_ashr_i32 s1, s0, 31
	s_wait_alu 0xfffe
	s_lshl_b64 s[0:1], s[0:1], 3
	s_cmp_lt_i32 s12, s8
	s_wait_alu 0xfffe
	s_add_nc_u64 s[0:1], s[2:3], s[0:1]
	s_load_b32 s11, s[0:1], 0x4
	s_cbranch_scc1 .LBB31_4
; %bb.2:
	s_load_b32 s0, s[0:1], 0x0
	s_add_co_i32 s13, ttmp9, 1
	s_lshl_b32 s12, s4, 6
	s_mul_i32 s1, s6, s13
	s_lshl_b32 s6, s7, 9
	s_lshl_b32 s7, s10, 8
	s_wait_alu 0xfffe
	s_lshl_b32 s14, s1, 12
	s_add_co_i32 s6, s7, s6
	s_lshl_b32 s1, s1, 4
	s_add_co_i32 s14, s6, s14
	s_wait_alu 0xfffe
	s_add_co_i32 s1, s10, s1
	v_or_b32_e32 v0, s14, v0
	s_lshl_b32 s4, s4, 4
	s_ashr_i32 s13, s12, 31
	s_wait_alu 0xfffe
	s_add_co_i32 s1, s1, s4
	s_wait_kmcnt 0x0
	v_dual_mov_b32 v6, s11 :: v_dual_add_nc_u32 v3, 0xffffe000, v0
	s_lshl_b64 s[6:7], s[12:13], 2
	s_wait_alu 0xfffe
	s_add_co_i32 s4, s1, s5
	s_add_nc_u64 s[6:7], s[2:3], s[6:7]
	s_add_co_i32 s1, s9, -1
	s_sub_co_i32 s4, s4, 32
.LBB31_3:                               ; =>This Inner Loop Header: Depth=1
	v_ashrrev_i32_e32 v4, 31, v3
	s_ashr_i32 s5, s4, 31
	v_mov_b32_e32 v10, v6
	s_lshl_b64 s[10:11], s[4:5], 3
	s_wait_loadcnt 0x0
	v_mov_b32_e32 v9, v5
	v_lshlrev_b64_e32 v[7:8], 2, v[3:4]
	s_wait_alu 0xfffe
	s_add_nc_u64 s[10:11], s[2:3], s[10:11]
	v_max_num_f32_e64 v4, s0, s0
	s_load_b64 s[10:11], s[10:11], 0x0
	v_add_nc_u32_e32 v3, 0xfffff000, v3
	v_add_co_u32 v7, vcc_lo, s6, v7
	s_wait_alu 0xfffd
	v_add_co_ci_u32_e64 v8, null, s7, v8, vcc_lo
	v_readfirstlane_b32 s5, v4
	global_load_b32 v0, v[7:8], off
	s_wait_kmcnt 0x0
	v_max_num_f32_e64 v4, s10, s10
	s_delay_alu instid0(VALU_DEP_1) | instskip(SKIP_1) | instid1(SALU_CYCLE_3)
	v_readfirstlane_b32 s9, v4
	s_max_num_f32 s5, s5, s9
	s_sub_f32 s0, s0, s5
	s_sub_f32 s9, s10, s5
	s_wait_alu 0xfffe
	s_delay_alu instid0(SALU_CYCLE_1) | instskip(NEXT) | instid1(SALU_CYCLE_1)
	s_mul_f32 s10, s0, 0x3fb8aa3b
	s_mul_f32 s12, s9, 0x3fb8aa3b
	s_wait_alu 0xfffe
	s_delay_alu instid0(SALU_CYCLE_1)
	s_xor_b32 s13, s10, 0x80000000
	s_rndne_f32 s14, s10
	s_fmamk_f32 s13, s0, 0x3fb8aa3b, s13
	s_cmp_nlt_f32 s0, 0xc2ce8ed0
	s_rndne_f32 s15, s12
	s_wait_alu 0xfffe
	s_sub_f32 s10, s10, s14
	s_fmamk_f32 s13, s0, 0x32a5705f, s13
	s_cvt_i32_f32 s14, s14
	s_cselect_b32 vcc_lo, -1, 0
	s_cmp_ngt_f32 s0, 0x42b17218
	s_wait_alu 0xfffe
	s_add_f32 s10, s10, s13
	s_sub_f32 s13, s12, s15
	s_wait_alu 0xfffe
	s_delay_alu instid0(SALU_CYCLE_1) | instskip(SKIP_1) | instid1(TRANS32_DEP_1)
	v_s_exp_f32 s10, s10
	s_wait_alu 0xf1ff
	v_ldexp_f32 v4, s10, s14
	s_cvt_i32_f32 s10, s15
	s_delay_alu instid0(VALU_DEP_1) | instskip(SKIP_3) | instid1(VALU_DEP_1)
	v_cndmask_b32_e32 v4, 0, v4, vcc_lo
	s_cselect_b32 vcc_lo, -1, 0
	s_cmp_ge_f32 s0, 0xc1a00000
	s_wait_alu 0xfffe
	v_cndmask_b32_e32 v4, 0x7f800000, v4, vcc_lo
	s_cselect_b32 vcc_lo, -1, 0
	s_xor_b32 s0, s12, 0x80000000
	s_cmp_nlt_f32 s9, 0xc2ce8ed0
	s_wait_alu 0xfffe
	s_fmamk_f32 s0, s9, 0x3fb8aa3b, s0
	s_wait_alu 0xfffe
	s_delay_alu instid0(SALU_CYCLE_2) | instskip(SKIP_1) | instid1(SALU_CYCLE_2)
	s_fmamk_f32 s0, s9, 0x32a5705f, s0
	s_wait_alu 0xfffe
	s_add_f32 s0, s13, s0
	s_wait_alu 0xfffe
	s_delay_alu instid0(SALU_CYCLE_2) | instskip(SKIP_1) | instid1(TRANS32_DEP_1)
	v_s_exp_f32 s0, s0
	s_wait_alu 0xf1ff
	v_ldexp_f32 v7, s0, s10
	s_cselect_b32 s0, -1, 0
	s_cmp_ngt_f32 s9, 0x42b17218
	s_wait_alu 0xfffe
	s_delay_alu instid0(VALU_DEP_1) | instskip(SKIP_3) | instid1(VALU_DEP_1)
	v_cndmask_b32_e64 v7, 0, v7, s0
	s_cselect_b32 s0, -1, 0
	s_cmp_ge_f32 s9, 0xc1a00000
	s_wait_alu 0xfffe
	v_cndmask_b32_e64 v7, 0x7f800000, v7, s0
	s_cselect_b32 s0, -1, 0
	s_add_co_i32 s1, s1, -1
	s_add_co_i32 s4, s4, -16
	s_wait_alu 0xfffe
	s_cmp_le_i32 s1, s8
	v_cndmask_b32_e64 v7, 0, v7, s0
	s_mov_b32 s0, s5
	s_wait_loadcnt 0x0
	s_delay_alu instid0(VALU_DEP_1) | instskip(NEXT) | instid1(VALU_DEP_1)
	v_dual_mul_f32 v5, v0, v7 :: v_dual_cndmask_b32 v4, 0, v4
	v_dual_mul_f32 v8, s11, v7 :: v_dual_fmac_f32 v5, v9, v4
	s_delay_alu instid0(VALU_DEP_1) | instskip(NEXT) | instid1(VALU_DEP_1)
	v_mov_b32_e32 v6, v8
	v_fmac_f32_e32 v6, v10, v4
	s_cbranch_scc0 .LBB31_3
	s_branch .LBB31_5
.LBB31_4:
	s_wait_kmcnt 0x0
	v_mov_b32_e32 v6, s11
.LBB31_5:
	s_wait_loadcnt 0x0
	s_delay_alu instid0(VALU_DEP_1) | instskip(NEXT) | instid1(VALU_DEP_1)
	v_div_scale_f32 v0, null, v6, v6, v5
	v_rcp_f32_e32 v3, v0
	s_delay_alu instid0(TRANS32_DEP_1) | instskip(NEXT) | instid1(VALU_DEP_1)
	v_fma_f32 v4, -v0, v3, 1.0
	v_fmac_f32_e32 v3, v4, v3
	v_div_scale_f32 v4, vcc_lo, v5, v6, v5
	s_delay_alu instid0(VALU_DEP_1) | instskip(NEXT) | instid1(VALU_DEP_1)
	v_mul_f32_e32 v7, v4, v3
	v_fma_f32 v8, -v0, v7, v4
	s_delay_alu instid0(VALU_DEP_1) | instskip(NEXT) | instid1(VALU_DEP_1)
	v_fmac_f32_e32 v7, v8, v3
	v_fma_f32 v0, -v0, v7, v4
	s_wait_alu 0xfffd
	s_delay_alu instid0(VALU_DEP_1) | instskip(NEXT) | instid1(VALU_DEP_1)
	v_div_fmas_f32 v0, v0, v3, v7
	v_div_fixup_f32 v0, v0, v6, v5
	global_store_b32 v[1:2], v0, off
.LBB31_6:
	s_endpgm
	.section	.rodata,"a",@progbits
	.p2align	6, 0x0
	.amdhsa_kernel _ZL33flash_attn_stream_k_fixup_uniformILi256ELi8ELi2EEvPfPK15HIP_vector_typeIfLj2EEiiiiiiS1_IjLj3EES5_S5_
		.amdhsa_group_segment_fixed_size 0
		.amdhsa_private_segment_fixed_size 0
		.amdhsa_kernarg_size 76
		.amdhsa_user_sgpr_count 2
		.amdhsa_user_sgpr_dispatch_ptr 0
		.amdhsa_user_sgpr_queue_ptr 0
		.amdhsa_user_sgpr_kernarg_segment_ptr 1
		.amdhsa_user_sgpr_dispatch_id 0
		.amdhsa_user_sgpr_private_segment_size 0
		.amdhsa_wavefront_size32 1
		.amdhsa_uses_dynamic_stack 0
		.amdhsa_enable_private_segment 0
		.amdhsa_system_sgpr_workgroup_id_x 1
		.amdhsa_system_sgpr_workgroup_id_y 1
		.amdhsa_system_sgpr_workgroup_id_z 1
		.amdhsa_system_sgpr_workgroup_info 0
		.amdhsa_system_vgpr_workitem_id 0
		.amdhsa_next_free_vgpr 11
		.amdhsa_next_free_sgpr 16
		.amdhsa_reserve_vcc 1
		.amdhsa_float_round_mode_32 0
		.amdhsa_float_round_mode_16_64 0
		.amdhsa_float_denorm_mode_32 3
		.amdhsa_float_denorm_mode_16_64 3
		.amdhsa_fp16_overflow 0
		.amdhsa_workgroup_processor_mode 1
		.amdhsa_memory_ordered 1
		.amdhsa_forward_progress 1
		.amdhsa_inst_pref_size 9
		.amdhsa_round_robin_scheduling 0
		.amdhsa_exception_fp_ieee_invalid_op 0
		.amdhsa_exception_fp_denorm_src 0
		.amdhsa_exception_fp_ieee_div_zero 0
		.amdhsa_exception_fp_ieee_overflow 0
		.amdhsa_exception_fp_ieee_underflow 0
		.amdhsa_exception_fp_ieee_inexact 0
		.amdhsa_exception_int_div_zero 0
	.end_amdhsa_kernel
	.section	.text._ZL33flash_attn_stream_k_fixup_uniformILi256ELi8ELi2EEvPfPK15HIP_vector_typeIfLj2EEiiiiiiS1_IjLj3EES5_S5_,"axG",@progbits,_ZL33flash_attn_stream_k_fixup_uniformILi256ELi8ELi2EEvPfPK15HIP_vector_typeIfLj2EEiiiiiiS1_IjLj3EES5_S5_,comdat
.Lfunc_end31:
	.size	_ZL33flash_attn_stream_k_fixup_uniformILi256ELi8ELi2EEvPfPK15HIP_vector_typeIfLj2EEiiiiiiS1_IjLj3EES5_S5_, .Lfunc_end31-_ZL33flash_attn_stream_k_fixup_uniformILi256ELi8ELi2EEvPfPK15HIP_vector_typeIfLj2EEiiiiiiS1_IjLj3EES5_S5_
                                        ; -- End function
	.set _ZL33flash_attn_stream_k_fixup_uniformILi256ELi8ELi2EEvPfPK15HIP_vector_typeIfLj2EEiiiiiiS1_IjLj3EES5_S5_.num_vgpr, 11
	.set _ZL33flash_attn_stream_k_fixup_uniformILi256ELi8ELi2EEvPfPK15HIP_vector_typeIfLj2EEiiiiiiS1_IjLj3EES5_S5_.num_agpr, 0
	.set _ZL33flash_attn_stream_k_fixup_uniformILi256ELi8ELi2EEvPfPK15HIP_vector_typeIfLj2EEiiiiiiS1_IjLj3EES5_S5_.numbered_sgpr, 16
	.set _ZL33flash_attn_stream_k_fixup_uniformILi256ELi8ELi2EEvPfPK15HIP_vector_typeIfLj2EEiiiiiiS1_IjLj3EES5_S5_.num_named_barrier, 0
	.set _ZL33flash_attn_stream_k_fixup_uniformILi256ELi8ELi2EEvPfPK15HIP_vector_typeIfLj2EEiiiiiiS1_IjLj3EES5_S5_.private_seg_size, 0
	.set _ZL33flash_attn_stream_k_fixup_uniformILi256ELi8ELi2EEvPfPK15HIP_vector_typeIfLj2EEiiiiiiS1_IjLj3EES5_S5_.uses_vcc, 1
	.set _ZL33flash_attn_stream_k_fixup_uniformILi256ELi8ELi2EEvPfPK15HIP_vector_typeIfLj2EEiiiiiiS1_IjLj3EES5_S5_.uses_flat_scratch, 0
	.set _ZL33flash_attn_stream_k_fixup_uniformILi256ELi8ELi2EEvPfPK15HIP_vector_typeIfLj2EEiiiiiiS1_IjLj3EES5_S5_.has_dyn_sized_stack, 0
	.set _ZL33flash_attn_stream_k_fixup_uniformILi256ELi8ELi2EEvPfPK15HIP_vector_typeIfLj2EEiiiiiiS1_IjLj3EES5_S5_.has_recursion, 0
	.set _ZL33flash_attn_stream_k_fixup_uniformILi256ELi8ELi2EEvPfPK15HIP_vector_typeIfLj2EEiiiiiiS1_IjLj3EES5_S5_.has_indirect_call, 0
	.section	.AMDGPU.csdata,"",@progbits
; Kernel info:
; codeLenInByte = 1140
; TotalNumSgprs: 18
; NumVgprs: 11
; ScratchSize: 0
; MemoryBound: 0
; FloatMode: 240
; IeeeMode: 1
; LDSByteSize: 0 bytes/workgroup (compile time only)
; SGPRBlocks: 0
; VGPRBlocks: 1
; NumSGPRsForWavesPerEU: 18
; NumVGPRsForWavesPerEU: 11
; Occupancy: 16
; WaveLimiterHint : 0
; COMPUTE_PGM_RSRC2:SCRATCH_EN: 0
; COMPUTE_PGM_RSRC2:USER_SGPR: 2
; COMPUTE_PGM_RSRC2:TRAP_HANDLER: 0
; COMPUTE_PGM_RSRC2:TGID_X_EN: 1
; COMPUTE_PGM_RSRC2:TGID_Y_EN: 1
; COMPUTE_PGM_RSRC2:TGID_Z_EN: 1
; COMPUTE_PGM_RSRC2:TIDIG_COMP_CNT: 0
	.section	.text._ZL33flash_attn_stream_k_fixup_generalILi256ELi8ELi2EEvPfPK15HIP_vector_typeIfLj2EEiiiiS1_IjLj3EES5_S5_S5_,"axG",@progbits,_ZL33flash_attn_stream_k_fixup_generalILi256ELi8ELi2EEvPfPK15HIP_vector_typeIfLj2EEiiiiS1_IjLj3EES5_S5_S5_,comdat
	.globl	_ZL33flash_attn_stream_k_fixup_generalILi256ELi8ELi2EEvPfPK15HIP_vector_typeIfLj2EEiiiiS1_IjLj3EES5_S5_S5_ ; -- Begin function _ZL33flash_attn_stream_k_fixup_generalILi256ELi8ELi2EEvPfPK15HIP_vector_typeIfLj2EEiiiiS1_IjLj3EES5_S5_S5_
	.p2align	8
	.type	_ZL33flash_attn_stream_k_fixup_generalILi256ELi8ELi2EEvPfPK15HIP_vector_typeIfLj2EEiiiiS1_IjLj3EES5_S5_S5_,@function
_ZL33flash_attn_stream_k_fixup_generalILi256ELi8ELi2EEvPfPK15HIP_vector_typeIfLj2EEiiiiS1_IjLj3EES5_S5_S5_: ; @_ZL33flash_attn_stream_k_fixup_generalILi256ELi8ELi2EEvPfPK15HIP_vector_typeIfLj2EEiiiiS1_IjLj3EES5_S5_S5_
; %bb.0:
	s_clause 0x1
	s_load_b128 s[4:7], s[0:1], 0x10
	s_load_b32 s16, s[0:1], 0x50
	s_mov_b32 s2, ttmp9
	s_ashr_i32 s3, ttmp9, 31
	s_mov_b32 s17, 0
	s_delay_alu instid0(SALU_CYCLE_1) | instskip(SKIP_3) | instid1(SALU_CYCLE_1)
	s_mov_b32 s8, s17
	s_wait_kmcnt 0x0
	s_ashr_i32 s19, s7, 31
	s_mov_b32 s18, s7
	s_mul_u64 s[2:3], s[18:19], s[2:3]
	s_delay_alu instid0(SALU_CYCLE_1) | instskip(NEXT) | instid1(SALU_CYCLE_1)
	s_mov_b32 s9, s3
	s_cmp_lg_u64 s[8:9], 0
	s_cbranch_scc0 .LBB32_21
; %bb.1:
	s_add_nc_u64 s[8:9], s[16:17], 0
	s_mov_b32 s15, s17
	s_xor_b64 s[8:9], s[8:9], 0
	s_mov_b32 s23, s17
	s_cvt_f32_u32 s7, s8
	s_cvt_f32_u32 s10, s9
	s_sub_nc_u64 s[12:13], 0, s[8:9]
	s_delay_alu instid0(SALU_CYCLE_2) | instskip(NEXT) | instid1(SALU_CYCLE_3)
	s_fmamk_f32 s7, s10, 0x4f800000, s7
	v_s_rcp_f32 s7, s7
	s_delay_alu instid0(TRANS32_DEP_1) | instskip(SKIP_1) | instid1(SALU_CYCLE_2)
	s_mul_f32 s7, s7, 0x5f7ffffc
	s_wait_alu 0xfffe
	s_mul_f32 s10, s7, 0x2f800000
	s_delay_alu instid0(SALU_CYCLE_3) | instskip(NEXT) | instid1(SALU_CYCLE_3)
	s_trunc_f32 s10, s10
	s_fmamk_f32 s7, s10, 0xcf800000, s7
	s_cvt_u32_f32 s11, s10
	s_wait_alu 0xfffe
	s_delay_alu instid0(SALU_CYCLE_1) | instskip(NEXT) | instid1(SALU_CYCLE_3)
	s_cvt_u32_f32 s10, s7
	s_mul_u64 s[20:21], s[12:13], s[10:11]
	s_delay_alu instid0(SALU_CYCLE_1)
	s_mul_hi_u32 s25, s10, s21
	s_mul_i32 s24, s10, s21
	s_mul_hi_u32 s14, s10, s20
	s_mul_i32 s22, s11, s20
	s_add_nc_u64 s[14:15], s[14:15], s[24:25]
	s_mul_hi_u32 s7, s11, s20
	s_mul_hi_u32 s26, s11, s21
	s_add_co_u32 s14, s14, s22
	s_wait_alu 0xfffe
	s_add_co_ci_u32 s22, s15, s7
	s_mul_i32 s20, s11, s21
	s_add_co_ci_u32 s21, s26, 0
	s_delay_alu instid0(SALU_CYCLE_1)
	s_add_nc_u64 s[14:15], s[22:23], s[20:21]
	s_mov_b32 s21, s17
	s_add_co_u32 s10, s10, s14
	s_cselect_b32 s7, -1, 0
	s_wait_alu 0xfffe
	s_cmp_lg_u32 s7, 0
	s_add_co_ci_u32 s11, s11, s15
	s_mov_b32 s15, s17
	s_mul_u64 s[12:13], s[12:13], s[10:11]
	s_delay_alu instid0(SALU_CYCLE_1)
	s_mul_hi_u32 s23, s10, s13
	s_mul_i32 s22, s10, s13
	s_mul_hi_u32 s14, s10, s12
	s_mul_i32 s20, s11, s12
	s_add_nc_u64 s[14:15], s[14:15], s[22:23]
	s_mul_hi_u32 s7, s11, s12
	s_mul_hi_u32 s24, s11, s13
	s_mul_i32 s12, s11, s13
	s_add_co_u32 s13, s14, s20
	s_wait_alu 0xfffe
	s_add_co_ci_u32 s20, s15, s7
	s_add_co_ci_u32 s13, s24, 0
	s_mov_b32 s15, s17
	s_add_nc_u64 s[12:13], s[20:21], s[12:13]
	s_delay_alu instid0(SALU_CYCLE_1) | instskip(SKIP_1) | instid1(SALU_CYCLE_1)
	s_add_co_u32 s7, s10, s12
	s_cselect_b32 s10, -1, 0
	s_cmp_lg_u32 s10, 0
	s_add_co_ci_u32 s20, s11, s13
	s_ashr_i32 s10, s3, 31
	s_delay_alu instid0(SALU_CYCLE_1) | instskip(NEXT) | instid1(SALU_CYCLE_1)
	s_mov_b32 s11, s10
	s_add_nc_u64 s[12:13], s[2:3], s[10:11]
	s_delay_alu instid0(SALU_CYCLE_1) | instskip(NEXT) | instid1(SALU_CYCLE_1)
	s_xor_b64 s[12:13], s[12:13], s[10:11]
	s_mul_hi_u32 s23, s12, s20
	s_mul_i32 s22, s12, s20
	s_wait_alu 0xfffe
	s_mul_hi_u32 s14, s12, s7
	s_mul_hi_u32 s24, s13, s7
	s_mul_i32 s7, s13, s7
	s_add_nc_u64 s[14:15], s[14:15], s[22:23]
	s_mul_hi_u32 s3, s13, s20
	s_wait_alu 0xfffe
	s_add_co_u32 s7, s14, s7
	s_mul_i32 s22, s13, s20
	s_add_co_ci_u32 s20, s15, s24
	s_add_co_ci_u32 s23, s3, 0
	s_delay_alu instid0(SALU_CYCLE_1) | instskip(NEXT) | instid1(SALU_CYCLE_1)
	s_add_nc_u64 s[14:15], s[20:21], s[22:23]
	s_mul_u64 s[20:21], s[8:9], s[14:15]
	s_delay_alu instid0(SALU_CYCLE_1)
	s_sub_co_u32 s3, s12, s20
	s_cselect_b32 s7, -1, 0
	s_sub_co_i32 s12, s13, s21
	s_wait_alu 0xfffe
	s_cmp_lg_u32 s7, 0
	s_sub_co_ci_u32 s12, s12, s9
	s_sub_co_u32 s20, s3, s8
	s_cselect_b32 s22, -1, 0
	s_delay_alu instid0(SALU_CYCLE_1) | instskip(SKIP_2) | instid1(SALU_CYCLE_1)
	s_cmp_lg_u32 s22, 0
	s_add_nc_u64 s[22:23], s[14:15], 1
	s_sub_co_ci_u32 s12, s12, 0
	s_cmp_ge_u32 s12, s9
	s_cselect_b32 s24, -1, 0
	s_cmp_ge_u32 s20, s8
	s_cselect_b32 s20, -1, 0
	s_cmp_eq_u32 s12, s9
	s_cselect_b32 s12, s20, s24
	s_add_nc_u64 s[24:25], s[14:15], 2
	s_cmp_lg_u32 s12, 0
	s_cselect_b32 s12, s24, s22
	s_cselect_b32 s20, s25, s23
	s_cmp_lg_u32 s7, 0
	s_sub_co_ci_u32 s7, s13, s21
	s_wait_alu 0xfffe
	s_cmp_ge_u32 s7, s9
	s_cselect_b32 s13, -1, 0
	s_cmp_ge_u32 s3, s8
	s_cselect_b32 s3, -1, 0
	s_cmp_eq_u32 s7, s9
	s_cselect_b32 s3, s3, s13
	s_delay_alu instid0(SALU_CYCLE_1) | instskip(SKIP_4) | instid1(SALU_CYCLE_1)
	s_cmp_lg_u32 s3, 0
	s_mov_b32 s3, s17
	s_cselect_b32 s9, s20, s15
	s_cselect_b32 s8, s12, s14
	s_xor_b64 s[10:11], s[10:11], 0
	s_xor_b64 s[8:9], s[8:9], s[10:11]
	s_delay_alu instid0(SALU_CYCLE_1)
	s_sub_nc_u64 s[20:21], s[8:9], s[10:11]
	s_and_not1_b32 vcc_lo, exec_lo, s3
	s_cbranch_vccnz .LBB32_3
.LBB32_2:
	v_cvt_f32_u32_e32 v1, s16
	s_sub_co_i32 s7, 0, s16
	s_delay_alu instid0(VALU_DEP_1) | instskip(NEXT) | instid1(TRANS32_DEP_1)
	v_rcp_iflag_f32_e32 v1, v1
	v_mul_f32_e32 v1, 0x4f7ffffe, v1
	s_delay_alu instid0(VALU_DEP_1) | instskip(NEXT) | instid1(VALU_DEP_1)
	v_cvt_u32_f32_e32 v1, v1
	v_readfirstlane_b32 s3, v1
	s_wait_alu 0xfffe
	s_mul_i32 s7, s7, s3
	s_wait_alu 0xfffe
	s_mul_hi_u32 s7, s3, s7
	s_wait_alu 0xfffe
	s_add_co_i32 s3, s3, s7
	s_delay_alu instid0(SALU_CYCLE_1) | instskip(NEXT) | instid1(SALU_CYCLE_1)
	s_mul_hi_u32 s3, s2, s3
	s_mul_i32 s7, s3, s16
	s_wait_alu 0xfffe
	s_sub_co_i32 s2, s2, s7
	s_add_co_i32 s7, s3, 1
	s_sub_co_i32 s8, s2, s16
	s_cmp_ge_u32 s2, s16
	s_wait_alu 0xfffe
	s_cselect_b32 s3, s7, s3
	s_cselect_b32 s2, s8, s2
	s_add_co_i32 s7, s3, 1
	s_cmp_ge_u32 s2, s16
	s_wait_alu 0xfffe
	s_cselect_b32 s20, s7, s3
.LBB32_3:
	s_add_co_i32 s2, ttmp9, 1
	s_mov_b32 s8, 0
	s_ashr_i32 s3, s2, 31
	s_delay_alu instid0(SALU_CYCLE_1) | instskip(NEXT) | instid1(SALU_CYCLE_1)
	s_mul_u64 s[2:3], s[18:19], s[2:3]
	s_mov_b32 s9, s3
	s_delay_alu instid0(SALU_CYCLE_1)
	s_cmp_lg_u64 s[8:9], 0
	s_cbranch_scc0 .LBB32_22
; %bb.4:
	s_add_nc_u64 s[10:11], s[16:17], 0
	s_mov_b32 s23, s8
	s_xor_b64 s[10:11], s[10:11], 0
	s_mov_b32 s27, s8
	s_cvt_f32_u32 s7, s10
	s_cvt_f32_u32 s9, s11
	s_sub_nc_u64 s[14:15], 0, s[10:11]
	s_wait_alu 0xfffe
	s_delay_alu instid0(SALU_CYCLE_1) | instskip(SKIP_1) | instid1(SALU_CYCLE_2)
	s_fmamk_f32 s7, s9, 0x4f800000, s7
	s_wait_alu 0xfffe
	v_s_rcp_f32 s7, s7
	s_delay_alu instid0(TRANS32_DEP_1) | instskip(SKIP_1) | instid1(SALU_CYCLE_2)
	s_mul_f32 s7, s7, 0x5f7ffffc
	s_wait_alu 0xfffe
	s_mul_f32 s9, s7, 0x2f800000
	s_delay_alu instid0(SALU_CYCLE_3) | instskip(NEXT) | instid1(SALU_CYCLE_3)
	s_trunc_f32 s9, s9
	s_fmamk_f32 s7, s9, 0xcf800000, s7
	s_cvt_u32_f32 s13, s9
	s_wait_alu 0xfffe
	s_delay_alu instid0(SALU_CYCLE_1) | instskip(NEXT) | instid1(SALU_CYCLE_3)
	s_cvt_u32_f32 s12, s7
	s_mul_u64 s[24:25], s[14:15], s[12:13]
	s_delay_alu instid0(SALU_CYCLE_1)
	s_mul_hi_u32 s29, s12, s25
	s_mul_i32 s28, s12, s25
	s_mul_hi_u32 s22, s12, s24
	s_mul_i32 s9, s13, s24
	s_add_nc_u64 s[22:23], s[22:23], s[28:29]
	s_mul_hi_u32 s7, s13, s24
	s_mul_hi_u32 s21, s13, s25
	s_add_co_u32 s9, s22, s9
	s_wait_alu 0xfffe
	s_add_co_ci_u32 s26, s23, s7
	s_mul_i32 s24, s13, s25
	s_add_co_ci_u32 s25, s21, 0
	s_delay_alu instid0(SALU_CYCLE_1)
	s_add_nc_u64 s[22:23], s[26:27], s[24:25]
	s_mov_b32 s25, s8
	s_add_co_u32 s12, s12, s22
	s_cselect_b32 s7, -1, 0
	s_wait_alu 0xfffe
	s_cmp_lg_u32 s7, 0
	s_add_co_ci_u32 s13, s13, s23
	s_mov_b32 s23, s8
	s_mul_u64 s[14:15], s[14:15], s[12:13]
	s_delay_alu instid0(SALU_CYCLE_1)
	s_mul_hi_u32 s27, s12, s15
	s_mul_i32 s26, s12, s15
	s_mul_hi_u32 s22, s12, s14
	s_mul_i32 s9, s13, s14
	s_add_nc_u64 s[22:23], s[22:23], s[26:27]
	s_mul_hi_u32 s7, s13, s14
	s_mul_hi_u32 s21, s13, s15
	s_add_co_u32 s9, s22, s9
	s_wait_alu 0xfffe
	s_add_co_ci_u32 s24, s23, s7
	s_mul_i32 s14, s13, s15
	s_add_co_ci_u32 s15, s21, 0
	s_mov_b32 s23, s8
	s_add_nc_u64 s[14:15], s[24:25], s[14:15]
	s_delay_alu instid0(SALU_CYCLE_1) | instskip(SKIP_1) | instid1(SALU_CYCLE_1)
	s_add_co_u32 s7, s12, s14
	s_cselect_b32 s9, -1, 0
	s_cmp_lg_u32 s9, 0
	s_add_co_ci_u32 s9, s13, s15
	s_ashr_i32 s12, s3, 31
	s_delay_alu instid0(SALU_CYCLE_1) | instskip(NEXT) | instid1(SALU_CYCLE_1)
	s_mov_b32 s13, s12
	s_add_nc_u64 s[14:15], s[2:3], s[12:13]
	s_delay_alu instid0(SALU_CYCLE_1) | instskip(NEXT) | instid1(SALU_CYCLE_1)
	s_xor_b64 s[14:15], s[14:15], s[12:13]
	s_mul_hi_u32 s27, s14, s9
	s_mul_i32 s26, s14, s9
	s_wait_alu 0xfffe
	s_mul_hi_u32 s22, s14, s7
	s_mul_hi_u32 s21, s15, s7
	s_mul_i32 s7, s15, s7
	s_add_nc_u64 s[22:23], s[22:23], s[26:27]
	s_mul_hi_u32 s3, s15, s9
	s_wait_alu 0xfffe
	s_add_co_u32 s7, s22, s7
	s_add_co_ci_u32 s24, s23, s21
	s_mul_i32 s26, s15, s9
	s_add_co_ci_u32 s27, s3, 0
	s_delay_alu instid0(SALU_CYCLE_1) | instskip(NEXT) | instid1(SALU_CYCLE_1)
	s_add_nc_u64 s[22:23], s[24:25], s[26:27]
	s_mul_u64 s[24:25], s[10:11], s[22:23]
	s_add_nc_u64 s[26:27], s[22:23], 1
	s_sub_co_u32 s3, s14, s24
	s_cselect_b32 s7, -1, 0
	s_sub_co_i32 s9, s15, s25
	s_wait_alu 0xfffe
	s_cmp_lg_u32 s7, 0
	s_add_nc_u64 s[28:29], s[22:23], 2
	s_sub_co_ci_u32 s9, s9, s11
	s_sub_co_u32 s14, s3, s10
	s_cselect_b32 s21, -1, 0
	s_delay_alu instid0(SALU_CYCLE_1) | instskip(SKIP_1) | instid1(SALU_CYCLE_1)
	s_cmp_lg_u32 s21, 0
	s_sub_co_ci_u32 s9, s9, 0
	s_cmp_ge_u32 s9, s11
	s_cselect_b32 s21, -1, 0
	s_cmp_ge_u32 s14, s10
	s_cselect_b32 s14, -1, 0
	s_cmp_eq_u32 s9, s11
	s_cselect_b32 s9, s14, s21
	s_delay_alu instid0(SALU_CYCLE_1)
	s_cmp_lg_u32 s9, 0
	s_cselect_b32 s9, s28, s26
	s_cselect_b32 s14, s29, s27
	s_cmp_lg_u32 s7, 0
	s_sub_co_ci_u32 s7, s15, s25
	s_wait_alu 0xfffe
	s_cmp_ge_u32 s7, s11
	s_cselect_b32 s15, -1, 0
	s_cmp_ge_u32 s3, s10
	s_cselect_b32 s3, -1, 0
	s_cmp_eq_u32 s7, s11
	s_cselect_b32 s3, s3, s15
	s_delay_alu instid0(SALU_CYCLE_1) | instskip(SKIP_3) | instid1(SALU_CYCLE_1)
	s_cmp_lg_u32 s3, 0
	s_cselect_b32 s11, s14, s23
	s_cselect_b32 s10, s9, s22
	s_xor_b64 s[12:13], s[12:13], 0
	s_xor_b64 s[10:11], s[10:11], s[12:13]
	s_delay_alu instid0(SALU_CYCLE_1)
	s_sub_nc_u64 s[10:11], s[10:11], s[12:13]
	s_load_b96 s[12:14], s[0:1], 0x44
	s_and_not1_b32 vcc_lo, exec_lo, s8
	s_cbranch_vccnz .LBB32_6
.LBB32_5:
	v_cvt_f32_u32_e32 v1, s16
	s_sub_co_i32 s7, 0, s16
	s_delay_alu instid0(VALU_DEP_1) | instskip(NEXT) | instid1(TRANS32_DEP_1)
	v_rcp_iflag_f32_e32 v1, v1
	v_mul_f32_e32 v1, 0x4f7ffffe, v1
	s_delay_alu instid0(VALU_DEP_1) | instskip(NEXT) | instid1(VALU_DEP_1)
	v_cvt_u32_f32_e32 v1, v1
	v_readfirstlane_b32 s3, v1
	s_wait_alu 0xfffe
	s_mul_i32 s7, s7, s3
	s_wait_alu 0xfffe
	s_mul_hi_u32 s7, s3, s7
	s_wait_alu 0xfffe
	s_add_co_i32 s3, s3, s7
	s_delay_alu instid0(SALU_CYCLE_1) | instskip(NEXT) | instid1(SALU_CYCLE_1)
	s_mul_hi_u32 s3, s2, s3
	s_mul_i32 s7, s3, s16
	s_wait_alu 0xfffe
	s_sub_co_i32 s2, s2, s7
	s_add_co_i32 s7, s3, 1
	s_sub_co_i32 s8, s2, s16
	s_cmp_ge_u32 s2, s16
	s_wait_alu 0xfffe
	s_cselect_b32 s3, s7, s3
	s_cselect_b32 s2, s8, s2
	s_add_co_i32 s7, s3, 1
	s_cmp_ge_u32 s2, s16
	s_wait_alu 0xfffe
	s_cselect_b32 s10, s7, s3
.LBB32_6:
	s_mov_b32 s21, 0
	s_wait_kmcnt 0x0
	s_mov_b32 s22, s12
	s_mov_b32 s23, s21
	s_cmp_eq_u32 s20, s10
	s_mul_u64 s[2:3], s[20:21], s[22:23]
	s_cselect_b32 s7, -1, 0
	s_add_co_i32 s2, s3, s20
	s_mov_b32 s11, s21
	s_lshr_b32 s12, s2, s13
	s_mul_u64 s[2:3], s[10:11], s[22:23]
	s_mul_i32 s2, s12, s14
	s_delay_alu instid0(SALU_CYCLE_1) | instskip(SKIP_2) | instid1(SALU_CYCLE_1)
	s_cmp_eq_u32 s2, s20
	s_cselect_b32 s2, -1, 0
	s_add_co_i32 s3, s3, s10
	s_lshr_b32 s3, s3, s13
	s_delay_alu instid0(SALU_CYCLE_1)
	s_cmp_eq_u32 s12, s3
	s_mul_i32 s3, s3, s14
	s_cselect_b32 s8, -1, 0
	s_cmp_lg_u32 s3, s10
	s_cselect_b32 s3, -1, 0
	s_wait_alu 0xfffe
	s_or_b32 s2, s7, s2
	s_and_b32 s3, s8, s3
	s_delay_alu instid0(SALU_CYCLE_1) | instskip(NEXT) | instid1(SALU_CYCLE_1)
	s_or_b32 s2, s2, s3
	s_and_b32 vcc_lo, exec_lo, s2
	s_cbranch_vccnz .LBB32_24
; %bb.7:
	s_load_b256 s[24:31], s[0:1], 0x20
	s_mov_b32 s3, s21
	s_wait_kmcnt 0x0
	s_mov_b32 s2, s24
	s_delay_alu instid0(SALU_CYCLE_1) | instskip(NEXT) | instid1(SALU_CYCLE_1)
	s_mul_u64 s[2:3], s[20:21], s[2:3]
	s_add_co_i32 s2, s3, s20
	s_delay_alu instid0(SALU_CYCLE_1) | instskip(SKIP_2) | instid1(SALU_CYCLE_1)
	s_lshr_b32 s7, s2, s25
	s_load_b32 s2, s[0:1], 0x40
	s_mul_i32 s3, s7, s26
	s_sub_co_i32 s3, s20, s3
	s_delay_alu instid0(SALU_CYCLE_1) | instskip(NEXT) | instid1(SALU_CYCLE_1)
	s_mul_hi_u32 s8, s3, s27
	s_add_co_i32 s8, s3, s8
	s_delay_alu instid0(SALU_CYCLE_1) | instskip(NEXT) | instid1(SALU_CYCLE_1)
	s_lshr_b32 s8, s8, s28
	s_mul_i32 s9, s8, s29
	s_delay_alu instid0(SALU_CYCLE_1) | instskip(NEXT) | instid1(SALU_CYCLE_1)
	s_sub_co_i32 s9, s3, s9
	s_mul_hi_u32 s3, s9, s30
	s_delay_alu instid0(SALU_CYCLE_1) | instskip(NEXT) | instid1(SALU_CYCLE_1)
	s_add_co_i32 s3, s9, s3
	s_lshr_b32 s24, s3, s31
	s_mov_b32 s3, s21
	s_wait_kmcnt 0x0
	s_mul_i32 s2, s24, s2
	s_lshl_b32 s21, s24, 1
	s_sub_co_i32 s2, s9, s2
	s_delay_alu instid0(SALU_CYCLE_1) | instskip(SKIP_2) | instid1(SALU_CYCLE_1)
	s_mul_u64 s[10:11], s[2:3], s[22:23]
	s_lshr_b32 s3, ttmp7, 16
	s_add_co_i32 s2, s2, s11
	s_lshr_b32 s15, s2, s13
	s_and_b32 s2, ttmp7, 0xffff
	s_lshl_b32 s9, s15, 3
	s_delay_alu instid0(SALU_CYCLE_1) | instskip(NEXT) | instid1(SALU_CYCLE_1)
	s_add_co_i32 s9, s9, s2
	s_cmp_lt_i32 s9, s4
	s_cselect_b32 s9, -1, 0
	s_add_co_i32 s10, s21, s3
	s_delay_alu instid0(SALU_CYCLE_1) | instskip(SKIP_1) | instid1(SALU_CYCLE_1)
	s_cmp_lt_i32 s10, s6
	s_cselect_b32 s10, -1, 0
	s_and_b32 s9, s9, s10
	s_delay_alu instid0(SALU_CYCLE_1)
	s_and_not1_b32 vcc_lo, exec_lo, s9
	s_cbranch_vccnz .LBB32_24
; %bb.8:
	s_mul_i32 s4, s7, s4
	s_mul_i32 s6, s8, s6
	s_add_co_i32 s4, s4, s2
	s_load_b128 s[8:11], s[0:1], 0x0
	s_mul_i32 s4, s4, s5
	s_mul_i32 s1, s5, s15
	s_add_co_i32 s4, s4, s3
	s_lshl_b32 s1, s1, 11
	s_add_co_i32 s0, s4, s6
	s_lshl_b32 s15, s2, 1
	s_add_co_i32 s0, s0, s21
	s_add_co_i32 s15, s15, s3
	s_lshl_b32 s0, s0, 8
	v_cvt_f32_u32_e32 v4, s16
	s_add_co_i32 s1, s1, s0
	s_add_co_i32 s34, ttmp9, -1
	v_or_b32_e32 v1, s1, v0
	s_add_nc_u64 s[0:1], s[16:17], 0
	v_rcp_iflag_f32_e32 v4, v4
	s_wait_alu 0xfffe
	s_xor_b64 s[6:7], s[0:1], 0
	s_lshl_b32 s0, ttmp9, 4
	v_ashrrev_i32_e32 v2, 31, v1
	s_wait_alu 0xfffe
	s_cvt_f32_u32 s1, s6
	s_cvt_f32_u32 s2, s7
	s_add_co_i32 s0, s15, s0
	v_lshl_or_b32 v0, s15, 8, v0
	v_lshlrev_b64_e32 v[1:2], 2, v[1:2]
	s_wait_alu 0xfffe
	s_fmamk_f32 s2, s2, 0x4f800000, s1
	s_ashr_i32 s1, s0, 31
	s_sub_nc_u64 s[30:31], 0, s[6:7]
	s_wait_alu 0xfffe
	s_lshl_b64 s[0:1], s[0:1], 3
	v_s_rcp_f32 s2, s2
	s_wait_kmcnt 0x0
	v_add_co_u32 v1, vcc_lo, s8, v1
	s_delay_alu instid0(VALU_DEP_1)
	v_add_co_ci_u32_e64 v2, null, s9, v2, vcc_lo
	s_wait_alu 0xfffe
	s_add_nc_u64 s[0:1], s[10:11], s[0:1]
	s_mov_b32 s8, 0
	s_load_b64 s[26:27], s[0:1], 0x0
	global_load_b32 v3, v[1:2], off
	s_mul_f32 s2, s2, 0x5f7ffffc
	v_mul_f32_e32 v4, 0x4f7ffffe, v4
	s_lshl_b32 s0, s16, 6
	s_wait_alu 0xfffe
	s_mul_f32 s1, s2, 0x2f800000
	s_wait_alu 0xfffe
	s_delay_alu instid0(SALU_CYCLE_2)
	s_trunc_f32 s3, s1
	s_mov_b32 s1, s8
	s_wait_alu 0xfffe
	s_lshl_b64 s[0:1], s[0:1], 2
	s_fmamk_f32 s2, s3, 0xcf800000, s2
	s_cvt_u32_f32 s29, s3
	s_wait_alu 0xfffe
	s_add_nc_u64 s[24:25], s[10:11], s[0:1]
	s_cvt_u32_f32 s28, s2
	s_wait_kmcnt 0x0
	v_mov_b32_e32 v5, s27
	v_cvt_u32_f32_e32 v4, v4
.LBB32_9:                               ; =>This Inner Loop Header: Depth=1
	s_wait_alu 0xfffe
	s_ashr_i32 s35, s34, 31
	s_mov_b32 s2, -1
	s_wait_alu 0xfffe
	s_mul_u64 s[0:1], s[34:35], s[18:19]
                                        ; implicit-def: $sgpr38_sgpr39
	s_wait_alu 0xfffe
	s_mov_b32 s9, s1
	s_wait_alu 0xfffe
	s_cmp_lg_u64 s[8:9], 0
	s_cbranch_scc0 .LBB32_11
; %bb.10:                               ;   in Loop: Header=BB32_9 Depth=1
	s_mul_u64 s[2:3], s[30:31], s[28:29]
	s_mov_b32 s37, s8
	s_wait_alu 0xfffe
	s_mul_hi_u32 s5, s28, s3
	s_mul_i32 s4, s28, s3
	s_mul_hi_u32 s36, s28, s2
	s_mul_hi_u32 s9, s29, s2
	s_wait_alu 0xfffe
	s_add_nc_u64 s[4:5], s[36:37], s[4:5]
	s_mul_i32 s2, s29, s2
	s_mul_hi_u32 s17, s29, s3
	s_wait_alu 0xfffe
	s_add_co_u32 s2, s4, s2
	s_add_co_ci_u32 s2, s5, s9
	s_add_co_ci_u32 s5, s17, 0
	s_mul_i32 s4, s29, s3
	s_mov_b32 s3, s8
	s_mov_b32 s39, s8
	s_wait_alu 0xfffe
	s_add_nc_u64 s[2:3], s[2:3], s[4:5]
	s_wait_alu 0xfffe
	s_add_co_u32 s2, s28, s2
	s_cselect_b32 s4, -1, 0
	s_wait_alu 0xfffe
	s_cmp_lg_u32 s4, 0
	s_add_co_ci_u32 s3, s29, s3
	s_wait_alu 0xfffe
	s_mul_u64 s[4:5], s[30:31], s[2:3]
	s_wait_alu 0xfffe
	s_mul_hi_u32 s37, s2, s5
	s_mul_i32 s36, s2, s5
	s_mul_hi_u32 s38, s2, s4
	s_mul_hi_u32 s9, s3, s4
	s_mul_i32 s4, s3, s4
	s_wait_alu 0xfffe
	s_add_nc_u64 s[36:37], s[38:39], s[36:37]
	s_mul_hi_u32 s17, s3, s5
	s_wait_alu 0xfffe
	s_add_co_u32 s4, s36, s4
	s_add_co_ci_u32 s4, s37, s9
	s_add_co_ci_u32 s37, s17, 0
	s_mul_i32 s36, s3, s5
	s_mov_b32 s5, s8
	s_wait_alu 0xfffe
	s_add_nc_u64 s[4:5], s[4:5], s[36:37]
	s_mov_b32 s37, s8
	s_wait_alu 0xfffe
	s_add_co_u32 s9, s2, s4
	s_cselect_b32 s2, -1, 0
	s_wait_alu 0xfffe
	s_cmp_lg_u32 s2, 0
	s_add_co_ci_u32 s17, s3, s5
	s_ashr_i32 s2, s1, 31
	s_wait_alu 0xfffe
	s_mov_b32 s3, s2
	s_wait_alu 0xfffe
	s_add_nc_u64 s[4:5], s[0:1], s[2:3]
	s_wait_alu 0xfffe
	s_xor_b64 s[4:5], s[4:5], s[2:3]
	s_wait_alu 0xfffe
	s_mul_hi_u32 s39, s4, s17
	s_mul_i32 s38, s4, s17
	s_mul_hi_u32 s36, s4, s9
	s_mul_i32 s21, s5, s9
	s_wait_alu 0xfffe
	s_add_nc_u64 s[36:37], s[36:37], s[38:39]
	s_mul_hi_u32 s9, s5, s9
	s_mul_hi_u32 s1, s5, s17
	s_wait_alu 0xfffe
	s_add_co_u32 s21, s36, s21
	s_add_co_ci_u32 s36, s37, s9
	s_add_co_ci_u32 s39, s1, 0
	s_mul_i32 s38, s5, s17
	s_mov_b32 s37, s8
	s_wait_alu 0xfffe
	s_add_nc_u64 s[36:37], s[36:37], s[38:39]
	s_wait_alu 0xfffe
	s_mul_u64 s[38:39], s[6:7], s[36:37]
	s_add_nc_u64 s[40:41], s[36:37], 1
	s_sub_co_u32 s1, s4, s38
	s_cselect_b32 s4, -1, 0
	s_sub_co_i32 s9, s5, s39
	s_wait_alu 0xfffe
	s_cmp_lg_u32 s4, 0
	s_add_nc_u64 s[42:43], s[36:37], 2
	s_sub_co_ci_u32 s9, s9, s7
	s_sub_co_u32 s17, s1, s6
	s_cselect_b32 s21, -1, 0
	s_delay_alu instid0(SALU_CYCLE_1)
	s_cmp_lg_u32 s21, 0
	s_wait_alu 0xfffe
	s_sub_co_ci_u32 s9, s9, 0
	s_wait_alu 0xfffe
	s_cmp_ge_u32 s9, s7
	s_cselect_b32 s21, -1, 0
	s_cmp_ge_u32 s17, s6
	s_cselect_b32 s17, -1, 0
	s_cmp_eq_u32 s9, s7
	s_wait_alu 0xfffe
	s_cselect_b32 s9, s17, s21
	s_wait_alu 0xfffe
	s_cmp_lg_u32 s9, 0
	s_cselect_b32 s9, s42, s40
	s_cselect_b32 s17, s43, s41
	s_cmp_lg_u32 s4, 0
	s_sub_co_ci_u32 s4, s5, s39
	s_wait_alu 0xfffe
	s_cmp_ge_u32 s4, s7
	s_cselect_b32 s5, -1, 0
	s_cmp_ge_u32 s1, s6
	s_cselect_b32 s1, -1, 0
	s_cmp_eq_u32 s4, s7
	s_wait_alu 0xfffe
	s_cselect_b32 s1, s1, s5
	s_wait_alu 0xfffe
	s_cmp_lg_u32 s1, 0
	s_cselect_b32 s5, s17, s37
	s_cselect_b32 s4, s9, s36
	s_xor_b64 s[2:3], s[2:3], 0
	s_wait_alu 0xfffe
	s_xor_b64 s[4:5], s[4:5], s[2:3]
	s_wait_alu 0xfffe
	s_sub_nc_u64 s[38:39], s[4:5], s[2:3]
	s_mov_b32 s2, 0
.LBB32_11:                              ;   in Loop: Header=BB32_9 Depth=1
	s_wait_alu 0xfffe
	s_and_not1_b32 vcc_lo, exec_lo, s2
	s_wait_alu 0xfffe
	s_cbranch_vccnz .LBB32_13
; %bb.12:                               ;   in Loop: Header=BB32_9 Depth=1
	v_readfirstlane_b32 s1, v4
	s_sub_co_i32 s2, 0, s16
	s_wait_alu 0xfffe
	s_mul_i32 s2, s2, s1
	s_wait_alu 0xfffe
	s_mul_hi_u32 s2, s1, s2
	s_wait_alu 0xfffe
	s_add_co_i32 s1, s1, s2
	s_wait_alu 0xfffe
	s_mul_hi_u32 s1, s0, s1
	s_wait_alu 0xfffe
	s_mul_i32 s2, s1, s16
	s_wait_alu 0xfffe
	s_sub_co_i32 s0, s0, s2
	s_add_co_i32 s2, s1, 1
	s_wait_alu 0xfffe
	s_sub_co_i32 s3, s0, s16
	s_cmp_ge_u32 s0, s16
	s_cselect_b32 s1, s2, s1
	s_wait_alu 0xfffe
	s_cselect_b32 s0, s3, s0
	s_add_co_i32 s2, s1, 1
	s_wait_alu 0xfffe
	s_cmp_ge_u32 s0, s16
	s_cselect_b32 s38, s2, s1
.LBB32_13:                              ;   in Loop: Header=BB32_9 Depth=1
	v_readfirstlane_b32 s9, v0
	s_cmp_lg_u32 s20, s38
	s_mov_b32 s0, -1
                                        ; implicit-def: $sgpr21
                                        ; implicit-def: $vgpr6
                                        ; implicit-def: $vgpr7
                                        ; implicit-def: $sgpr17
                                        ; implicit-def: $sgpr27
	s_cbranch_scc1 .LBB32_16
; %bb.14:                               ;   in Loop: Header=BB32_9 Depth=1
	s_wait_alu 0xfffe
	s_and_not1_b32 vcc_lo, exec_lo, s0
	s_wait_alu 0xfffe
	s_cbranch_vccz .LBB32_19
.LBB32_15:                              ;   in Loop: Header=BB32_9 Depth=1
	s_and_not1_b32 vcc_lo, exec_lo, s21
	s_wait_alu 0xfffe
	s_cbranch_vccnz .LBB32_20
	s_branch .LBB32_23
.LBB32_16:                              ;   in Loop: Header=BB32_9 Depth=1
	s_add_co_i32 s0, s34, s16
	s_mov_b32 s1, s8
	s_wait_alu 0xfffe
	s_lshl_b32 s0, s0, 4
	v_max_num_f32_e64 v6, s26, s26
	s_wait_alu 0xfffe
	s_add_co_i32 s0, s0, s15
	s_mov_b32 s39, s8
	s_wait_alu 0xfffe
	s_lshl_b64 s[0:1], s[0:1], 3
	s_mul_u64 s[40:41], s[38:39], s[22:23]
	s_wait_alu 0xfffe
	s_add_nc_u64 s[0:1], s[10:11], s[0:1]
	s_mov_b32 s27, s20
	s_load_b64 s[36:37], s[0:1], 0x0
	v_readfirstlane_b32 s0, v6
	s_wait_kmcnt 0x0
	v_max_num_f32_e64 v7, s36, s36
	s_delay_alu instid0(VALU_DEP_1) | instskip(SKIP_2) | instid1(SALU_CYCLE_2)
	v_readfirstlane_b32 s1, v7
	s_max_num_f32 s9, s0, s1
	s_wait_alu 0xfffe
	s_sub_f32 s33, s26, s9
	s_sub_f32 s35, s36, s9
	s_wait_alu 0xfffe
	s_delay_alu instid0(SALU_CYCLE_1)
	s_cmp_nlt_f32 s33, 0xc2ce8ed0
	s_cselect_b32 s0, -1, 0
	s_cmp_ngt_f32 s33, 0x42b17218
	s_cselect_b32 s1, -1, 0
	s_cmp_ge_f32 s33, 0xc1a00000
	s_cselect_b32 s2, -1, 0
	s_cmp_nlt_f32 s35, 0xc2ce8ed0
	s_cselect_b32 s3, -1, 0
	s_cmp_ngt_f32 s35, 0x42b17218
	s_cselect_b32 s4, -1, 0
	s_cmp_ge_f32 s35, 0xc1a00000
	s_cselect_b32 s5, -1, 0
	s_add_co_i32 s17, s41, s38
	s_wait_alu 0xfffe
	s_lshr_b32 s17, s17, s13
	s_wait_alu 0xfffe
	s_mul_i32 s21, s17, s14
	s_delay_alu instid0(SALU_CYCLE_1)
	s_cmp_eq_u32 s21, s38
	s_cselect_b32 s21, -1, 0
	s_cmp_lt_u32 s17, s12
	s_cselect_b32 s17, -1, 0
	s_wait_alu 0xfffe
	s_or_b32 s17, s17, s21
	s_mov_b32 s21, -1
	s_wait_alu 0xfffe
	s_and_b32 vcc_lo, exec_lo, s17
	s_mov_b32 s17, s34
	s_wait_alu 0xfffe
	s_cbranch_vccnz .LBB32_18
; %bb.17:                               ;   in Loop: Header=BB32_9 Depth=1
	s_add_co_i32 s17, s34, -1
	s_mov_b32 s21, 0
	s_mov_b32 s27, s38
.LBB32_18:                              ;   in Loop: Header=BB32_9 Depth=1
	v_lshl_add_u32 v6, s34, 12, v0
	s_mul_f32 s36, s35, 0x3fb8aa3b
	s_mul_f32 s38, s33, 0x3fb8aa3b
	s_wait_alu 0xfffe
	s_delay_alu instid0(SALU_CYCLE_1)
	s_xor_b32 s39, s36, 0x80000000
	v_ashrrev_i32_e32 v7, 31, v6
	s_rndne_f32 s40, s36
	s_fmamk_f32 s39, s35, 0x3fb8aa3b, s39
	s_xor_b32 s41, s38, 0x80000000
	s_rndne_f32 s42, s38
	v_lshlrev_b64_e32 v[6:7], 2, v[6:7]
	s_sub_f32 s36, s36, s40
	s_fmamk_f32 s35, s35, 0x32a5705f, s39
	s_fmamk_f32 s39, s33, 0x3fb8aa3b, s41
	s_sub_f32 s38, s38, s42
	s_delay_alu instid0(VALU_DEP_1)
	v_add_co_u32 v6, vcc_lo, s24, v6
	s_wait_alu 0xfffd
	v_add_co_ci_u32_e64 v7, null, s25, v7, vcc_lo
	s_wait_alu 0xfffe
	s_add_f32 s35, s36, s35
	s_fmamk_f32 s33, s33, 0x32a5705f, s39
	s_cvt_i32_f32 s36, s40
	global_load_b32 v6, v[6:7], off
	s_wait_alu 0xfffe
	v_s_exp_f32 s35, s35
	s_add_f32 s33, s38, s33
	s_wait_alu 0xfffe
	s_delay_alu instid0(SALU_CYCLE_2) | instskip(NEXT) | instid1(TRANS32_DEP_2)
	v_s_exp_f32 s33, s33
	v_ldexp_f32 v7, s35, s36
	s_cvt_i32_f32 s35, s42
	s_wait_alu 0xf1fe
	s_delay_alu instid0(TRANS32_DEP_1) | instid1(SALU_CYCLE_2)
	v_ldexp_f32 v8, s33, s35
	s_delay_alu instid0(VALU_DEP_2) | instskip(NEXT) | instid1(VALU_DEP_2)
	v_cndmask_b32_e64 v7, 0, v7, s3
	v_cndmask_b32_e64 v8, 0, v8, s0
	s_delay_alu instid0(VALU_DEP_2) | instskip(NEXT) | instid1(VALU_DEP_2)
	v_cndmask_b32_e64 v7, 0x7f800000, v7, s4
	v_cndmask_b32_e64 v8, 0x7f800000, v8, s1
	;; [unrolled: 3-line block ×3, first 2 shown]
	s_wait_loadcnt 0x0
	s_delay_alu instid0(VALU_DEP_2) | instskip(SKIP_1) | instid1(VALU_DEP_1)
	v_mul_f32_e32 v6, v6, v7
	v_mul_f32_e32 v7, s37, v7
	v_fmac_f32_e32 v7, v5, v8
	s_delay_alu instid0(VALU_DEP_3)
	v_fmac_f32_e32 v6, v3, v8
	s_cbranch_execnz .LBB32_15
.LBB32_19:                              ;   in Loop: Header=BB32_9 Depth=1
	s_wait_loadcnt 0x0
	v_dual_mov_b32 v7, v5 :: v_dual_mov_b32 v6, v3
	s_add_co_i32 s17, s34, -1
	s_mov_b32 s27, s20
	s_mov_b32 s9, s26
	s_cbranch_execz .LBB32_23
.LBB32_20:                              ;   in Loop: Header=BB32_9 Depth=1
	v_mov_b32_e32 v5, v7
	s_wait_loadcnt 0x0
	v_mov_b32_e32 v3, v6
	s_wait_alu 0xfffe
	s_mov_b32 s20, s27
	s_mov_b32 s34, s17
	;; [unrolled: 1-line block ×3, first 2 shown]
	s_branch .LBB32_9
.LBB32_21:
                                        ; implicit-def: $sgpr20_sgpr21
	s_branch .LBB32_2
.LBB32_22:
                                        ; implicit-def: $sgpr10_sgpr11
	s_load_b96 s[12:14], s[0:1], 0x44
	s_branch .LBB32_5
.LBB32_23:
	v_div_scale_f32 v0, null, v7, v7, v6
	s_wait_loadcnt 0x0
	s_delay_alu instid0(VALU_DEP_1) | instskip(NEXT) | instid1(TRANS32_DEP_1)
	v_rcp_f32_e32 v3, v0
	v_fma_f32 v4, -v0, v3, 1.0
	s_delay_alu instid0(VALU_DEP_1) | instskip(SKIP_1) | instid1(VALU_DEP_1)
	v_fmac_f32_e32 v3, v4, v3
	v_div_scale_f32 v4, vcc_lo, v6, v7, v6
	v_mul_f32_e32 v5, v4, v3
	s_delay_alu instid0(VALU_DEP_1) | instskip(NEXT) | instid1(VALU_DEP_1)
	v_fma_f32 v8, -v0, v5, v4
	v_fmac_f32_e32 v5, v8, v3
	s_delay_alu instid0(VALU_DEP_1) | instskip(SKIP_1) | instid1(VALU_DEP_1)
	v_fma_f32 v0, -v0, v5, v4
	s_wait_alu 0xfffd
	v_div_fmas_f32 v0, v0, v3, v5
	s_delay_alu instid0(VALU_DEP_1)
	v_div_fixup_f32 v0, v0, v7, v6
	global_store_b32 v[1:2], v0, off
.LBB32_24:
	s_endpgm
	.section	.rodata,"a",@progbits
	.p2align	6, 0x0
	.amdhsa_kernel _ZL33flash_attn_stream_k_fixup_generalILi256ELi8ELi2EEvPfPK15HIP_vector_typeIfLj2EEiiiiS1_IjLj3EES5_S5_S5_
		.amdhsa_group_segment_fixed_size 0
		.amdhsa_private_segment_fixed_size 0
		.amdhsa_kernarg_size 336
		.amdhsa_user_sgpr_count 2
		.amdhsa_user_sgpr_dispatch_ptr 0
		.amdhsa_user_sgpr_queue_ptr 0
		.amdhsa_user_sgpr_kernarg_segment_ptr 1
		.amdhsa_user_sgpr_dispatch_id 0
		.amdhsa_user_sgpr_private_segment_size 0
		.amdhsa_wavefront_size32 1
		.amdhsa_uses_dynamic_stack 0
		.amdhsa_enable_private_segment 0
		.amdhsa_system_sgpr_workgroup_id_x 1
		.amdhsa_system_sgpr_workgroup_id_y 1
		.amdhsa_system_sgpr_workgroup_id_z 1
		.amdhsa_system_sgpr_workgroup_info 0
		.amdhsa_system_vgpr_workitem_id 0
		.amdhsa_next_free_vgpr 9
		.amdhsa_next_free_sgpr 44
		.amdhsa_reserve_vcc 1
		.amdhsa_float_round_mode_32 0
		.amdhsa_float_round_mode_16_64 0
		.amdhsa_float_denorm_mode_32 3
		.amdhsa_float_denorm_mode_16_64 3
		.amdhsa_fp16_overflow 0
		.amdhsa_workgroup_processor_mode 1
		.amdhsa_memory_ordered 1
		.amdhsa_forward_progress 1
		.amdhsa_inst_pref_size 28
		.amdhsa_round_robin_scheduling 0
		.amdhsa_exception_fp_ieee_invalid_op 0
		.amdhsa_exception_fp_denorm_src 0
		.amdhsa_exception_fp_ieee_div_zero 0
		.amdhsa_exception_fp_ieee_overflow 0
		.amdhsa_exception_fp_ieee_underflow 0
		.amdhsa_exception_fp_ieee_inexact 0
		.amdhsa_exception_int_div_zero 0
	.end_amdhsa_kernel
	.section	.text._ZL33flash_attn_stream_k_fixup_generalILi256ELi8ELi2EEvPfPK15HIP_vector_typeIfLj2EEiiiiS1_IjLj3EES5_S5_S5_,"axG",@progbits,_ZL33flash_attn_stream_k_fixup_generalILi256ELi8ELi2EEvPfPK15HIP_vector_typeIfLj2EEiiiiS1_IjLj3EES5_S5_S5_,comdat
.Lfunc_end32:
	.size	_ZL33flash_attn_stream_k_fixup_generalILi256ELi8ELi2EEvPfPK15HIP_vector_typeIfLj2EEiiiiS1_IjLj3EES5_S5_S5_, .Lfunc_end32-_ZL33flash_attn_stream_k_fixup_generalILi256ELi8ELi2EEvPfPK15HIP_vector_typeIfLj2EEiiiiS1_IjLj3EES5_S5_S5_
                                        ; -- End function
	.set _ZL33flash_attn_stream_k_fixup_generalILi256ELi8ELi2EEvPfPK15HIP_vector_typeIfLj2EEiiiiS1_IjLj3EES5_S5_S5_.num_vgpr, 9
	.set _ZL33flash_attn_stream_k_fixup_generalILi256ELi8ELi2EEvPfPK15HIP_vector_typeIfLj2EEiiiiS1_IjLj3EES5_S5_S5_.num_agpr, 0
	.set _ZL33flash_attn_stream_k_fixup_generalILi256ELi8ELi2EEvPfPK15HIP_vector_typeIfLj2EEiiiiS1_IjLj3EES5_S5_S5_.numbered_sgpr, 44
	.set _ZL33flash_attn_stream_k_fixup_generalILi256ELi8ELi2EEvPfPK15HIP_vector_typeIfLj2EEiiiiS1_IjLj3EES5_S5_S5_.num_named_barrier, 0
	.set _ZL33flash_attn_stream_k_fixup_generalILi256ELi8ELi2EEvPfPK15HIP_vector_typeIfLj2EEiiiiS1_IjLj3EES5_S5_S5_.private_seg_size, 0
	.set _ZL33flash_attn_stream_k_fixup_generalILi256ELi8ELi2EEvPfPK15HIP_vector_typeIfLj2EEiiiiS1_IjLj3EES5_S5_S5_.uses_vcc, 1
	.set _ZL33flash_attn_stream_k_fixup_generalILi256ELi8ELi2EEvPfPK15HIP_vector_typeIfLj2EEiiiiS1_IjLj3EES5_S5_S5_.uses_flat_scratch, 0
	.set _ZL33flash_attn_stream_k_fixup_generalILi256ELi8ELi2EEvPfPK15HIP_vector_typeIfLj2EEiiiiS1_IjLj3EES5_S5_S5_.has_dyn_sized_stack, 0
	.set _ZL33flash_attn_stream_k_fixup_generalILi256ELi8ELi2EEvPfPK15HIP_vector_typeIfLj2EEiiiiS1_IjLj3EES5_S5_S5_.has_recursion, 0
	.set _ZL33flash_attn_stream_k_fixup_generalILi256ELi8ELi2EEvPfPK15HIP_vector_typeIfLj2EEiiiiS1_IjLj3EES5_S5_S5_.has_indirect_call, 0
	.section	.AMDGPU.csdata,"",@progbits
; Kernel info:
; codeLenInByte = 3548
; TotalNumSgprs: 46
; NumVgprs: 9
; ScratchSize: 0
; MemoryBound: 0
; FloatMode: 240
; IeeeMode: 1
; LDSByteSize: 0 bytes/workgroup (compile time only)
; SGPRBlocks: 0
; VGPRBlocks: 1
; NumSGPRsForWavesPerEU: 46
; NumVGPRsForWavesPerEU: 9
; Occupancy: 16
; WaveLimiterHint : 0
; COMPUTE_PGM_RSRC2:SCRATCH_EN: 0
; COMPUTE_PGM_RSRC2:USER_SGPR: 2
; COMPUTE_PGM_RSRC2:TRAP_HANDLER: 0
; COMPUTE_PGM_RSRC2:TGID_X_EN: 1
; COMPUTE_PGM_RSRC2:TGID_Y_EN: 1
; COMPUTE_PGM_RSRC2:TGID_Z_EN: 1
; COMPUTE_PGM_RSRC2:TIDIG_COMP_CNT: 0
	.section	.text._ZL15flash_attn_tileILi256ELi256ELi4ELi2ELb0EEvPKcS1_S1_S1_S1_PKiPfP15HIP_vector_typeIfLj2EEffffjfiS5_IjLj3EEiiiiiiiiiiiliiliiiiil,"axG",@progbits,_ZL15flash_attn_tileILi256ELi256ELi4ELi2ELb0EEvPKcS1_S1_S1_S1_PKiPfP15HIP_vector_typeIfLj2EEffffjfiS5_IjLj3EEiiiiiiiiiiiliiliiiiil,comdat
	.globl	_ZL15flash_attn_tileILi256ELi256ELi4ELi2ELb0EEvPKcS1_S1_S1_S1_PKiPfP15HIP_vector_typeIfLj2EEffffjfiS5_IjLj3EEiiiiiiiiiiiliiliiiiil ; -- Begin function _ZL15flash_attn_tileILi256ELi256ELi4ELi2ELb0EEvPKcS1_S1_S1_S1_PKiPfP15HIP_vector_typeIfLj2EEffffjfiS5_IjLj3EEiiiiiiiiiiiliiliiiiil
	.p2align	8
	.type	_ZL15flash_attn_tileILi256ELi256ELi4ELi2ELb0EEvPKcS1_S1_S1_S1_PKiPfP15HIP_vector_typeIfLj2EEffffjfiS5_IjLj3EEiiiiiiiiiiiliiliiiiil,@function
_ZL15flash_attn_tileILi256ELi256ELi4ELi2ELb0EEvPKcS1_S1_S1_S1_PKiPfP15HIP_vector_typeIfLj2EEffffjfiS5_IjLj3EEiiiiiiiiiiiliiliiiiil: ; @_ZL15flash_attn_tileILi256ELi256ELi4ELi2ELb0EEvPKcS1_S1_S1_S1_PKiPfP15HIP_vector_typeIfLj2EEffffjfiS5_IjLj3EEiiiiiiiiiiiliiliiiiil
; %bb.0:
	s_clause 0x1
	s_load_b128 s[20:23], s[0:1], 0x5c
	s_load_b64 s[34:35], s[0:1], 0x80
	s_lshr_b32 s5, ttmp7, 16
	s_load_b64 s[38:39], s[0:1], 0xb8
	s_mov_b64 s[36:37], 0
	s_wait_kmcnt 0x0
	s_lshr_b32 s2, s23, 31
	s_delay_alu instid0(SALU_CYCLE_1) | instskip(NEXT) | instid1(SALU_CYCLE_1)
	s_add_co_i32 s2, s23, s2
	s_ashr_i32 s2, s2, 1
	s_delay_alu instid0(SALU_CYCLE_1) | instskip(SKIP_1) | instid1(SALU_CYCLE_2)
	s_cvt_f32_u32 s3, s2
	s_sub_co_i32 s4, 0, s2
	v_rcp_iflag_f32_e32 v1, s3
	s_delay_alu instid0(TRANS32_DEP_1) | instskip(SKIP_2) | instid1(SALU_CYCLE_2)
	v_readfirstlane_b32 s3, v1
	s_mul_f32 s3, s3, 0x4f7ffffe
	s_wait_alu 0xfffe
	s_cvt_u32_f32 s3, s3
	s_wait_alu 0xfffe
	s_delay_alu instid0(SALU_CYCLE_2) | instskip(NEXT) | instid1(SALU_CYCLE_1)
	s_mul_i32 s4, s4, s3
	s_mul_hi_u32 s4, s3, s4
	s_delay_alu instid0(SALU_CYCLE_1)
	s_add_co_i32 s3, s3, s4
	s_wait_alu 0xfffe
	s_mul_hi_u32 s3, s5, s3
	s_wait_alu 0xfffe
	s_mul_i32 s4, s3, s2
	s_add_co_i32 s6, s3, 1
	s_sub_co_i32 s4, s5, s4
	s_delay_alu instid0(SALU_CYCLE_1)
	s_sub_co_i32 s7, s4, s2
	s_cmp_ge_u32 s4, s2
	s_cselect_b32 s3, s6, s3
	s_cselect_b32 s4, s7, s4
	s_wait_alu 0xfffe
	s_add_co_i32 s6, s3, 1
	s_cmp_ge_u32 s4, s2
	s_cselect_b32 s28, s6, s3
	s_abs_i32 s2, s35
	s_abs_i32 s7, s23
	s_wait_alu 0xfffe
	s_cvt_f32_u32 s3, s2
	s_sub_co_i32 s4, 0, s2
	s_lshl_b32 s5, s5, 1
	s_mul_i32 s6, s28, s23
	s_wait_alu 0xfffe
	v_rcp_iflag_f32_e32 v1, s3
	s_sub_co_i32 s30, s5, s6
	s_delay_alu instid0(TRANS32_DEP_1) | instskip(SKIP_2) | instid1(SALU_CYCLE_2)
	v_readfirstlane_b32 s3, v1
	s_mul_f32 s3, s3, 0x4f7ffffe
	s_wait_alu 0xfffe
	s_cvt_u32_f32 s3, s3
	s_wait_alu 0xfffe
	s_delay_alu instid0(SALU_CYCLE_2) | instskip(NEXT) | instid1(SALU_CYCLE_1)
	s_mul_i32 s4, s4, s3
	s_mul_hi_u32 s4, s3, s4
	s_delay_alu instid0(SALU_CYCLE_1)
	s_add_co_i32 s3, s3, s4
	s_xor_b32 s4, s23, s35
	s_wait_alu 0xfffe
	s_mul_hi_u32 s3, s7, s3
	s_ashr_i32 s24, s4, 31
	s_wait_alu 0xfffe
	s_mul_i32 s5, s3, s2
	s_delay_alu instid0(SALU_CYCLE_1)
	s_sub_co_i32 s4, s7, s5
	s_add_co_i32 s5, s3, 1
	s_sub_co_i32 s6, s4, s2
	s_cmp_ge_u32 s4, s2
	s_cselect_b32 s3, s5, s3
	s_cselect_b32 s4, s6, s4
	s_wait_alu 0xfffe
	s_add_co_i32 s5, s3, 1
	s_cmp_ge_u32 s4, s2
	s_cselect_b32 s2, s5, s3
	s_load_b512 s[4:19], s[0:1], 0x0
	s_xor_b32 s2, s2, s24
	s_mov_b32 s3, 0
	s_wait_alu 0xfffe
	s_sub_co_i32 s33, s2, s24
	s_delay_alu instid0(SALU_CYCLE_1) | instskip(NEXT) | instid1(SALU_CYCLE_1)
	s_abs_i32 s31, s33
	s_cvt_f32_u32 s2, s31
	s_wait_alu 0xfffe
	s_delay_alu instid0(SALU_CYCLE_2) | instskip(SKIP_2) | instid1(TRANS32_DEP_1)
	v_rcp_iflag_f32_e32 v1, s2
	s_wait_kmcnt 0x0
	s_cmp_eq_u64 s[10:11], 0
	v_readfirstlane_b32 s2, v1
	s_cbranch_scc1 .LBB33_2
; %bb.1:
	s_abs_i32 s26, s38
	s_delay_alu instid0(SALU_CYCLE_1) | instskip(NEXT) | instid1(SALU_CYCLE_3)
	s_cvt_f32_u32 s24, s26
	v_rcp_iflag_f32_e32 v1, s24
	s_delay_alu instid0(TRANS32_DEP_1) | instskip(SKIP_2) | instid1(SALU_CYCLE_2)
	v_readfirstlane_b32 s24, v1
	s_mul_f32 s24, s24, 0x4f7ffffe
	s_wait_alu 0xfffe
	s_cvt_u32_f32 s27, s24
	s_sub_co_i32 s24, 0, s26
	s_wait_alu 0xfffe
	s_delay_alu instid0(SALU_CYCLE_1) | instskip(SKIP_4) | instid1(SALU_CYCLE_1)
	s_mul_i32 s24, s24, s27
	s_wait_alu 0xfffe
	s_mul_hi_u32 s29, s27, s24
	s_load_b64 s[24:25], s[0:1], 0xc8
	s_add_co_i32 s27, s27, s29
	s_mul_hi_u32 s27, s28, s27
	s_delay_alu instid0(SALU_CYCLE_1) | instskip(NEXT) | instid1(SALU_CYCLE_1)
	s_mul_i32 s27, s27, s26
	s_sub_co_i32 s27, s28, s27
	s_delay_alu instid0(SALU_CYCLE_1) | instskip(SKIP_2) | instid1(SALU_CYCLE_1)
	s_sub_co_i32 s29, s27, s26
	s_cmp_ge_u32 s27, s26
	s_cselect_b32 s27, s29, s27
	s_sub_co_i32 s29, s27, s26
	s_cmp_ge_u32 s27, s26
	s_cselect_b32 s26, s29, s27
	s_delay_alu instid0(SALU_CYCLE_1)
	s_ashr_i32 s27, s26, 31
	s_wait_kmcnt 0x0
	s_mul_u64 s[24:25], s[24:25], s[26:27]
	s_wait_alu 0xfffe
	s_add_nc_u64 s[36:37], s[10:11], s[24:25]
.LBB33_2:
	v_bfe_u32 v1, v0, 10, 10
	s_load_b96 s[24:26], s[0:1], 0x70
	v_and_b32_e32 v85, 0x3ff, v0
	s_delay_alu instid0(VALU_DEP_2) | instskip(SKIP_1) | instid1(VALU_DEP_3)
	v_lshl_add_u32 v20, ttmp9, 2, v1
	v_lshl_add_u32 v122, v1, 10, 0x4200
	v_lshlrev_b32_e32 v0, 4, v85
	v_lshlrev_b32_e32 v123, 3, v85
	s_delay_alu instid0(VALU_DEP_4) | instskip(NEXT) | instid1(VALU_DEP_1)
	v_mul_hi_u32 v2, s20, v20
	v_add_nc_u32_e32 v2, v20, v2
	s_wait_kmcnt 0x0
	s_ashr_i32 s11, s24, 31
	s_mov_b32 s10, s24
	s_delay_alu instid0(VALU_DEP_1) | instskip(SKIP_2) | instid1(VALU_DEP_1)
	v_lshrrev_b32_e32 v2, s21, v2
	s_lshr_b64 s[20:21], s[10:11], 2
	s_lshr_b32 s10, s11, 2
	v_mul_lo_u32 v2, v2, s22
	s_delay_alu instid0(VALU_DEP_1) | instskip(SKIP_1) | instid1(VALU_DEP_1)
	v_sub_nc_u32_e32 v2, v20, v2
	s_wait_alu 0xfffe
	v_mad_co_u64_u32 v[3:4], null, s20, v2, 0
	s_mul_i32 s20, s30, s25
	s_wait_alu 0xfffe
	s_ashr_i32 s21, s20, 31
	v_mad_co_u64_u32 v[4:5], null, s10, v2, v[4:5]
	s_mul_i32 s10, s28, s26
	s_wait_alu 0xfffe
	s_ashr_i32 s11, s10, 31
	s_wait_alu 0xfffe
	s_add_nc_u64 s[4:5], s[4:5], s[10:11]
	s_delay_alu instid0(SALU_CYCLE_1) | instskip(SKIP_1) | instid1(VALU_DEP_1)
	s_add_nc_u64 s[4:5], s[4:5], s[20:21]
	v_lshlrev_b64_e32 v[3:4], 2, v[3:4]
	v_add_co_u32 v3, vcc_lo, s4, v3
	s_delay_alu instid0(VALU_DEP_1)
	v_add_co_ci_u32_e64 v4, null, s5, v4, vcc_lo
	s_and_b32 s5, s25, -4
	v_add_co_u32 v11, vcc_lo, v3, v0
	s_wait_alu 0xfffd
	v_add_co_ci_u32_e64 v12, null, 0, v4, vcc_lo
	s_ashr_i32 s4, s25, 31
	s_wait_alu 0xfffe
	v_add_co_u32 v15, vcc_lo, v11, s5
	s_clause 0x1
	global_load_b128 v[3:6], v[11:12], off
	global_load_b128 v[7:10], v[11:12], off offset:512
	s_wait_alu 0xfffd
	v_add_co_ci_u32_e64 v16, null, s4, v12, vcc_lo
	s_load_b32 s4, s[0:1], 0x40
	s_clause 0x1
	global_load_b128 v[11:14], v[15:16], off
	global_load_b128 v[15:18], v[15:16], off offset:512
	v_add_nc_u32_e32 v0, v122, v123
	s_cmp_eq_u64 s[14:15], 0
	s_wait_loadcnt 0x3
	s_wait_kmcnt 0x0
	v_fma_mixlo_f16 v3, s4, v3, 0
	v_fma_mixlo_f16 v4, s4, v4, 0
	;; [unrolled: 1-line block ×4, first 2 shown]
	s_wait_loadcnt 0x2
	v_fma_mixlo_f16 v7, s4, v7, 0
	v_fma_mixlo_f16 v8, s4, v8, 0
	;; [unrolled: 1-line block ×4, first 2 shown]
	v_lshlrev_b32_e32 v4, 16, v4
	v_and_b32_e32 v3, 0xffff, v3
	v_lshlrev_b32_e32 v6, 16, v6
	v_and_b32_e32 v5, 0xffff, v5
	;; [unrolled: 2-line block ×3, first 2 shown]
	s_wait_loadcnt 0x1
	v_fma_mixlo_f16 v11, s4, v11, 0
	v_fma_mixlo_f16 v12, s4, v12, 0
	s_wait_loadcnt 0x0
	v_fma_mixlo_f16 v15, s4, v15, 0
	v_fma_mixlo_f16 v16, s4, v16, 0
	v_lshlrev_b32_e32 v10, 16, v10
	v_and_b32_e32 v9, 0xffff, v9
	v_fma_mixlo_f16 v13, s4, v13, 0
	v_fma_mixlo_f16 v14, s4, v14, 0
	;; [unrolled: 1-line block ×4, first 2 shown]
	v_or_b32_e32 v3, v4, v3
	v_or3_b32 v4, v6, v5, 0
	v_or_b32_e32 v5, v8, v7
	v_lshlrev_b32_e32 v7, 16, v12
	v_and_b32_e32 v8, 0xffff, v11
	v_lshlrev_b32_e32 v11, 16, v16
	v_and_b32_e32 v12, 0xffff, v15
	v_or3_b32 v6, v10, v9, 0
	v_lshlrev_b32_e32 v9, 16, v14
	v_and_b32_e32 v10, 0xffff, v13
	v_lshlrev_b32_e32 v13, 16, v18
	v_and_b32_e32 v14, 0xffff, v17
	v_or_b32_e32 v7, v7, v8
	v_or_b32_e32 v11, v11, v12
	v_or3_b32 v3, 0, 0, v3
	v_or3_b32 v5, 0, 0, v5
	;; [unrolled: 1-line block ×6, first 2 shown]
	ds_store_2addr_b64 v0, v[3:4], v[5:6] offset1:32
	ds_store_2addr_b64 v0, v[7:8], v[9:10] offset0:64 offset1:96
	s_wait_dscnt 0x0
	s_barrier_signal -1
	s_barrier_wait -1
	global_inv scope:SCOPE_SE
	s_cbranch_scc1 .LBB33_4
; %bb.3:
	s_load_b32 s4, s[0:1], 0xd0
	s_mov_b32 s5, 0
	s_wait_kmcnt 0x0
	s_mul_i32 s4, s4, s28
	s_wait_alu 0xfffe
	s_add_co_i32 s4, s4, ttmp9
	s_wait_alu 0xfffe
	s_lshl_b64 s[4:5], s[4:5], 2
	s_wait_alu 0xfffe
	s_add_nc_u64 s[4:5], s[14:15], s[4:5]
	s_load_b32 s34, s[4:5], 0x0
.LBB33_4:
	s_and_b32 s10, ttmp7, 0xffff
	v_lshlrev_b32_e32 v33, 2, v85
	v_mbcnt_lo_u32_b32 v124, -1, 0
	s_wait_alu 0xfffe
	s_lshl_b32 s14, s10, 5
	s_wait_kmcnt 0x0
	s_cmp_lt_i32 s14, s34
	s_cbranch_scc1 .LBB33_7
; %bb.5:
	v_mbcnt_lo_u32_b32 v0, -1, 0
	v_mov_b32_e32 v126, 32
	s_delay_alu instid0(VALU_DEP_2)
	v_xor_b32_e32 v133, 16, v0
	v_xor_b32_e32 v130, 8, v0
	;; [unrolled: 1-line block ×5, first 2 shown]
	s_mov_b32 s29, 0
	s_cbranch_execz .LBB33_8
; %bb.6:
	v_dual_mov_b32 v162, 0 :: v_dual_mov_b32 v119, 0xfeffffff
	v_dual_mov_b32 v166, 0 :: v_dual_mov_b32 v167, 0
	v_dual_mov_b32 v120, 0xfeffffff :: v_dual_mov_b32 v165, 0
	v_dual_mov_b32 v163, 0 :: v_dual_mov_b32 v164, 0
	v_dual_mov_b32 v144, 0 :: v_dual_mov_b32 v151, 0
	v_mov_b32_e32 v140, 0
	v_mov_b32_e32 v134, 0
	s_branch .LBB33_11
.LBB33_7:
                                        ; implicit-def: $vgpr0
                                        ; implicit-def: $vgpr126
                                        ; implicit-def: $vgpr133
                                        ; implicit-def: $vgpr130
                                        ; implicit-def: $vgpr129
                                        ; implicit-def: $vgpr128
                                        ; implicit-def: $vgpr127
	s_mov_b32 s29, 0
.LBB33_8:
	scratch_store_b64 off, v[20:21], off    ; 8-byte Folded Spill
	s_mul_f32 s2, s2, 0x4f7ffffe
	s_clause 0x1
	s_load_b128 s[24:27], s[0:1], 0x98
	s_load_b64 s[4:5], s[0:1], 0x8c
	s_sub_co_i32 s15, 0, s31
	s_mov_b32 s21, s3
	s_cvt_u32_f32 s11, s2
	s_abs_i32 s2, s30
	s_ashr_i32 s35, s30, 31
	s_load_b64 s[40:41], s[0:1], 0xa8
	s_mul_i32 s15, s15, s11
	v_dual_mov_b32 v134, 0 :: v_dual_lshlrev_b32 v125, 2, v33
	s_mul_hi_u32 s15, s11, s15
	v_lshl_add_u32 v145, v1, 7, 0x5200
	s_add_co_i32 s20, s11, s15
	s_ashr_i32 s11, s33, 31
	s_wait_alu 0xfffe
	s_mul_u64 s[20:21], s[2:3], s[20:21]
	s_ashr_i32 s15, s39, 1
	s_wait_alu 0xfffe
	s_mul_i32 s3, s21, s31
	s_xor_b32 s11, s35, s11
	s_wait_alu 0xfffe
	s_sub_co_i32 s2, s2, s3
	s_add_co_i32 s33, s21, 1
	s_wait_kmcnt 0x0
	s_ashr_i32 s20, s26, 2
	s_ashr_i32 s38, s4, 2
	s_wait_alu 0xfffe
	s_sub_co_i32 s3, s2, s31
	s_cmp_ge_u32 s2, s31
	v_mul_lo_u32 v3, s38, v1
	s_cselect_b32 s21, s33, s21
	s_wait_alu 0xfffe
	s_cselect_b32 s2, s3, s2
	s_add_co_i32 s33, s21, 1
	s_wait_alu 0xfffe
	s_cmp_ge_u32 s2, s31
	v_mul_lo_u32 v0, s20, v1
	s_cselect_b32 s21, s33, s21
	s_and_b32 s31, s4, -4
	s_wait_alu 0xfffe
	s_xor_b32 s4, s21, s11
	s_mul_u64 s[2:3], s[24:25], s[28:29]
	s_wait_alu 0xfffe
	s_sub_co_i32 s11, s4, s11
	s_add_nc_u64 s[2:3], s[6:7], s[2:3]
	s_wait_alu 0xfffe
	s_mul_i32 s4, s11, s5
	v_dual_mov_b32 v126, 32 :: v_dual_add_nc_u32 v5, s31, v3
	s_wait_alu 0xfffe
	s_ashr_i32 s5, s4, 31
	v_mov_b32_e32 v166, 0
	s_wait_alu 0xfffe
	s_add_nc_u64 s[6:7], s[2:3], s[4:5]
	s_and_b32 s2, s26, -4
	v_dual_mov_b32 v140, 0 :: v_dual_add_nc_u32 v7, s31, v5
	s_wait_alu 0xfffe
	v_dual_mov_b32 v144, 0 :: v_dual_add_nc_u32 v15, s2, v0
	s_delay_alu instid0(VALU_DEP_2) | instskip(NEXT) | instid1(VALU_DEP_2)
	v_dual_mov_b32 v164, 0 :: v_dual_add_nc_u32 v9, s31, v7
	v_dual_mov_b32 v120, 0xfeffffff :: v_dual_add_nc_u32 v19, s2, v15
	v_mad_u32_u24 v131, 0x210, v1, v125
	v_ashrrev_i32_e32 v4, 31, v3
	s_delay_alu instid0(VALU_DEP_4)
	v_add_nc_u32_e32 v11, s31, v9
	v_ashrrev_i32_e32 v6, 31, v5
	v_add_nc_u32_e32 v23, s2, v19
	v_ashrrev_i32_e32 v8, 31, v7
	v_ashrrev_i32_e32 v10, 31, v9
	v_add_nc_u32_e32 v13, s31, v11
	v_ashrrev_i32_e32 v12, 31, v11
	v_add_nc_u32_e32 v25, s2, v23
	v_lshl_add_u32 v143, v1, 9, v125
	v_ashrrev_i32_e32 v1, 31, v0
	v_add_nc_u32_e32 v17, s31, v13
	v_ashrrev_i32_e32 v14, 31, v13
	v_add_nc_u32_e32 v27, s2, v25
	v_ashrrev_i32_e32 v16, 31, v15
	v_ashrrev_i32_e32 v20, 31, v19
	v_add_nc_u32_e32 v21, s31, v17
	v_ashrrev_i32_e32 v18, 31, v17
	v_add_nc_u32_e32 v29, s2, v27
	v_ashrrev_i32_e32 v24, 31, v23
	v_ashrrev_i32_e32 v26, 31, v25
	;; [unrolled: 1-line block ×4, first 2 shown]
	v_add_nc_u32_e32 v31, s2, v29
	v_ashrrev_i32_e32 v30, 31, v29
	v_mad_co_u64_u32 v[86:87], null, v2, s15, v[85:86]
	s_mul_u64 s[24:25], s[40:41], s[28:29]
	v_ashrrev_i32_e32 v32, 31, v31
	s_mul_i32 s40, s11, s27
	v_lshlrev_b64_e32 v[87:88], 2, v[3:4]
	v_lshlrev_b64_e32 v[89:90], 2, v[5:6]
	;; [unrolled: 1-line block ×16, first 2 shown]
	v_dual_mov_b32 v167, 0 :: v_dual_add_nc_u32 v132, 0x840, v131
	v_dual_mov_b32 v162, 0 :: v_dual_add_nc_u32 v135, 0x1080, v131
	;; [unrolled: 1-line block ×3, first 2 shown]
	v_add_nc_u32_e32 v137, 0x2100, v131
	v_dual_mov_b32 v163, 0 :: v_dual_add_nc_u32 v138, 0x2940, v131
	v_add_nc_u32_e32 v139, 0x3180, v131
	v_add_nc_u32_e32 v141, 0x39c0, v131
	v_mul_u32_u24_e32 v142, 0x210, v85
	v_dual_mov_b32 v165, 0 :: v_dual_add_nc_u32 v146, 0x800, v143
	v_add_nc_u32_e32 v147, 0x1000, v143
	v_add_nc_u32_e32 v148, 0x1800, v143
	v_add_nc_u32_e32 v149, 0x2000, v143
	v_add_nc_u32_e32 v150, 0x2800, v143
	v_add_nc_u32_e32 v152, 0x3000, v143
	v_add_nc_u32_e32 v153, 0x3800, v143
	v_dual_mov_b32 v119, 0xfeffffff :: v_dual_add_nc_u32 v154, v145, v33
	v_xor_b32_e32 v133, 16, v124
	v_xor_b32_e32 v130, 8, v124
	;; [unrolled: 1-line block ×5, first 2 shown]
	v_add_nc_u32_e32 v155, 0x800, v123
	v_add_nc_u32_e32 v156, 0x1000, v123
	v_add_nc_u32_e32 v157, 0x1800, v123
	v_add_nc_u32_e32 v158, 0x2000, v123
	v_add_nc_u32_e32 v159, 0x2800, v123
	v_add_nc_u32_e32 v160, 0x3000, v123
	v_add_nc_u32_e32 v161, 0x3800, v123
	s_wait_alu 0xfffe
	s_add_nc_u64 s[8:9], s[8:9], s[24:25]
	s_ashr_i32 s41, s40, 31
	s_ashr_i32 s39, s38, 31
	s_add_nc_u64 s[8:9], s[8:9], s[40:41]
	s_ashr_i32 s21, s20, 31
	s_add_nc_u64 s[24:25], s[0:1], 0xd0
.LBB33_9:                               ; =>This Inner Loop Header: Depth=1
	v_cmp_gt_i32_e32 vcc_lo, 32, v133
	s_ashr_i32 s15, s14, 31
	v_dual_mov_b32 v2, v119 :: v_dual_mov_b32 v3, 0
	s_wait_alu 0xfffe
	s_mul_u64 s[2:3], s[14:15], s[38:39]
	s_wait_alu 0xfffd
	v_dual_cndmask_b32 v6, v124, v133 :: v_dual_mov_b32 v5, v166
	v_cmp_gt_i32_e32 vcc_lo, 32, v130
	s_wait_alu 0xfffe
	s_lshl_b64 s[2:3], s[2:3], 2
	s_mul_u64 s[4:5], s[14:15], s[20:21]
	s_wait_alu 0xfffe
	s_add_nc_u64 s[2:3], s[6:7], s[2:3]
	s_lshl_b64 s[4:5], s[4:5], 2
	s_wait_alu 0xfffd
	v_cndmask_b32_e32 v7, v124, v130, vcc_lo
	v_cmp_gt_i32_e32 vcc_lo, 32, v129
	s_wait_alu 0xfffe
	s_add_nc_u64 s[4:5], s[8:9], s[4:5]
	v_dual_mov_b32 v4, 0 :: v_dual_add_nc_u32 v13, s14, v86
	v_dual_mov_b32 v0, v167 :: v_dual_mov_b32 v1, v120
	s_wait_alu 0xfffd
	v_cndmask_b32_e32 v8, v124, v129, vcc_lo
	v_cmp_gt_i32_e32 vcc_lo, 32, v128
	v_ashrrev_i32_e32 v14, 31, v13
	v_lshlrev_b32_e32 v10, 2, v6
	s_delay_alu instid0(VALU_DEP_4)
	v_lshlrev_b32_e32 v8, 2, v8
	s_wait_alu 0xfffd
	v_cndmask_b32_e32 v11, v124, v128, vcc_lo
	v_cmp_gt_i32_e32 vcc_lo, 32, v127
	v_lshlrev_b64_e32 v[13:14], 1, v[13:14]
	v_lshlrev_b32_e32 v9, 2, v7
	s_delay_alu instid0(VALU_DEP_4)
	v_lshlrev_b32_e32 v7, 2, v11
	s_wait_alu 0xfffd
	v_dual_cndmask_b32 v12, v124, v127 :: v_dual_max_num_f32 v11, v2, v2
	v_add_co_u32 v15, vcc_lo, s2, v87
	s_wait_alu 0xfffd
	v_add_co_ci_u32_e64 v16, null, s3, v88, vcc_lo
	v_add_co_u32 v17, vcc_lo, s2, v89
	s_wait_alu 0xfffd
	v_add_co_ci_u32_e64 v18, null, s3, v90, vcc_lo
	;; [unrolled: 3-line block ×8, first 2 shown]
	s_wait_alu 0xfffe
	v_add_co_u32 v43, vcc_lo, s4, v103
	s_wait_alu 0xfffd
	v_add_co_ci_u32_e64 v44, null, s5, v104, vcc_lo
	v_add_co_u32 v49, vcc_lo, s4, v105
	s_wait_alu 0xfffd
	v_add_co_ci_u32_e64 v50, null, s5, v106, vcc_lo
	;; [unrolled: 3-line block ×18, first 2 shown]
	s_clause 0x7
	global_load_b128 v[13:16], v[15:16], off
	global_load_b128 v[17:20], v[17:18], off
	;; [unrolled: 1-line block ×8, first 2 shown]
	v_add_co_u32 v49, vcc_lo, v49, v125
	s_wait_alu 0xfffd
	v_add_co_ci_u32_e64 v50, null, 0, v50, vcc_lo
	v_add_co_u32 v51, vcc_lo, v51, v125
	s_wait_alu 0xfffd
	v_add_co_ci_u32_e64 v52, null, 0, v52, vcc_lo
	v_add_co_u32 v53, vcc_lo, v53, v125
	s_wait_alu 0xfffd
	v_add_co_ci_u32_e64 v54, null, 0, v54, vcc_lo
	v_add_co_u32 v55, vcc_lo, v55, v125
	s_wait_alu 0xfffd
	v_add_co_ci_u32_e64 v56, null, 0, v56, vcc_lo
	v_add_co_u32 v57, vcc_lo, v57, v125
	s_wait_alu 0xfffd
	v_add_co_ci_u32_e64 v58, null, 0, v58, vcc_lo
	v_add_co_u32 v59, vcc_lo, v59, v125
	s_wait_alu 0xfffd
	v_add_co_ci_u32_e64 v60, null, 0, v60, vcc_lo
	v_add_co_u32 v61, vcc_lo, v61, v125
	s_wait_alu 0xfffd
	v_add_co_ci_u32_e64 v62, null, 0, v62, vcc_lo
	s_wait_loadcnt 0x7
	ds_store_b128 v131, v[13:16]
	s_wait_loadcnt 0x6
	ds_store_b128 v132, v[17:20]
	;; [unrolled: 2-line block ×8, first 2 shown]
	s_wait_storecnt_dscnt 0x0
	s_barrier_signal -1
	s_barrier_wait -1
	global_inv scope:SCOPE_SE
	ds_load_b128 v[13:16], v142
	ds_load_b128 v[17:20], v122
	ds_load_b128 v[21:24], v122 offset:512
	s_wait_dscnt 0x1
	;;#ASMSTART
	v_dot2_f32_f16 v3, v13, v17, v3
	;;#ASMEND
	;;#ASMSTART
	v_dot2_f32_f16 v3, v14, v18, v3
	;;#ASMEND
	;;#ASMSTART
	v_dot2_f32_f16 v3, v15, v19, v3
	;;#ASMEND
	;;#ASMSTART
	v_dot2_f32_f16 v3, v16, v20, v3
	;;#ASMEND
	s_wait_dscnt 0x0
	;;#ASMSTART
	v_dot2_f32_f16 v4, v13, v21, v4
	;;#ASMEND
	;;#ASMSTART
	v_dot2_f32_f16 v4, v14, v22, v4
	;;#ASMEND
	;;#ASMSTART
	v_dot2_f32_f16 v4, v15, v23, v4
	;;#ASMEND
	;;#ASMSTART
	v_dot2_f32_f16 v4, v16, v24, v4
	;;#ASMEND
	ds_load_b128 v[13:16], v142 offset:16
	ds_load_b128 v[17:20], v122 offset:16
	ds_load_b128 v[21:24], v122 offset:528
	s_wait_dscnt 0x1
	;;#ASMSTART
	v_dot2_f32_f16 v3, v13, v17, v3
	;;#ASMEND
	;;#ASMSTART
	v_dot2_f32_f16 v3, v14, v18, v3
	;;#ASMEND
	;;#ASMSTART
	v_dot2_f32_f16 v3, v15, v19, v3
	;;#ASMEND
	;;#ASMSTART
	v_dot2_f32_f16 v3, v16, v20, v3
	;;#ASMEND
	s_wait_dscnt 0x0
	;;#ASMSTART
	v_dot2_f32_f16 v4, v13, v21, v4
	;;#ASMEND
	;;#ASMSTART
	v_dot2_f32_f16 v4, v14, v22, v4
	;;#ASMEND
	;;#ASMSTART
	v_dot2_f32_f16 v4, v15, v23, v4
	;;#ASMEND
	;;#ASMSTART
	v_dot2_f32_f16 v4, v16, v24, v4
	;;#ASMEND
	ds_load_b128 v[13:16], v142 offset:32
	ds_load_b128 v[17:20], v122 offset:32
	;; [unrolled: 29-line block ×31, first 2 shown]
	ds_load_b128 v[21:24], v122 offset:1008
	s_wait_dscnt 0x1
	;;#ASMSTART
	v_dot2_f32_f16 v3, v13, v17, v3
	;;#ASMEND
	;;#ASMSTART
	v_dot2_f32_f16 v3, v14, v18, v3
	;;#ASMEND
	;; [unrolled: 3-line block ×4, first 2 shown]
	s_wait_dscnt 0x0
	;;#ASMSTART
	v_dot2_f32_f16 v4, v13, v21, v4
	;;#ASMEND
	;;#ASMSTART
	v_dot2_f32_f16 v4, v14, v22, v4
	;;#ASMEND
	;; [unrolled: 3-line block ×4, first 2 shown]
	global_load_u16 v45, v[45:46], off
	s_wait_loadcnt 0x0
	s_barrier_signal -1
	s_barrier_wait -1
	global_inv scope:SCOPE_SE
	s_clause 0x7
	global_load_b128 v[13:16], v[47:48], off
	global_load_b128 v[17:20], v[49:50], off
	;; [unrolled: 1-line block ×8, first 2 shown]
	v_cvt_f32_f16_e32 v45, v45
	v_lshlrev_b32_e32 v6, 2, v12
	v_max_num_f32_e32 v12, v1, v1
	s_delay_alu instid0(VALU_DEP_3) | instskip(NEXT) | instid1(VALU_DEP_1)
	v_add_f32_e32 v3, v3, v45
	v_dual_add_f32 v4, v4, v45 :: v_dual_add_f32 v45, 0x40051340, v3
	s_delay_alu instid0(VALU_DEP_1)
	v_dual_add_f32 v46, 0x40051340, v4 :: v_dual_max_num_f32 v11, v11, v45
	ds_bpermute_b32 v45, v10, v11
	s_wait_dscnt 0x0
	v_dual_max_num_f32 v12, v12, v46 :: v_dual_max_num_f32 v45, v45, v45
	ds_bpermute_b32 v10, v10, v12
	s_wait_dscnt 0x0
	v_dual_max_num_f32 v11, v11, v45 :: v_dual_max_num_f32 v10, v10, v10
	s_delay_alu instid0(VALU_DEP_1) | instskip(SKIP_4) | instid1(VALU_DEP_1)
	v_max_num_f32_e32 v10, v12, v10
	ds_bpermute_b32 v12, v9, v11
	ds_bpermute_b32 v9, v9, v10
	s_wait_dscnt 0x0
	v_dual_max_num_f32 v9, v9, v9 :: v_dual_max_num_f32 v12, v12, v12
	v_max_num_f32_e32 v9, v10, v9
	s_delay_alu instid0(VALU_DEP_2)
	v_max_num_f32_e32 v11, v11, v12
	ds_bpermute_b32 v10, v8, v11
	ds_bpermute_b32 v8, v8, v9
	s_wait_dscnt 0x1
	v_max_num_f32_e32 v10, v10, v10
	s_wait_dscnt 0x0
	v_max_num_f32_e32 v8, v8, v8
	s_delay_alu instid0(VALU_DEP_1) | instskip(NEXT) | instid1(VALU_DEP_3)
	v_max_num_f32_e32 v8, v9, v8
	v_max_num_f32_e32 v10, v11, v10
	ds_bpermute_b32 v9, v7, v10
	ds_bpermute_b32 v7, v7, v8
	s_wait_dscnt 0x1
	v_max_num_f32_e32 v9, v9, v9
	s_wait_dscnt 0x0
	v_max_num_f32_e32 v7, v7, v7
	s_delay_alu instid0(VALU_DEP_1) | instskip(NEXT) | instid1(VALU_DEP_3)
	v_max_num_f32_e32 v7, v8, v7
	v_max_num_f32_e32 v9, v10, v9
	ds_bpermute_b32 v8, v6, v9
	ds_bpermute_b32 v6, v6, v7
	s_wait_dscnt 0x1
	v_max_num_f32_e32 v8, v8, v8
	s_wait_dscnt 0x0
	s_delay_alu instid0(VALU_DEP_1) | instskip(NEXT) | instid1(VALU_DEP_1)
	v_dual_max_num_f32 v6, v6, v6 :: v_dual_max_num_f32 v119, v9, v8
	v_sub_f32_e32 v3, v3, v119
	s_delay_alu instid0(VALU_DEP_1) | instskip(NEXT) | instid1(VALU_DEP_1)
	v_dual_max_num_f32 v120, v7, v6 :: v_dual_mul_f32 v7, 0x3fb8aa3b, v3
	v_dual_sub_f32 v2, v2, v119 :: v_dual_sub_f32 v1, v1, v120
	v_sub_f32_e32 v4, v4, v120
	v_cmp_ngt_f32_e32 vcc_lo, 0xc2ce8ed0, v3
	s_delay_alu instid0(VALU_DEP_4) | instskip(NEXT) | instid1(VALU_DEP_4)
	v_fma_f32 v12, 0x3fb8aa3b, v3, -v7
	v_mul_f32_e32 v6, 0x3fb8aa3b, v2
	v_rndne_f32_e32 v45, v7
	v_mul_f32_e32 v9, 0x3fb8aa3b, v4
	v_cmp_ngt_f32_e64 s2, 0xc2ce8ed0, v1
	v_cmp_ngt_f32_e64 s3, 0xc2ce8ed0, v4
	v_rndne_f32_e32 v11, v6
	v_fma_f32 v10, 0x3fb8aa3b, v2, -v6
	v_fma_f32 v48, 0x3fb8aa3b, v4, -v9
	v_rndne_f32_e32 v49, v9
	s_delay_alu instid0(VALU_DEP_4) | instskip(NEXT) | instid1(VALU_DEP_4)
	v_dual_sub_f32 v7, v7, v45 :: v_dual_sub_f32 v6, v6, v11
	v_fmac_f32_e32 v10, 0x32a5705f, v2
	s_delay_alu instid0(VALU_DEP_3) | instskip(SKIP_2) | instid1(VALU_DEP_4)
	v_dual_fmac_f32 v48, 0x32a5705f, v4 :: v_dual_sub_f32 v9, v9, v49
	v_fmac_f32_e32 v12, 0x32a5705f, v3
	v_cvt_i32_f32_e32 v11, v11
	v_add_f32_e32 v6, v6, v10
	v_cvt_i32_f32_e32 v45, v45
	v_dual_add_f32 v9, v9, v48 :: v_dual_mul_f32 v8, 0x3fb8aa3b, v1
	v_add_f32_e32 v7, v7, v12
	s_delay_alu instid0(VALU_DEP_4) | instskip(SKIP_1) | instid1(VALU_DEP_3)
	v_exp_f32_e32 v6, v6
	v_cvt_i32_f32_e32 v49, v49
	v_exp_f32_e32 v9, v9
	v_fma_f32 v46, 0x3fb8aa3b, v1, -v8
	v_rndne_f32_e32 v47, v8
	v_exp_f32_e32 v7, v7
	v_cmp_ngt_f32_e64 s4, 0xc2ce8ed0, v2
	s_delay_alu instid0(VALU_DEP_3) | instskip(NEXT) | instid1(VALU_DEP_3)
	v_fmac_f32_e32 v46, 0x32a5705f, v1
	v_sub_f32_e32 v8, v8, v47
	v_cvt_i32_f32_e32 v47, v47
	v_ldexp_f32 v6, v6, v11
	s_delay_alu instid0(TRANS32_DEP_2) | instskip(NEXT) | instid1(VALU_DEP_4)
	v_ldexp_f32 v9, v9, v49
	v_add_f32_e32 v8, v8, v46
	s_delay_alu instid0(TRANS32_DEP_1)
	v_ldexp_f32 v7, v7, v45
	s_wait_alu 0xf1ff
	v_cndmask_b32_e64 v6, 0, v6, s4
	v_cmp_nlt_f32_e64 s4, 0x42b17218, v2
	v_exp_f32_e32 v8, v8
	s_wait_alu 0xfffd
	v_cndmask_b32_e32 v2, 0, v7, vcc_lo
	v_cmp_nlt_f32_e32 vcc_lo, 0x42b17218, v1
	v_cndmask_b32_e64 v1, 0, v9, s3
	v_cmp_nlt_f32_e64 s3, 0x42b17218, v3
	s_wait_alu 0xf1ff
	s_delay_alu instid0(VALU_DEP_1) | instskip(NEXT) | instid1(TRANS32_DEP_1)
	v_cndmask_b32_e64 v167, 0x7f800000, v2, s3
	v_ldexp_f32 v8, v8, v47
	v_cndmask_b32_e64 v2, 0x7f800000, v6, s4
	s_delay_alu instid0(VALU_DEP_2) | instskip(SKIP_1) | instid1(VALU_DEP_3)
	v_cndmask_b32_e64 v7, 0, v8, s2
	v_cmp_nlt_f32_e64 s2, 0x42b17218, v4
	v_cvt_f16_f32_e32 v4, v2
	s_wait_alu 0xfffd
	s_delay_alu instid0(VALU_DEP_3)
	v_cndmask_b32_e32 v3, 0x7f800000, v7, vcc_lo
	s_wait_alu 0xf1ff
	v_cndmask_b32_e64 v166, 0x7f800000, v1, s2
	v_cvt_f16_f32_e64 v1, v167
	v_dual_fmac_f32 v167, v0, v2 :: v_dual_and_b32 v0, 0xffff, v4
	v_cvt_f16_f32_e32 v6, v3
	s_delay_alu instid0(VALU_DEP_4) | instskip(SKIP_1) | instid1(VALU_DEP_4)
	v_cvt_f16_f32_e64 v7, v166
	v_fmac_f32_e32 v166, v5, v3
	v_mul_u32_u24_e32 v212, 0x10001, v0
	s_delay_alu instid0(VALU_DEP_4) | instskip(NEXT) | instid1(VALU_DEP_4)
	v_and_b32_e32 v2, 0xffff, v6
	v_pack_b32_f16 v1, v1, v7
	ds_store_b32 v154, v1
	s_wait_loadcnt 0x7
	ds_store_b128 v143, v[13:16]
	s_wait_loadcnt 0x6
	ds_store_b128 v146, v[17:20]
	;; [unrolled: 2-line block ×8, first 2 shown]
	v_mul_u32_u24_e32 v213, 0x10001, v2
	s_wait_dscnt 0x0
	s_barrier_signal -1
	s_barrier_wait -1
	global_inv scope:SCOPE_SE
	ds_load_2addr_b64 v[168:171], v123 offset1:32
	ds_load_b128 v[172:175], v145
	ds_load_b128 v[176:179], v145 offset:16
	ds_load_b128 v[180:183], v145 offset:32
	ds_load_b128 v[184:187], v145 offset:48
	ds_load_2addr_b64 v[188:191], v123 offset0:64 offset1:96
	ds_load_2addr_b64 v[72:75], v123 offset0:128 offset1:160
	ds_load_2addr_b64 v[76:79], v123 offset0:192 offset1:224
	ds_load_2addr_b64 v[60:63], v155 offset1:32
	ds_load_2addr_b64 v[48:51], v155 offset0:64 offset1:96
	ds_load_2addr_b64 v[0:3], v155 offset0:128 offset1:160
	ds_load_2addr_b64 v[4:7], v155 offset0:192 offset1:224
	ds_load_2addr_b64 v[8:11], v156 offset1:32
	;; [unrolled: 4-line block ×5, first 2 shown]
	ds_load_b128 v[192:195], v145 offset:64
	ds_load_b128 v[196:199], v145 offset:80
	ds_load_2addr_b64 v[68:71], v159 offset0:64 offset1:96
	ds_load_2addr_b64 v[80:83], v159 offset0:128 offset1:160
	;; [unrolled: 1-line block ×3, first 2 shown]
	ds_load_2addr_b64 v[204:207], v160 offset1:32
	ds_load_b128 v[208:211], v145 offset:96
	s_wait_dscnt 0x1e
	v_and_b32_e32 v215, 0xffff, v172
	v_lshrrev_b32_e32 v214, 16, v172
	s_wait_dscnt 0x1d
	v_lshrrev_b32_e32 v222, 16, v176
	v_and_b32_e32 v223, 0xffff, v176
	v_and_b32_e32 v217, 0xffff, v173
	v_mul_u32_u24_e32 v176, 0x10001, v215
	v_lshrrev_b32_e32 v224, 16, v177
	v_and_b32_e32 v225, 0xffff, v177
	v_lshrrev_b32_e32 v226, 16, v178
	v_and_b32_e32 v227, 0xffff, v178
	v_pk_mul_f16 v165, v165, v212
	v_pk_mul_f16 v163, v163, v212
	;; [unrolled: 1-line block ×6, first 2 shown]
	v_mul_u32_u24_e32 v177, 0x10001, v214
	v_pk_mul_f16 v178, v168, v176
	v_lshrrev_b32_e32 v216, 16, v173
	v_lshrrev_b32_e32 v228, 16, v179
	v_and_b32_e32 v229, 0xffff, v179
	v_pk_fma_f16 v179, v169, v176, v165
	v_pk_fma_f16 v214, v170, v176, v163
	;; [unrolled: 1-line block ×3, first 2 shown]
	v_pk_mul_f16 v163, v168, v177
	v_pk_fma_f16 v151, v169, v177, v151
	v_pk_fma_f16 v140, v170, v177, v140
	;; [unrolled: 1-line block ×4, first 2 shown]
	v_mul_u32_u24_e32 v178, 0x10001, v217
	v_and_b32_e32 v219, 0xffff, v174
	v_pk_fma_f16 v144, v144, v213, v163
	v_lshrrev_b32_e32 v218, 16, v174
	v_and_b32_e32 v221, 0xffff, v175
	s_wait_dscnt 0x1a
	v_pk_fma_f16 v179, v189, v178, v179
	v_pk_fma_f16 v213, v190, v178, v214
	;; [unrolled: 1-line block ×4, first 2 shown]
	v_mul_u32_u24_e32 v178, 0x10001, v216
	v_lshrrev_b32_e32 v220, 16, v175
	v_mul_u32_u24_e32 v216, 0x10001, v218
	v_mul_u32_u24_e32 v217, 0x10001, v221
	;; [unrolled: 1-line block ×3, first 2 shown]
	v_pk_fma_f16 v151, v189, v178, v151
	v_pk_fma_f16 v140, v190, v178, v140
	v_pk_fma_f16 v134, v191, v178, v134
	v_pk_fma_f16 v144, v188, v178, v144
	v_mul_u32_u24_e32 v178, 0x10001, v219
	s_wait_dscnt 0x5
	v_lshrrev_b32_e32 v188, 16, v197
	v_and_b32_e32 v189, 0xffff, v197
	v_lshrrev_b32_e32 v190, 16, v198
	v_and_b32_e32 v191, 0xffff, v198
	;; [unrolled: 2-line block ×3, first 2 shown]
	v_pk_fma_f16 v199, v73, v178, v179
	v_pk_fma_f16 v213, v74, v178, v213
	;; [unrolled: 1-line block ×9, first 2 shown]
	v_mul_u32_u24_e32 v217, 0x10001, v220
	v_pk_fma_f16 v151, v73, v216, v151
	v_pk_fma_f16 v140, v74, v216, v140
	;; [unrolled: 1-line block ×3, first 2 shown]
	v_mul_u32_u24_e32 v220, 0x10001, v222
	v_pk_fma_f16 v144, v76, v217, v144
	v_mul_u32_u24_e32 v76, 0x10001, v223
	v_pk_fma_f16 v151, v77, v217, v151
	v_pk_fma_f16 v140, v78, v217, v140
	;; [unrolled: 1-line block ×15, first 2 shown]
	v_mul_u32_u24_e32 v221, 0x10001, v224
	v_mul_u32_u24_e32 v224, 0x10001, v226
	v_lshrrev_b32_e32 v230, 16, v180
	v_and_b32_e32 v180, 0xffff, v180
	v_mul_u32_u24_e32 v225, 0x10001, v229
	v_pk_fma_f16 v151, v49, v221, v151
	v_pk_fma_f16 v140, v50, v221, v140
	;; [unrolled: 1-line block ×4, first 2 shown]
	v_mul_u32_u24_e32 v48, 0x10001, v227
	v_mul_u32_u24_e32 v226, 0x10001, v228
	v_lshrrev_b32_e32 v231, 16, v181
	v_and_b32_e32 v181, 0xffff, v181
	v_mul_u32_u24_e32 v180, 0x10001, v180
	v_pk_fma_f16 v199, v1, v48, v199
	v_pk_fma_f16 v213, v2, v48, v213
	;; [unrolled: 1-line block ×8, first 2 shown]
	v_mul_u32_u24_e32 v227, 0x10001, v230
	v_pk_fma_f16 v134, v5, v225, v199
	v_pk_fma_f16 v1, v5, v226, v1
	v_pk_fma_f16 v5, v6, v225, v213
	v_pk_fma_f16 v2, v6, v226, v2
	v_pk_fma_f16 v6, v7, v225, v214
	v_pk_fma_f16 v3, v7, v226, v3
	v_pk_fma_f16 v7, v4, v225, v215
	v_pk_fma_f16 v0, v4, v226, v0
	v_lshrrev_b32_e32 v232, 16, v182
	v_and_b32_e32 v182, 0xffff, v182
	v_mul_u32_u24_e32 v181, 0x10001, v181
	v_mul_u32_u24_e32 v228, 0x10001, v231
	v_pk_fma_f16 v4, v9, v180, v134
	v_pk_fma_f16 v1, v9, v227, v1
	v_pk_fma_f16 v5, v10, v180, v5
	v_pk_fma_f16 v2, v10, v227, v2
	v_pk_fma_f16 v6, v11, v180, v6
	v_pk_fma_f16 v3, v11, v227, v3
	v_pk_fma_f16 v7, v8, v180, v7
	v_pk_fma_f16 v0, v8, v227, v0
	v_lshrrev_b32_e32 v233, 16, v183
	v_and_b32_e32 v183, 0xffff, v183
	v_mul_u32_u24_e32 v182, 0x10001, v182
	;; [unrolled: 12-line block ×11, first 2 shown]
	v_mul_u32_u24_e32 v84, 0x10001, v84
	v_pk_fma_f16 v4, v53, v194, v4
	v_pk_fma_f16 v1, v53, v121, v1
	;; [unrolled: 1-line block ×8, first 2 shown]
	v_mul_u32_u24_e32 v196, 0x10001, v196
	v_mul_u32_u24_e32 v212, 0x10001, v212
	v_pk_fma_f16 v4, v57, v195, v4
	v_pk_fma_f16 v1, v57, v84, v1
	;; [unrolled: 1-line block ×8, first 2 shown]
	v_mul_u32_u24_e32 v189, 0x10001, v189
	v_mul_u32_u24_e32 v188, 0x10001, v188
	v_pk_fma_f16 v4, v65, v196, v4
	v_pk_fma_f16 v1, v65, v212, v1
	;; [unrolled: 1-line block ×8, first 2 shown]
	ds_load_2addr_b64 v[172:175], v160 offset0:64 offset1:96
	v_mul_u32_u24_e32 v191, 0x10001, v191
	v_mul_u32_u24_e32 v190, 0x10001, v190
	s_wait_dscnt 0x5
	v_pk_fma_f16 v4, v69, v189, v4
	v_pk_fma_f16 v1, v69, v188, v1
	;; [unrolled: 1-line block ×8, first 2 shown]
	ds_load_2addr_b64 v[168:171], v160 offset0:128 offset1:160
	ds_load_b128 v[72:75], v145 offset:112
	s_wait_dscnt 0x3
	v_lshrrev_b32_e32 v216, 16, v208
	v_and_b32_e32 v208, 0xffff, v208
	v_mul_u32_u24_e32 v198, 0x10001, v198
	v_mul_u32_u24_e32 v197, 0x10001, v197
	v_pk_fma_f16 v4, v81, v191, v4
	v_pk_fma_f16 v1, v81, v190, v1
	;; [unrolled: 1-line block ×8, first 2 shown]
	ds_load_2addr_b64 v[162:165], v160 offset0:192 offset1:224
	v_lshrrev_b32_e32 v217, 16, v209
	v_and_b32_e32 v209, 0xffff, v209
	v_mul_u32_u24_e32 v208, 0x10001, v208
	v_mul_u32_u24_e32 v216, 0x10001, v216
	v_pk_fma_f16 v4, v201, v198, v4
	v_pk_fma_f16 v1, v201, v197, v1
	;; [unrolled: 1-line block ×8, first 2 shown]
	ds_load_2addr_b64 v[176:179], v161 offset1:32
	v_lshrrev_b32_e32 v218, 16, v210
	v_and_b32_e32 v210, 0xffff, v210
	v_mul_u32_u24_e32 v209, 0x10001, v209
	v_mul_u32_u24_e32 v217, 0x10001, v217
	v_pk_fma_f16 v4, v205, v208, v4
	v_pk_fma_f16 v1, v205, v216, v1
	;; [unrolled: 1-line block ×8, first 2 shown]
	v_lshrrev_b32_e32 v219, 16, v211
	v_and_b32_e32 v211, 0xffff, v211
	ds_load_2addr_b64 v[76:79], v161 offset0:64 offset1:96
	v_mul_u32_u24_e32 v210, 0x10001, v210
	v_mul_u32_u24_e32 v218, 0x10001, v218
	s_wait_dscnt 0x5
	v_pk_fma_f16 v4, v173, v209, v4
	v_pk_fma_f16 v1, v173, v217, v1
	;; [unrolled: 1-line block ×8, first 2 shown]
	ds_load_2addr_b64 v[60:63], v161 offset0:128 offset1:160
	s_wait_dscnt 0x4
	v_lshrrev_b32_e32 v220, 16, v72
	v_and_b32_e32 v72, 0xffff, v72
	v_mul_u32_u24_e32 v211, 0x10001, v211
	v_mul_u32_u24_e32 v219, 0x10001, v219
	v_pk_fma_f16 v4, v169, v210, v4
	v_pk_fma_f16 v1, v169, v218, v1
	;; [unrolled: 1-line block ×8, first 2 shown]
	ds_load_2addr_b64 v[48:51], v161 offset0:192 offset1:224
	s_wait_loadcnt_dscnt 0x0
	s_barrier_signal -1
	s_barrier_wait -1
	global_inv scope:SCOPE_SE
	s_load_b32 s2, s[24:25], 0x4
	v_lshrrev_b32_e32 v221, 16, v73
	v_and_b32_e32 v73, 0xffff, v73
	v_mul_u32_u24_e32 v72, 0x10001, v72
	v_mul_u32_u24_e32 v220, 0x10001, v220
	v_pk_fma_f16 v4, v163, v211, v4
	v_pk_fma_f16 v1, v163, v219, v1
	v_pk_fma_f16 v5, v164, v211, v5
	v_pk_fma_f16 v2, v164, v219, v2
	v_pk_fma_f16 v6, v165, v211, v6
	v_pk_fma_f16 v3, v165, v219, v3
	v_pk_fma_f16 v7, v162, v211, v7
	v_pk_fma_f16 v0, v162, v219, v0
	v_lshrrev_b32_e32 v222, 16, v74
	v_and_b32_e32 v74, 0xffff, v74
	v_mul_u32_u24_e32 v73, 0x10001, v73
	v_mul_u32_u24_e32 v221, 0x10001, v221
	v_pk_fma_f16 v4, v177, v72, v4
	v_pk_fma_f16 v1, v177, v220, v1
	v_pk_fma_f16 v5, v178, v72, v5
	v_pk_fma_f16 v2, v178, v220, v2
	v_pk_fma_f16 v6, v179, v72, v6
	v_pk_fma_f16 v3, v179, v220, v3
	v_pk_fma_f16 v7, v176, v72, v7
	v_pk_fma_f16 v0, v176, v220, v0
	;; [unrolled: 12-line block ×3, first 2 shown]
	v_mul_u32_u24_e32 v75, 0x10001, v75
	v_mul_u32_u24_e32 v223, 0x10001, v223
	v_pk_fma_f16 v4, v61, v74, v4
	v_pk_fma_f16 v1, v61, v222, v1
	;; [unrolled: 1-line block ×8, first 2 shown]
	s_wait_kmcnt 0x0
	s_lshl_b32 s2, s2, 5
	v_pk_fma_f16 v165, v49, v75, v4
	v_pk_fma_f16 v151, v49, v223, v1
	;; [unrolled: 1-line block ×8, first 2 shown]
	s_wait_alu 0xfffe
	s_add_co_i32 s14, s2, s14
	s_wait_alu 0xfffe
	s_cmp_ge_i32 s14, s34
	s_cbranch_scc0 .LBB33_9
; %bb.10:
	scratch_load_b64 v[20:21], off, off     ; 8-byte Folded Reload
	v_dual_mov_b32 v0, v124 :: v_dual_lshlrev_b32 v33, 2, v85
.LBB33_11:
	v_cmp_lt_i32_e32 vcc_lo, v133, v126
	s_cmp_lg_u64 s[12:13], 0
	s_cselect_b32 s2, -1, 0
	s_cmp_eq_u32 s10, 0
	s_wait_alu 0xfffd
	v_cndmask_b32_e32 v1, v0, v133, vcc_lo
	v_cmp_lt_i32_e32 vcc_lo, v130, v126
	s_cselect_b32 s3, -1, 0
	s_wait_alu 0xfffe
	s_and_b32 s2, s3, s2
	v_lshlrev_b32_e32 v1, 2, v1
	s_wait_alu 0xfffd
	v_cndmask_b32_e32 v3, v0, v130, vcc_lo
	v_cmp_lt_i32_e32 vcc_lo, v129, v126
	ds_bpermute_b32 v2, v1, v167
	s_wait_dscnt 0x0
	v_dual_add_f32 v2, v167, v2 :: v_dual_lshlrev_b32 v3, 2, v3
	ds_bpermute_b32 v4, v3, v2
	s_wait_dscnt 0x0
	v_add_f32_e32 v2, v2, v4
	ds_bpermute_b32 v1, v1, v166
	s_wait_alu 0xfffd
	v_cndmask_b32_e32 v5, v0, v129, vcc_lo
	v_cmp_lt_i32_e32 vcc_lo, v128, v126
	s_delay_alu instid0(VALU_DEP_2)
	v_lshlrev_b32_e32 v5, 2, v5
	s_wait_dscnt 0x0
	v_add_f32_e32 v1, v166, v1
	ds_bpermute_b32 v3, v3, v1
	s_wait_dscnt 0x0
	v_add_f32_e32 v1, v1, v3
	ds_bpermute_b32 v3, v5, v2
	ds_bpermute_b32 v4, v5, v1
	s_wait_alu 0xfffd
	v_cndmask_b32_e32 v5, v0, v128, vcc_lo
	v_cmp_lt_i32_e32 vcc_lo, v127, v126
	s_wait_alu 0xfffd
	s_delay_alu instid0(VALU_DEP_2) | instskip(SKIP_2) | instid1(VALU_DEP_1)
	v_dual_cndmask_b32 v0, v0, v127 :: v_dual_lshlrev_b32 v5, 2, v5
	s_wait_alu 0xfffe
	s_and_b32 vcc_lo, exec_lo, s2
	v_lshlrev_b32_e32 v0, 2, v0
	s_wait_dscnt 0x0
	v_dual_add_f32 v2, v2, v3 :: v_dual_add_f32 v1, v1, v4
	ds_bpermute_b32 v3, v5, v2
	ds_bpermute_b32 v4, v5, v1
	s_wait_dscnt 0x0
	v_dual_add_f32 v2, v2, v3 :: v_dual_add_f32 v1, v1, v4
	ds_bpermute_b32 v3, v0, v2
	ds_bpermute_b32 v4, v0, v1
	s_wait_dscnt 0x0
	v_dual_add_f32 v0, v2, v3 :: v_dual_add_f32 v1, v1, v4
	s_wait_alu 0xfffe
	s_cbranch_vccz .LBB33_14
; %bb.12:
	s_ashr_i32 s31, s30, 31
	v_mov_b32_e32 v2, 0
	s_wait_alu 0xfffe
	s_lshl_b64 s[2:3], s[30:31], 2
	s_wait_alu 0xfffe
	s_add_nc_u64 s[2:3], s[12:13], s[2:3]
	global_load_b64 v[2:3], v2, s[2:3]
	v_max_num_f32_e32 v4, v119, v119
	s_wait_loadcnt 0x0
	v_dual_max_num_f32 v6, v120, v120 :: v_dual_max_num_f32 v5, v2, v2
	s_delay_alu instid0(VALU_DEP_1) | instskip(NEXT) | instid1(VALU_DEP_1)
	v_dual_max_num_f32 v7, v3, v3 :: v_dual_max_num_f32 v4, v4, v5
	v_dual_max_num_f32 v5, v6, v7 :: v_dual_sub_f32 v6, v119, v4
	s_delay_alu instid0(VALU_DEP_1) | instskip(SKIP_2) | instid1(VALU_DEP_4)
	v_sub_f32_e32 v7, v120, v5
	v_dual_sub_f32 v3, v3, v5 :: v_dual_sub_f32 v2, v2, v4
	v_mov_b32_e32 v120, v5
	v_cmp_ngt_f32_e32 vcc_lo, 0xc2ce8ed0, v6
	s_delay_alu instid0(VALU_DEP_4) | instskip(NEXT) | instid1(VALU_DEP_4)
	v_mul_f32_e32 v10, 0x3fb8aa3b, v7
	v_mul_f32_e32 v11, 0x3fb8aa3b, v3
	;; [unrolled: 1-line block ×3, first 2 shown]
	v_mov_b32_e32 v119, v4
	s_delay_alu instid0(VALU_DEP_4) | instskip(SKIP_1) | instid1(VALU_DEP_4)
	v_fma_f32 v16, 0x3fb8aa3b, v7, -v10
	v_rndne_f32_e32 v17, v10
	v_rndne_f32_e32 v15, v9
	v_mul_f32_e32 v8, 0x3fb8aa3b, v6
	v_fma_f32 v14, 0x3fb8aa3b, v2, -v9
	v_fma_f32 v18, 0x3fb8aa3b, v3, -v11
	v_rndne_f32_e32 v19, v11
	v_sub_f32_e32 v9, v9, v15
	v_fma_f32 v12, 0x3fb8aa3b, v6, -v8
	v_rndne_f32_e32 v13, v8
	v_fmac_f32_e32 v14, 0x32a5705f, v2
	v_sub_f32_e32 v10, v10, v17
	v_fmac_f32_e32 v18, 0x32a5705f, v3
	v_dual_fmac_f32 v12, 0x32a5705f, v6 :: v_dual_sub_f32 v11, v11, v19
	s_delay_alu instid0(VALU_DEP_4) | instskip(SKIP_2) | instid1(VALU_DEP_3)
	v_dual_sub_f32 v8, v8, v13 :: v_dual_add_f32 v9, v9, v14
	v_fmac_f32_e32 v16, 0x32a5705f, v7
	v_cvt_i32_f32_e32 v14, v17
	v_dual_add_f32 v11, v11, v18 :: v_dual_add_f32 v8, v8, v12
	v_cvt_i32_f32_e32 v12, v13
	s_delay_alu instid0(VALU_DEP_4)
	v_add_f32_e32 v10, v10, v16
	v_exp_f32_e32 v9, v9
	v_cvt_i32_f32_e32 v13, v15
	v_exp_f32_e32 v8, v8
	v_exp_f32_e32 v11, v11
	;; [unrolled: 1-line block ×3, first 2 shown]
	s_delay_alu instid0(VALU_DEP_1) | instskip(NEXT) | instid1(TRANS32_DEP_3)
	v_ldexp_f32 v9, v9, v13
	v_ldexp_f32 v8, v8, v12
	v_cvt_i32_f32_e32 v12, v19
	s_delay_alu instid0(TRANS32_DEP_1) | instskip(SKIP_1) | instid1(VALU_DEP_3)
	v_ldexp_f32 v10, v10, v14
	s_wait_alu 0xfffd
	v_cndmask_b32_e32 v8, 0, v8, vcc_lo
	v_cmp_ngt_f32_e32 vcc_lo, 0xc2ce8ed0, v7
	s_delay_alu instid0(TRANS32_DEP_2)
	v_ldexp_f32 v11, v11, v12
	s_wait_alu 0xfffd
	v_cndmask_b32_e32 v10, 0, v10, vcc_lo
	v_cmp_nlt_f32_e32 vcc_lo, 0x42b17218, v6
	s_wait_alu 0xfffd
	v_cndmask_b32_e32 v6, 0x7f800000, v8, vcc_lo
	v_cmp_ngt_f32_e32 vcc_lo, 0xc2ce8ed0, v2
	s_wait_alu 0xfffd
	v_cndmask_b32_e32 v8, 0, v9, vcc_lo
	v_cmp_nlt_f32_e32 vcc_lo, 0x42b17218, v7
	v_cvt_f16_f32_e32 v9, v6
	s_wait_alu 0xfffd
	v_cndmask_b32_e32 v7, 0x7f800000, v10, vcc_lo
	v_cmp_ngt_f32_e32 vcc_lo, 0xc2ce8ed0, v3
	s_wait_alu 0xfffd
	v_dual_cndmask_b32 v10, 0, v11 :: v_dual_and_b32 v9, 0xffff, v9
	v_cmp_nlt_f32_e32 vcc_lo, 0x42b17218, v2
	s_wait_alu 0xfffd
	v_cndmask_b32_e32 v2, 0x7f800000, v8, vcc_lo
	v_cvt_f16_f32_e32 v8, v7
	v_cmp_nlt_f32_e32 vcc_lo, 0x42b17218, v3
	s_delay_alu instid0(VALU_DEP_3) | instskip(NEXT) | instid1(VALU_DEP_3)
	v_fmac_f32_e32 v2, v0, v6
	v_and_b32_e32 v6, 0xffff, v8
	s_wait_alu 0xfffd
	v_cndmask_b32_e32 v3, 0x7f800000, v10, vcc_lo
	v_mul_u32_u24_e32 v8, 0x10001, v9
	s_delay_alu instid0(VALU_DEP_2) | instskip(SKIP_1) | instid1(VALU_DEP_3)
	v_dual_mov_b32 v0, v2 :: v_dual_fmac_f32 v3, v1, v7
	v_mul_u32_u24_e32 v1, 0x10001, v6
	v_pk_mul_f16 v162, v162, v8
	v_pk_mul_f16 v165, v165, v8
	;; [unrolled: 1-line block ×8, first 2 shown]
	v_mov_b32_e32 v1, v3
	s_mov_b32 s2, exec_lo
	v_cmpx_gt_i32_e64 s22, v20
	s_cbranch_execnz .LBB33_15
.LBB33_13:
	s_nop 0
	s_sendmsg sendmsg(MSG_DEALLOC_VGPRS)
	s_endpgm
.LBB33_14:
	s_delay_alu instid0(VALU_DEP_1)
	v_dual_mov_b32 v3, v1 :: v_dual_mov_b32 v2, v0
	s_mov_b32 s2, exec_lo
	s_wait_loadcnt 0x0
	v_cmpx_gt_i32_e64 s22, v20
	s_cbranch_execz .LBB33_13
.LBB33_15:
	s_load_b32 s1, s[0:1], 0xd4
	v_mov_b32_e32 v6, 1.0
	s_wait_kmcnt 0x0
	s_cmp_lg_u32 s1, 1
	s_cselect_b32 s3, -1, 0
	s_cmp_eq_u32 s1, 1
	s_cselect_b32 s2, -1, 0
	s_wait_alu 0xfffe
	s_and_b32 vcc_lo, exec_lo, s3
	s_wait_alu 0xfffe
	s_cbranch_vccnz .LBB33_17
; %bb.16:
	v_div_scale_f32 v4, null, v0, v0, 1.0
	s_delay_alu instid0(VALU_DEP_1) | instskip(NEXT) | instid1(TRANS32_DEP_1)
	v_rcp_f32_e32 v5, v4
	v_fma_f32 v6, -v4, v5, 1.0
	s_delay_alu instid0(VALU_DEP_1) | instskip(SKIP_1) | instid1(VALU_DEP_1)
	v_fmac_f32_e32 v5, v6, v5
	v_div_scale_f32 v6, vcc_lo, 1.0, v0, 1.0
	v_mul_f32_e32 v7, v6, v5
	s_delay_alu instid0(VALU_DEP_1) | instskip(NEXT) | instid1(VALU_DEP_1)
	v_fma_f32 v8, -v4, v7, v6
	v_fmac_f32_e32 v7, v8, v5
	s_delay_alu instid0(VALU_DEP_1) | instskip(SKIP_1) | instid1(VALU_DEP_1)
	v_fma_f32 v4, -v4, v7, v6
	s_wait_alu 0xfffd
	v_div_fmas_f32 v4, v4, v5, v7
	s_delay_alu instid0(VALU_DEP_1)
	v_div_fixup_f32 v6, v4, v0, 1.0
.LBB33_17:
	v_mad_co_u64_u32 v[4:5], null, s28, s22, v[20:21]
	v_lshrrev_b32_e32 v0, 16, v165
	v_cvt_f32_f16_e64 v7, v165
	v_lshrrev_b32_e32 v8, 16, v162
	v_mov_b32_e32 v16, 0
	v_lshrrev_b32_e32 v11, 16, v164
	v_lshrrev_b32_e32 v12, 16, v163
	v_mad_co_u64_u32 v[4:5], null, v4, s23, s[30:31]
	v_cvt_f32_f16_e64 v10, v162
	v_cvt_f32_f16_e64 v14, v163
	v_cvt_f32_f16_e32 v0, v0
	v_mul_f32_e32 v9, v6, v7
	v_cvt_f32_f16_e32 v8, v8
	v_cvt_f32_f16_e32 v19, v11
	v_mad_co_u64_u32 v[4:5], null, s1, v4, s[10:11]
	v_cvt_f32_f16_e64 v5, v164
	v_mul_f32_e32 v7, v6, v10
	v_mul_f32_e32 v11, v6, v14
	;; [unrolled: 1-line block ×5, first 2 shown]
	v_lshl_add_u32 v15, v4, 8, v33
	v_cvt_f32_f16_e32 v5, v12
	v_cmp_eq_u32_e32 vcc_lo, 0, v85
	v_mul_f32_e32 v10, v6, v0
	s_delay_alu instid0(VALU_DEP_4) | instskip(NEXT) | instid1(VALU_DEP_4)
	v_lshlrev_b64_e32 v[17:18], 2, v[15:16]
	v_dual_mul_f32 v12, v6, v5 :: v_dual_add_nc_u32 v15, 0x80, v15
	s_delay_alu instid0(VALU_DEP_1) | instskip(NEXT) | instid1(VALU_DEP_3)
	v_lshlrev_b64_e32 v[5:6], 2, v[15:16]
	v_add_co_u32 v15, s0, s16, v17
	s_wait_alu 0xf1ff
	s_delay_alu instid0(VALU_DEP_4) | instskip(NEXT) | instid1(VALU_DEP_3)
	v_add_co_ci_u32_e64 v16, null, s17, v18, s0
	v_add_co_u32 v5, s0, s16, v5
	s_wait_alu 0xf1ff
	v_add_co_ci_u32_e64 v6, null, s17, v6, s0
	s_and_b32 s0, vcc_lo, s3
	s_clause 0x1
	global_store_b128 v[15:16], v[7:10], off
	global_store_b128 v[5:6], v[11:14], off
	s_wait_alu 0xfffe
	s_and_saveexec_b32 s3, s0
	s_cbranch_execz .LBB33_19
; %bb.18:
	v_ashrrev_i32_e32 v5, 31, v4
	v_dual_mov_b32 v7, v119 :: v_dual_mov_b32 v8, v2
	s_delay_alu instid0(VALU_DEP_2) | instskip(NEXT) | instid1(VALU_DEP_1)
	v_lshlrev_b64_e32 v[5:6], 3, v[4:5]
	v_add_co_u32 v5, vcc_lo, s18, v5
	s_wait_alu 0xfffd
	s_delay_alu instid0(VALU_DEP_2)
	v_add_co_ci_u32_e64 v6, null, s19, v6, vcc_lo
	global_store_b64 v[5:6], v[7:8], off
.LBB33_19:
	s_wait_alu 0xfffe
	s_or_b32 exec_lo, exec_lo, s3
	v_mov_b32_e32 v2, 1.0
	s_and_not1_b32 vcc_lo, exec_lo, s2
	s_wait_alu 0xfffe
	s_cbranch_vccnz .LBB33_21
; %bb.20:
	v_div_scale_f32 v0, null, v1, v1, 1.0
	s_delay_alu instid0(VALU_DEP_1) | instskip(NEXT) | instid1(TRANS32_DEP_1)
	v_rcp_f32_e32 v2, v0
	v_fma_f32 v5, -v0, v2, 1.0
	s_delay_alu instid0(VALU_DEP_1) | instskip(SKIP_1) | instid1(VALU_DEP_1)
	v_fmac_f32_e32 v2, v5, v2
	v_div_scale_f32 v5, vcc_lo, 1.0, v1, 1.0
	v_mul_f32_e32 v6, v5, v2
	s_delay_alu instid0(VALU_DEP_1) | instskip(NEXT) | instid1(VALU_DEP_1)
	v_fma_f32 v7, -v0, v6, v5
	v_fmac_f32_e32 v6, v7, v2
	s_delay_alu instid0(VALU_DEP_1) | instskip(SKIP_1) | instid1(VALU_DEP_1)
	v_fma_f32 v0, -v0, v6, v5
	s_wait_alu 0xfffd
	v_div_fmas_f32 v0, v0, v2, v6
	s_delay_alu instid0(VALU_DEP_1)
	v_div_fixup_f32 v2, v0, v1, 1.0
.LBB33_21:
	v_lshrrev_b32_e32 v1, 16, v151
	v_dual_mov_b32 v9, 0 :: v_dual_add_nc_u32 v0, s1, v4
	v_lshrrev_b32_e32 v4, 16, v144
	v_lshrrev_b32_e32 v14, 16, v140
	s_delay_alu instid0(VALU_DEP_4) | instskip(NEXT) | instid1(VALU_DEP_4)
	v_cvt_f32_f16_e32 v1, v1
	v_lshl_add_u32 v8, v0, 8, v33
	v_cvt_f32_f16_e64 v5, v151
	v_cvt_f32_f16_e32 v4, v4
	v_cvt_f32_f16_e64 v12, v144
	v_mul_f32_e32 v7, v2, v1
	v_lshlrev_b64_e32 v[10:11], 2, v[8:9]
	v_add_nc_u32_e32 v8, 0x80, v8
	v_lshrrev_b32_e32 v1, 16, v134
	v_cvt_f32_f16_e32 v16, v14
	v_mul_f32_e32 v6, v2, v5
	v_mul_f32_e32 v5, v2, v4
	v_lshlrev_b64_e32 v[14:15], 2, v[8:9]
	v_cvt_f32_f16_e32 v1, v1
	v_mul_f32_e32 v4, v2, v12
	v_add_co_u32 v12, vcc_lo, s16, v10
	v_cvt_f32_f16_e64 v10, v134
	v_cvt_f32_f16_e64 v17, v140
	s_wait_alu 0xfffd
	v_add_co_ci_u32_e64 v13, null, s17, v11, vcc_lo
	v_mul_f32_e32 v11, v2, v1
	v_add_co_u32 v1, vcc_lo, s16, v14
	v_mul_f32_e32 v10, v2, v10
	v_mul_f32_e32 v9, v2, v16
	;; [unrolled: 1-line block ×3, first 2 shown]
	s_wait_alu 0xfffd
	v_add_co_ci_u32_e64 v2, null, s17, v15, vcc_lo
	s_clause 0x1
	global_store_b128 v[12:13], v[4:7], off
	global_store_b128 v[1:2], v[8:11], off
	s_and_b32 exec_lo, exec_lo, s0
	s_cbranch_execz .LBB33_13
; %bb.22:
	v_ashrrev_i32_e32 v1, 31, v0
	v_mov_b32_e32 v2, v120
	s_delay_alu instid0(VALU_DEP_2) | instskip(NEXT) | instid1(VALU_DEP_1)
	v_lshlrev_b64_e32 v[0:1], 3, v[0:1]
	v_add_co_u32 v0, vcc_lo, s18, v0
	s_wait_alu 0xfffd
	s_delay_alu instid0(VALU_DEP_2)
	v_add_co_ci_u32_e64 v1, null, s19, v1, vcc_lo
	global_store_b64 v[0:1], v[2:3], off
	s_nop 0
	s_sendmsg sendmsg(MSG_DEALLOC_VGPRS)
	s_endpgm
	.section	.rodata,"a",@progbits
	.p2align	6, 0x0
	.amdhsa_kernel _ZL15flash_attn_tileILi256ELi256ELi4ELi2ELb0EEvPKcS1_S1_S1_S1_PKiPfP15HIP_vector_typeIfLj2EEffffjfiS5_IjLj3EEiiiiiiiiiiiliiliiiiil
		.amdhsa_group_segment_fixed_size 21504
		.amdhsa_private_segment_fixed_size 12
		.amdhsa_kernarg_size 464
		.amdhsa_user_sgpr_count 2
		.amdhsa_user_sgpr_dispatch_ptr 0
		.amdhsa_user_sgpr_queue_ptr 0
		.amdhsa_user_sgpr_kernarg_segment_ptr 1
		.amdhsa_user_sgpr_dispatch_id 0
		.amdhsa_user_sgpr_private_segment_size 0
		.amdhsa_wavefront_size32 1
		.amdhsa_uses_dynamic_stack 0
		.amdhsa_enable_private_segment 1
		.amdhsa_system_sgpr_workgroup_id_x 1
		.amdhsa_system_sgpr_workgroup_id_y 1
		.amdhsa_system_sgpr_workgroup_id_z 1
		.amdhsa_system_sgpr_workgroup_info 0
		.amdhsa_system_vgpr_workitem_id 1
		.amdhsa_next_free_vgpr 240
		.amdhsa_next_free_sgpr 42
		.amdhsa_reserve_vcc 1
		.amdhsa_float_round_mode_32 0
		.amdhsa_float_round_mode_16_64 0
		.amdhsa_float_denorm_mode_32 3
		.amdhsa_float_denorm_mode_16_64 3
		.amdhsa_fp16_overflow 0
		.amdhsa_workgroup_processor_mode 1
		.amdhsa_memory_ordered 1
		.amdhsa_forward_progress 1
		.amdhsa_inst_pref_size 83
		.amdhsa_round_robin_scheduling 0
		.amdhsa_exception_fp_ieee_invalid_op 0
		.amdhsa_exception_fp_denorm_src 0
		.amdhsa_exception_fp_ieee_div_zero 0
		.amdhsa_exception_fp_ieee_overflow 0
		.amdhsa_exception_fp_ieee_underflow 0
		.amdhsa_exception_fp_ieee_inexact 0
		.amdhsa_exception_int_div_zero 0
	.end_amdhsa_kernel
	.section	.text._ZL15flash_attn_tileILi256ELi256ELi4ELi2ELb0EEvPKcS1_S1_S1_S1_PKiPfP15HIP_vector_typeIfLj2EEffffjfiS5_IjLj3EEiiiiiiiiiiiliiliiiiil,"axG",@progbits,_ZL15flash_attn_tileILi256ELi256ELi4ELi2ELb0EEvPKcS1_S1_S1_S1_PKiPfP15HIP_vector_typeIfLj2EEffffjfiS5_IjLj3EEiiiiiiiiiiiliiliiiiil,comdat
.Lfunc_end33:
	.size	_ZL15flash_attn_tileILi256ELi256ELi4ELi2ELb0EEvPKcS1_S1_S1_S1_PKiPfP15HIP_vector_typeIfLj2EEffffjfiS5_IjLj3EEiiiiiiiiiiiliiliiiiil, .Lfunc_end33-_ZL15flash_attn_tileILi256ELi256ELi4ELi2ELb0EEvPKcS1_S1_S1_S1_PKiPfP15HIP_vector_typeIfLj2EEffffjfiS5_IjLj3EEiiiiiiiiiiiliiliiiiil
                                        ; -- End function
	.set _ZL15flash_attn_tileILi256ELi256ELi4ELi2ELb0EEvPKcS1_S1_S1_S1_PKiPfP15HIP_vector_typeIfLj2EEffffjfiS5_IjLj3EEiiiiiiiiiiiliiliiiiil.num_vgpr, 240
	.set _ZL15flash_attn_tileILi256ELi256ELi4ELi2ELb0EEvPKcS1_S1_S1_S1_PKiPfP15HIP_vector_typeIfLj2EEffffjfiS5_IjLj3EEiiiiiiiiiiiliiliiiiil.num_agpr, 0
	.set _ZL15flash_attn_tileILi256ELi256ELi4ELi2ELb0EEvPKcS1_S1_S1_S1_PKiPfP15HIP_vector_typeIfLj2EEffffjfiS5_IjLj3EEiiiiiiiiiiiliiliiiiil.numbered_sgpr, 42
	.set _ZL15flash_attn_tileILi256ELi256ELi4ELi2ELb0EEvPKcS1_S1_S1_S1_PKiPfP15HIP_vector_typeIfLj2EEffffjfiS5_IjLj3EEiiiiiiiiiiiliiliiiiil.num_named_barrier, 0
	.set _ZL15flash_attn_tileILi256ELi256ELi4ELi2ELb0EEvPKcS1_S1_S1_S1_PKiPfP15HIP_vector_typeIfLj2EEffffjfiS5_IjLj3EEiiiiiiiiiiiliiliiiiil.private_seg_size, 12
	.set _ZL15flash_attn_tileILi256ELi256ELi4ELi2ELb0EEvPKcS1_S1_S1_S1_PKiPfP15HIP_vector_typeIfLj2EEffffjfiS5_IjLj3EEiiiiiiiiiiiliiliiiiil.uses_vcc, 1
	.set _ZL15flash_attn_tileILi256ELi256ELi4ELi2ELb0EEvPKcS1_S1_S1_S1_PKiPfP15HIP_vector_typeIfLj2EEffffjfiS5_IjLj3EEiiiiiiiiiiiliiliiiiil.uses_flat_scratch, 0
	.set _ZL15flash_attn_tileILi256ELi256ELi4ELi2ELb0EEvPKcS1_S1_S1_S1_PKiPfP15HIP_vector_typeIfLj2EEffffjfiS5_IjLj3EEiiiiiiiiiiiliiliiiiil.has_dyn_sized_stack, 0
	.set _ZL15flash_attn_tileILi256ELi256ELi4ELi2ELb0EEvPKcS1_S1_S1_S1_PKiPfP15HIP_vector_typeIfLj2EEffffjfiS5_IjLj3EEiiiiiiiiiiiliiliiiiil.has_recursion, 0
	.set _ZL15flash_attn_tileILi256ELi256ELi4ELi2ELb0EEvPKcS1_S1_S1_S1_PKiPfP15HIP_vector_typeIfLj2EEffffjfiS5_IjLj3EEiiiiiiiiiiiliiliiiiil.has_indirect_call, 0
	.section	.AMDGPU.csdata,"",@progbits
; Kernel info:
; codeLenInByte = 10608
; TotalNumSgprs: 44
; NumVgprs: 240
; ScratchSize: 12
; MemoryBound: 0
; FloatMode: 240
; IeeeMode: 1
; LDSByteSize: 21504 bytes/workgroup (compile time only)
; SGPRBlocks: 0
; VGPRBlocks: 29
; NumSGPRsForWavesPerEU: 44
; NumVGPRsForWavesPerEU: 240
; Occupancy: 6
; WaveLimiterHint : 1
; COMPUTE_PGM_RSRC2:SCRATCH_EN: 1
; COMPUTE_PGM_RSRC2:USER_SGPR: 2
; COMPUTE_PGM_RSRC2:TRAP_HANDLER: 0
; COMPUTE_PGM_RSRC2:TGID_X_EN: 1
; COMPUTE_PGM_RSRC2:TGID_Y_EN: 1
; COMPUTE_PGM_RSRC2:TGID_Z_EN: 1
; COMPUTE_PGM_RSRC2:TIDIG_COMP_CNT: 1
	.section	.text._ZL33flash_attn_stream_k_fixup_uniformILi256ELi4ELi2EEvPfPK15HIP_vector_typeIfLj2EEiiiiiiS1_IjLj3EES5_S5_,"axG",@progbits,_ZL33flash_attn_stream_k_fixup_uniformILi256ELi4ELi2EEvPfPK15HIP_vector_typeIfLj2EEiiiiiiS1_IjLj3EES5_S5_,comdat
	.globl	_ZL33flash_attn_stream_k_fixup_uniformILi256ELi4ELi2EEvPfPK15HIP_vector_typeIfLj2EEiiiiiiS1_IjLj3EES5_S5_ ; -- Begin function _ZL33flash_attn_stream_k_fixup_uniformILi256ELi4ELi2EEvPfPK15HIP_vector_typeIfLj2EEiiiiiiS1_IjLj3EES5_S5_
	.p2align	8
	.type	_ZL33flash_attn_stream_k_fixup_uniformILi256ELi4ELi2EEvPfPK15HIP_vector_typeIfLj2EEiiiiiiS1_IjLj3EES5_S5_,@function
_ZL33flash_attn_stream_k_fixup_uniformILi256ELi4ELi2EEvPfPK15HIP_vector_typeIfLj2EEiiiiiiS1_IjLj3EES5_S5_: ; @_ZL33flash_attn_stream_k_fixup_uniformILi256ELi4ELi2EEvPfPK15HIP_vector_typeIfLj2EEiiiiiiS1_IjLj3EES5_S5_
; %bb.0:
	s_clause 0x1
	s_load_b256 s[4:11], s[0:1], 0x1c
	s_load_b128 s[12:15], s[0:1], 0x3c
	s_wait_kmcnt 0x0
	s_mul_hi_u32 s2, s7, ttmp9
	s_delay_alu instid0(SALU_CYCLE_1) | instskip(NEXT) | instid1(SALU_CYCLE_1)
	s_add_co_i32 s2, ttmp9, s2
	s_lshr_b32 s2, s2, s8
	s_delay_alu instid0(SALU_CYCLE_1) | instskip(SKIP_2) | instid1(SALU_CYCLE_1)
	s_mul_i32 s3, s2, s9
	s_load_b64 s[8:9], s[0:1], 0x10
	s_sub_co_i32 s7, ttmp9, s3
	s_mul_hi_u32 s3, s7, s10
	s_delay_alu instid0(SALU_CYCLE_1) | instskip(NEXT) | instid1(SALU_CYCLE_1)
	s_add_co_i32 s3, s7, s3
	s_lshr_b32 s3, s3, s11
	s_delay_alu instid0(SALU_CYCLE_1) | instskip(NEXT) | instid1(SALU_CYCLE_1)
	s_mul_i32 s10, s3, s12
	s_sub_co_i32 s7, s7, s10
	s_delay_alu instid0(SALU_CYCLE_1) | instskip(NEXT) | instid1(SALU_CYCLE_1)
	s_mul_hi_u32 s10, s7, s13
	s_add_co_i32 s10, s7, s10
	s_delay_alu instid0(SALU_CYCLE_1) | instskip(NEXT) | instid1(SALU_CYCLE_1)
	s_lshr_b32 s12, s10, s14
	s_mul_i32 s10, s12, s15
	s_lshl_b32 s12, s12, 1
	s_sub_co_i32 s11, s7, s10
	s_and_b32 s7, ttmp7, 0xffff
	s_lshl_b32 s13, s11, 2
	s_lshr_b32 s10, ttmp7, 16
	s_add_co_i32 s13, s13, s7
	s_wait_kmcnt 0x0
	s_cmp_lt_i32 s13, s8
	s_cselect_b32 s13, -1, 0
	s_add_co_i32 s14, s12, s10
	s_delay_alu instid0(SALU_CYCLE_1) | instskip(SKIP_1) | instid1(SALU_CYCLE_1)
	s_cmp_lt_i32 s14, s5
	s_cselect_b32 s14, -1, 0
	s_and_b32 s13, s13, s14
	s_delay_alu instid0(SALU_CYCLE_1)
	s_and_not1_b32 vcc_lo, exec_lo, s13
	s_cbranch_vccnz .LBB34_6
; %bb.1:
	s_mul_i32 s2, s2, s8
	s_mul_i32 s5, s3, s5
	s_add_co_i32 s2, s2, s7
	s_delay_alu instid0(SALU_CYCLE_1) | instskip(NEXT) | instid1(SALU_CYCLE_1)
	s_mul_i32 s2, s2, s9
	s_add_co_i32 s8, s2, s10
	s_load_b128 s[0:3], s[0:1], 0x0
	s_add_co_i32 s5, s8, s5
	s_mul_i32 s8, s9, s11
	s_add_co_i32 s5, s5, s12
	s_lshl_b32 s8, s8, 10
	s_lshl_b32 s5, s5, 8
	s_delay_alu instid0(SALU_CYCLE_1)
	s_add_co_i32 s8, s8, s5
	s_lshl_b32 s5, s7, 1
	v_or_b32_e32 v1, s8, v0
	s_mul_i32 s8, s6, ttmp9
	s_wait_alu 0xfffe
	s_add_co_i32 s9, s8, s6
	s_wait_alu 0xfffe
	s_add_co_i32 s12, s9, -2
	v_ashrrev_i32_e32 v2, 31, v1
	s_delay_alu instid0(VALU_DEP_1) | instskip(SKIP_1) | instid1(VALU_DEP_1)
	v_lshlrev_b64_e32 v[1:2], 2, v[1:2]
	s_wait_kmcnt 0x0
	v_add_co_u32 v1, vcc_lo, s0, v1
	s_delay_alu instid0(VALU_DEP_1)
	v_add_co_ci_u32_e64 v2, null, s1, v2, vcc_lo
	s_add_co_i32 s0, s5, s10
	s_lshl_b32 s1, s9, 3
	global_load_b32 v5, v[1:2], off
	s_wait_alu 0xfffe
	s_add_co_i32 s0, s0, s1
	s_wait_alu 0xfffe
	s_add_co_i32 s0, s0, -8
	s_wait_alu 0xfffe
	s_ashr_i32 s1, s0, 31
	s_wait_alu 0xfffe
	s_lshl_b64 s[0:1], s[0:1], 3
	s_cmp_lt_i32 s12, s8
	s_wait_alu 0xfffe
	s_add_nc_u64 s[0:1], s[2:3], s[0:1]
	s_load_b32 s11, s[0:1], 0x4
	s_cbranch_scc1 .LBB34_4
; %bb.2:
	s_load_b32 s0, s[0:1], 0x0
	s_add_co_i32 s13, ttmp9, 1
	s_lshl_b32 s12, s4, 5
	s_mul_i32 s1, s6, s13
	s_lshl_b32 s6, s7, 9
	s_lshl_b32 s7, s10, 8
	s_wait_alu 0xfffe
	s_lshl_b32 s14, s1, 11
	s_add_co_i32 s6, s7, s6
	s_lshl_b32 s1, s1, 3
	s_add_co_i32 s14, s6, s14
	s_wait_alu 0xfffe
	s_add_co_i32 s1, s10, s1
	v_or_b32_e32 v0, s14, v0
	s_lshl_b32 s4, s4, 3
	s_ashr_i32 s13, s12, 31
	s_wait_alu 0xfffe
	s_add_co_i32 s1, s1, s4
	s_wait_kmcnt 0x0
	v_dual_mov_b32 v6, s11 :: v_dual_add_nc_u32 v3, 0xfffff000, v0
	s_lshl_b64 s[6:7], s[12:13], 2
	s_wait_alu 0xfffe
	s_add_co_i32 s4, s1, s5
	s_add_nc_u64 s[6:7], s[2:3], s[6:7]
	s_add_co_i32 s1, s9, -1
	s_add_co_i32 s4, s4, -16
.LBB34_3:                               ; =>This Inner Loop Header: Depth=1
	v_ashrrev_i32_e32 v4, 31, v3
	s_ashr_i32 s5, s4, 31
	v_mov_b32_e32 v10, v6
	s_lshl_b64 s[10:11], s[4:5], 3
	s_wait_loadcnt 0x0
	v_mov_b32_e32 v9, v5
	v_lshlrev_b64_e32 v[7:8], 2, v[3:4]
	s_wait_alu 0xfffe
	s_add_nc_u64 s[10:11], s[2:3], s[10:11]
	v_max_num_f32_e64 v4, s0, s0
	s_load_b64 s[10:11], s[10:11], 0x0
	v_add_nc_u32_e32 v3, 0xfffff800, v3
	v_add_co_u32 v7, vcc_lo, s6, v7
	s_wait_alu 0xfffd
	v_add_co_ci_u32_e64 v8, null, s7, v8, vcc_lo
	v_readfirstlane_b32 s5, v4
	global_load_b32 v0, v[7:8], off
	s_wait_kmcnt 0x0
	v_max_num_f32_e64 v4, s10, s10
	s_delay_alu instid0(VALU_DEP_1) | instskip(SKIP_1) | instid1(SALU_CYCLE_3)
	v_readfirstlane_b32 s9, v4
	s_max_num_f32 s5, s5, s9
	s_sub_f32 s0, s0, s5
	s_sub_f32 s9, s10, s5
	s_wait_alu 0xfffe
	s_delay_alu instid0(SALU_CYCLE_1) | instskip(NEXT) | instid1(SALU_CYCLE_1)
	s_mul_f32 s10, s0, 0x3fb8aa3b
	s_mul_f32 s12, s9, 0x3fb8aa3b
	s_wait_alu 0xfffe
	s_delay_alu instid0(SALU_CYCLE_1)
	s_xor_b32 s13, s10, 0x80000000
	s_rndne_f32 s14, s10
	s_fmamk_f32 s13, s0, 0x3fb8aa3b, s13
	s_cmp_nlt_f32 s0, 0xc2ce8ed0
	s_rndne_f32 s15, s12
	s_wait_alu 0xfffe
	s_sub_f32 s10, s10, s14
	s_fmamk_f32 s13, s0, 0x32a5705f, s13
	s_cvt_i32_f32 s14, s14
	s_cselect_b32 vcc_lo, -1, 0
	s_cmp_ngt_f32 s0, 0x42b17218
	s_wait_alu 0xfffe
	s_add_f32 s10, s10, s13
	s_sub_f32 s13, s12, s15
	s_wait_alu 0xfffe
	s_delay_alu instid0(SALU_CYCLE_1) | instskip(SKIP_1) | instid1(TRANS32_DEP_1)
	v_s_exp_f32 s10, s10
	s_wait_alu 0xf1ff
	v_ldexp_f32 v4, s10, s14
	s_cvt_i32_f32 s10, s15
	s_delay_alu instid0(VALU_DEP_1) | instskip(SKIP_3) | instid1(VALU_DEP_1)
	v_cndmask_b32_e32 v4, 0, v4, vcc_lo
	s_cselect_b32 vcc_lo, -1, 0
	s_cmp_ge_f32 s0, 0xc1a00000
	s_wait_alu 0xfffe
	v_cndmask_b32_e32 v4, 0x7f800000, v4, vcc_lo
	s_cselect_b32 vcc_lo, -1, 0
	s_xor_b32 s0, s12, 0x80000000
	s_cmp_nlt_f32 s9, 0xc2ce8ed0
	s_wait_alu 0xfffe
	s_fmamk_f32 s0, s9, 0x3fb8aa3b, s0
	s_wait_alu 0xfffe
	s_delay_alu instid0(SALU_CYCLE_2) | instskip(SKIP_1) | instid1(SALU_CYCLE_2)
	s_fmamk_f32 s0, s9, 0x32a5705f, s0
	s_wait_alu 0xfffe
	s_add_f32 s0, s13, s0
	s_wait_alu 0xfffe
	s_delay_alu instid0(SALU_CYCLE_2) | instskip(SKIP_1) | instid1(TRANS32_DEP_1)
	v_s_exp_f32 s0, s0
	s_wait_alu 0xf1ff
	v_ldexp_f32 v7, s0, s10
	s_cselect_b32 s0, -1, 0
	s_cmp_ngt_f32 s9, 0x42b17218
	s_wait_alu 0xfffe
	s_delay_alu instid0(VALU_DEP_1) | instskip(SKIP_3) | instid1(VALU_DEP_1)
	v_cndmask_b32_e64 v7, 0, v7, s0
	s_cselect_b32 s0, -1, 0
	s_cmp_ge_f32 s9, 0xc1a00000
	s_wait_alu 0xfffe
	v_cndmask_b32_e64 v7, 0x7f800000, v7, s0
	s_cselect_b32 s0, -1, 0
	s_add_co_i32 s1, s1, -1
	s_add_co_i32 s4, s4, -8
	s_wait_alu 0xfffe
	s_cmp_le_i32 s1, s8
	v_cndmask_b32_e64 v7, 0, v7, s0
	s_mov_b32 s0, s5
	s_wait_loadcnt 0x0
	s_delay_alu instid0(VALU_DEP_1) | instskip(NEXT) | instid1(VALU_DEP_1)
	v_dual_mul_f32 v5, v0, v7 :: v_dual_cndmask_b32 v4, 0, v4
	v_dual_mul_f32 v8, s11, v7 :: v_dual_fmac_f32 v5, v9, v4
	s_delay_alu instid0(VALU_DEP_1) | instskip(NEXT) | instid1(VALU_DEP_1)
	v_mov_b32_e32 v6, v8
	v_fmac_f32_e32 v6, v10, v4
	s_cbranch_scc0 .LBB34_3
	s_branch .LBB34_5
.LBB34_4:
	s_wait_kmcnt 0x0
	v_mov_b32_e32 v6, s11
.LBB34_5:
	s_wait_loadcnt 0x0
	s_delay_alu instid0(VALU_DEP_1) | instskip(NEXT) | instid1(VALU_DEP_1)
	v_div_scale_f32 v0, null, v6, v6, v5
	v_rcp_f32_e32 v3, v0
	s_delay_alu instid0(TRANS32_DEP_1) | instskip(NEXT) | instid1(VALU_DEP_1)
	v_fma_f32 v4, -v0, v3, 1.0
	v_fmac_f32_e32 v3, v4, v3
	v_div_scale_f32 v4, vcc_lo, v5, v6, v5
	s_delay_alu instid0(VALU_DEP_1) | instskip(NEXT) | instid1(VALU_DEP_1)
	v_mul_f32_e32 v7, v4, v3
	v_fma_f32 v8, -v0, v7, v4
	s_delay_alu instid0(VALU_DEP_1) | instskip(NEXT) | instid1(VALU_DEP_1)
	v_fmac_f32_e32 v7, v8, v3
	v_fma_f32 v0, -v0, v7, v4
	s_wait_alu 0xfffd
	s_delay_alu instid0(VALU_DEP_1) | instskip(NEXT) | instid1(VALU_DEP_1)
	v_div_fmas_f32 v0, v0, v3, v7
	v_div_fixup_f32 v0, v0, v6, v5
	global_store_b32 v[1:2], v0, off
.LBB34_6:
	s_endpgm
	.section	.rodata,"a",@progbits
	.p2align	6, 0x0
	.amdhsa_kernel _ZL33flash_attn_stream_k_fixup_uniformILi256ELi4ELi2EEvPfPK15HIP_vector_typeIfLj2EEiiiiiiS1_IjLj3EES5_S5_
		.amdhsa_group_segment_fixed_size 0
		.amdhsa_private_segment_fixed_size 0
		.amdhsa_kernarg_size 76
		.amdhsa_user_sgpr_count 2
		.amdhsa_user_sgpr_dispatch_ptr 0
		.amdhsa_user_sgpr_queue_ptr 0
		.amdhsa_user_sgpr_kernarg_segment_ptr 1
		.amdhsa_user_sgpr_dispatch_id 0
		.amdhsa_user_sgpr_private_segment_size 0
		.amdhsa_wavefront_size32 1
		.amdhsa_uses_dynamic_stack 0
		.amdhsa_enable_private_segment 0
		.amdhsa_system_sgpr_workgroup_id_x 1
		.amdhsa_system_sgpr_workgroup_id_y 1
		.amdhsa_system_sgpr_workgroup_id_z 1
		.amdhsa_system_sgpr_workgroup_info 0
		.amdhsa_system_vgpr_workitem_id 0
		.amdhsa_next_free_vgpr 11
		.amdhsa_next_free_sgpr 16
		.amdhsa_reserve_vcc 1
		.amdhsa_float_round_mode_32 0
		.amdhsa_float_round_mode_16_64 0
		.amdhsa_float_denorm_mode_32 3
		.amdhsa_float_denorm_mode_16_64 3
		.amdhsa_fp16_overflow 0
		.amdhsa_workgroup_processor_mode 1
		.amdhsa_memory_ordered 1
		.amdhsa_forward_progress 1
		.amdhsa_inst_pref_size 9
		.amdhsa_round_robin_scheduling 0
		.amdhsa_exception_fp_ieee_invalid_op 0
		.amdhsa_exception_fp_denorm_src 0
		.amdhsa_exception_fp_ieee_div_zero 0
		.amdhsa_exception_fp_ieee_overflow 0
		.amdhsa_exception_fp_ieee_underflow 0
		.amdhsa_exception_fp_ieee_inexact 0
		.amdhsa_exception_int_div_zero 0
	.end_amdhsa_kernel
	.section	.text._ZL33flash_attn_stream_k_fixup_uniformILi256ELi4ELi2EEvPfPK15HIP_vector_typeIfLj2EEiiiiiiS1_IjLj3EES5_S5_,"axG",@progbits,_ZL33flash_attn_stream_k_fixup_uniformILi256ELi4ELi2EEvPfPK15HIP_vector_typeIfLj2EEiiiiiiS1_IjLj3EES5_S5_,comdat
.Lfunc_end34:
	.size	_ZL33flash_attn_stream_k_fixup_uniformILi256ELi4ELi2EEvPfPK15HIP_vector_typeIfLj2EEiiiiiiS1_IjLj3EES5_S5_, .Lfunc_end34-_ZL33flash_attn_stream_k_fixup_uniformILi256ELi4ELi2EEvPfPK15HIP_vector_typeIfLj2EEiiiiiiS1_IjLj3EES5_S5_
                                        ; -- End function
	.set _ZL33flash_attn_stream_k_fixup_uniformILi256ELi4ELi2EEvPfPK15HIP_vector_typeIfLj2EEiiiiiiS1_IjLj3EES5_S5_.num_vgpr, 11
	.set _ZL33flash_attn_stream_k_fixup_uniformILi256ELi4ELi2EEvPfPK15HIP_vector_typeIfLj2EEiiiiiiS1_IjLj3EES5_S5_.num_agpr, 0
	.set _ZL33flash_attn_stream_k_fixup_uniformILi256ELi4ELi2EEvPfPK15HIP_vector_typeIfLj2EEiiiiiiS1_IjLj3EES5_S5_.numbered_sgpr, 16
	.set _ZL33flash_attn_stream_k_fixup_uniformILi256ELi4ELi2EEvPfPK15HIP_vector_typeIfLj2EEiiiiiiS1_IjLj3EES5_S5_.num_named_barrier, 0
	.set _ZL33flash_attn_stream_k_fixup_uniformILi256ELi4ELi2EEvPfPK15HIP_vector_typeIfLj2EEiiiiiiS1_IjLj3EES5_S5_.private_seg_size, 0
	.set _ZL33flash_attn_stream_k_fixup_uniformILi256ELi4ELi2EEvPfPK15HIP_vector_typeIfLj2EEiiiiiiS1_IjLj3EES5_S5_.uses_vcc, 1
	.set _ZL33flash_attn_stream_k_fixup_uniformILi256ELi4ELi2EEvPfPK15HIP_vector_typeIfLj2EEiiiiiiS1_IjLj3EES5_S5_.uses_flat_scratch, 0
	.set _ZL33flash_attn_stream_k_fixup_uniformILi256ELi4ELi2EEvPfPK15HIP_vector_typeIfLj2EEiiiiiiS1_IjLj3EES5_S5_.has_dyn_sized_stack, 0
	.set _ZL33flash_attn_stream_k_fixup_uniformILi256ELi4ELi2EEvPfPK15HIP_vector_typeIfLj2EEiiiiiiS1_IjLj3EES5_S5_.has_recursion, 0
	.set _ZL33flash_attn_stream_k_fixup_uniformILi256ELi4ELi2EEvPfPK15HIP_vector_typeIfLj2EEiiiiiiS1_IjLj3EES5_S5_.has_indirect_call, 0
	.section	.AMDGPU.csdata,"",@progbits
; Kernel info:
; codeLenInByte = 1140
; TotalNumSgprs: 18
; NumVgprs: 11
; ScratchSize: 0
; MemoryBound: 0
; FloatMode: 240
; IeeeMode: 1
; LDSByteSize: 0 bytes/workgroup (compile time only)
; SGPRBlocks: 0
; VGPRBlocks: 1
; NumSGPRsForWavesPerEU: 18
; NumVGPRsForWavesPerEU: 11
; Occupancy: 16
; WaveLimiterHint : 0
; COMPUTE_PGM_RSRC2:SCRATCH_EN: 0
; COMPUTE_PGM_RSRC2:USER_SGPR: 2
; COMPUTE_PGM_RSRC2:TRAP_HANDLER: 0
; COMPUTE_PGM_RSRC2:TGID_X_EN: 1
; COMPUTE_PGM_RSRC2:TGID_Y_EN: 1
; COMPUTE_PGM_RSRC2:TGID_Z_EN: 1
; COMPUTE_PGM_RSRC2:TIDIG_COMP_CNT: 0
	.section	.text._ZL33flash_attn_stream_k_fixup_generalILi256ELi4ELi2EEvPfPK15HIP_vector_typeIfLj2EEiiiiS1_IjLj3EES5_S5_S5_,"axG",@progbits,_ZL33flash_attn_stream_k_fixup_generalILi256ELi4ELi2EEvPfPK15HIP_vector_typeIfLj2EEiiiiS1_IjLj3EES5_S5_S5_,comdat
	.globl	_ZL33flash_attn_stream_k_fixup_generalILi256ELi4ELi2EEvPfPK15HIP_vector_typeIfLj2EEiiiiS1_IjLj3EES5_S5_S5_ ; -- Begin function _ZL33flash_attn_stream_k_fixup_generalILi256ELi4ELi2EEvPfPK15HIP_vector_typeIfLj2EEiiiiS1_IjLj3EES5_S5_S5_
	.p2align	8
	.type	_ZL33flash_attn_stream_k_fixup_generalILi256ELi4ELi2EEvPfPK15HIP_vector_typeIfLj2EEiiiiS1_IjLj3EES5_S5_S5_,@function
_ZL33flash_attn_stream_k_fixup_generalILi256ELi4ELi2EEvPfPK15HIP_vector_typeIfLj2EEiiiiS1_IjLj3EES5_S5_S5_: ; @_ZL33flash_attn_stream_k_fixup_generalILi256ELi4ELi2EEvPfPK15HIP_vector_typeIfLj2EEiiiiS1_IjLj3EES5_S5_S5_
; %bb.0:
	s_clause 0x1
	s_load_b128 s[4:7], s[0:1], 0x10
	s_load_b32 s16, s[0:1], 0x50
	s_mov_b32 s2, ttmp9
	s_ashr_i32 s3, ttmp9, 31
	s_mov_b32 s17, 0
	s_delay_alu instid0(SALU_CYCLE_1) | instskip(SKIP_3) | instid1(SALU_CYCLE_1)
	s_mov_b32 s8, s17
	s_wait_kmcnt 0x0
	s_ashr_i32 s19, s7, 31
	s_mov_b32 s18, s7
	s_mul_u64 s[2:3], s[18:19], s[2:3]
	s_delay_alu instid0(SALU_CYCLE_1) | instskip(NEXT) | instid1(SALU_CYCLE_1)
	s_mov_b32 s9, s3
	s_cmp_lg_u64 s[8:9], 0
	s_cbranch_scc0 .LBB35_21
; %bb.1:
	s_add_nc_u64 s[8:9], s[16:17], 0
	s_mov_b32 s15, s17
	s_xor_b64 s[8:9], s[8:9], 0
	s_mov_b32 s23, s17
	s_cvt_f32_u32 s7, s8
	s_cvt_f32_u32 s10, s9
	s_sub_nc_u64 s[12:13], 0, s[8:9]
	s_delay_alu instid0(SALU_CYCLE_2) | instskip(NEXT) | instid1(SALU_CYCLE_3)
	s_fmamk_f32 s7, s10, 0x4f800000, s7
	v_s_rcp_f32 s7, s7
	s_delay_alu instid0(TRANS32_DEP_1) | instskip(SKIP_1) | instid1(SALU_CYCLE_2)
	s_mul_f32 s7, s7, 0x5f7ffffc
	s_wait_alu 0xfffe
	s_mul_f32 s10, s7, 0x2f800000
	s_delay_alu instid0(SALU_CYCLE_3) | instskip(NEXT) | instid1(SALU_CYCLE_3)
	s_trunc_f32 s10, s10
	s_fmamk_f32 s7, s10, 0xcf800000, s7
	s_cvt_u32_f32 s11, s10
	s_wait_alu 0xfffe
	s_delay_alu instid0(SALU_CYCLE_1) | instskip(NEXT) | instid1(SALU_CYCLE_3)
	s_cvt_u32_f32 s10, s7
	s_mul_u64 s[20:21], s[12:13], s[10:11]
	s_delay_alu instid0(SALU_CYCLE_1)
	s_mul_hi_u32 s25, s10, s21
	s_mul_i32 s24, s10, s21
	s_mul_hi_u32 s14, s10, s20
	s_mul_i32 s22, s11, s20
	s_add_nc_u64 s[14:15], s[14:15], s[24:25]
	s_mul_hi_u32 s7, s11, s20
	s_mul_hi_u32 s26, s11, s21
	s_add_co_u32 s14, s14, s22
	s_wait_alu 0xfffe
	s_add_co_ci_u32 s22, s15, s7
	s_mul_i32 s20, s11, s21
	s_add_co_ci_u32 s21, s26, 0
	s_delay_alu instid0(SALU_CYCLE_1)
	s_add_nc_u64 s[14:15], s[22:23], s[20:21]
	s_mov_b32 s21, s17
	s_add_co_u32 s10, s10, s14
	s_cselect_b32 s7, -1, 0
	s_wait_alu 0xfffe
	s_cmp_lg_u32 s7, 0
	s_add_co_ci_u32 s11, s11, s15
	s_mov_b32 s15, s17
	s_mul_u64 s[12:13], s[12:13], s[10:11]
	s_delay_alu instid0(SALU_CYCLE_1)
	s_mul_hi_u32 s23, s10, s13
	s_mul_i32 s22, s10, s13
	s_mul_hi_u32 s14, s10, s12
	s_mul_i32 s20, s11, s12
	s_add_nc_u64 s[14:15], s[14:15], s[22:23]
	s_mul_hi_u32 s7, s11, s12
	s_mul_hi_u32 s24, s11, s13
	s_mul_i32 s12, s11, s13
	s_add_co_u32 s13, s14, s20
	s_wait_alu 0xfffe
	s_add_co_ci_u32 s20, s15, s7
	s_add_co_ci_u32 s13, s24, 0
	s_mov_b32 s15, s17
	s_add_nc_u64 s[12:13], s[20:21], s[12:13]
	s_delay_alu instid0(SALU_CYCLE_1) | instskip(SKIP_1) | instid1(SALU_CYCLE_1)
	s_add_co_u32 s7, s10, s12
	s_cselect_b32 s10, -1, 0
	s_cmp_lg_u32 s10, 0
	s_add_co_ci_u32 s20, s11, s13
	s_ashr_i32 s10, s3, 31
	s_delay_alu instid0(SALU_CYCLE_1) | instskip(NEXT) | instid1(SALU_CYCLE_1)
	s_mov_b32 s11, s10
	s_add_nc_u64 s[12:13], s[2:3], s[10:11]
	s_delay_alu instid0(SALU_CYCLE_1) | instskip(NEXT) | instid1(SALU_CYCLE_1)
	s_xor_b64 s[12:13], s[12:13], s[10:11]
	s_mul_hi_u32 s23, s12, s20
	s_mul_i32 s22, s12, s20
	s_wait_alu 0xfffe
	s_mul_hi_u32 s14, s12, s7
	s_mul_hi_u32 s24, s13, s7
	s_mul_i32 s7, s13, s7
	s_add_nc_u64 s[14:15], s[14:15], s[22:23]
	s_mul_hi_u32 s3, s13, s20
	s_wait_alu 0xfffe
	s_add_co_u32 s7, s14, s7
	s_mul_i32 s22, s13, s20
	s_add_co_ci_u32 s20, s15, s24
	s_add_co_ci_u32 s23, s3, 0
	s_delay_alu instid0(SALU_CYCLE_1) | instskip(NEXT) | instid1(SALU_CYCLE_1)
	s_add_nc_u64 s[14:15], s[20:21], s[22:23]
	s_mul_u64 s[20:21], s[8:9], s[14:15]
	s_delay_alu instid0(SALU_CYCLE_1)
	s_sub_co_u32 s3, s12, s20
	s_cselect_b32 s7, -1, 0
	s_sub_co_i32 s12, s13, s21
	s_wait_alu 0xfffe
	s_cmp_lg_u32 s7, 0
	s_sub_co_ci_u32 s12, s12, s9
	s_sub_co_u32 s20, s3, s8
	s_cselect_b32 s22, -1, 0
	s_delay_alu instid0(SALU_CYCLE_1) | instskip(SKIP_2) | instid1(SALU_CYCLE_1)
	s_cmp_lg_u32 s22, 0
	s_add_nc_u64 s[22:23], s[14:15], 1
	s_sub_co_ci_u32 s12, s12, 0
	s_cmp_ge_u32 s12, s9
	s_cselect_b32 s24, -1, 0
	s_cmp_ge_u32 s20, s8
	s_cselect_b32 s20, -1, 0
	s_cmp_eq_u32 s12, s9
	s_cselect_b32 s12, s20, s24
	s_add_nc_u64 s[24:25], s[14:15], 2
	s_cmp_lg_u32 s12, 0
	s_cselect_b32 s12, s24, s22
	s_cselect_b32 s20, s25, s23
	s_cmp_lg_u32 s7, 0
	s_sub_co_ci_u32 s7, s13, s21
	s_wait_alu 0xfffe
	s_cmp_ge_u32 s7, s9
	s_cselect_b32 s13, -1, 0
	s_cmp_ge_u32 s3, s8
	s_cselect_b32 s3, -1, 0
	s_cmp_eq_u32 s7, s9
	s_cselect_b32 s3, s3, s13
	s_delay_alu instid0(SALU_CYCLE_1) | instskip(SKIP_4) | instid1(SALU_CYCLE_1)
	s_cmp_lg_u32 s3, 0
	s_mov_b32 s3, s17
	s_cselect_b32 s9, s20, s15
	s_cselect_b32 s8, s12, s14
	s_xor_b64 s[10:11], s[10:11], 0
	s_xor_b64 s[8:9], s[8:9], s[10:11]
	s_delay_alu instid0(SALU_CYCLE_1)
	s_sub_nc_u64 s[20:21], s[8:9], s[10:11]
	s_and_not1_b32 vcc_lo, exec_lo, s3
	s_cbranch_vccnz .LBB35_3
.LBB35_2:
	v_cvt_f32_u32_e32 v1, s16
	s_sub_co_i32 s7, 0, s16
	s_delay_alu instid0(VALU_DEP_1) | instskip(NEXT) | instid1(TRANS32_DEP_1)
	v_rcp_iflag_f32_e32 v1, v1
	v_mul_f32_e32 v1, 0x4f7ffffe, v1
	s_delay_alu instid0(VALU_DEP_1) | instskip(NEXT) | instid1(VALU_DEP_1)
	v_cvt_u32_f32_e32 v1, v1
	v_readfirstlane_b32 s3, v1
	s_wait_alu 0xfffe
	s_mul_i32 s7, s7, s3
	s_wait_alu 0xfffe
	s_mul_hi_u32 s7, s3, s7
	s_wait_alu 0xfffe
	s_add_co_i32 s3, s3, s7
	s_delay_alu instid0(SALU_CYCLE_1) | instskip(NEXT) | instid1(SALU_CYCLE_1)
	s_mul_hi_u32 s3, s2, s3
	s_mul_i32 s7, s3, s16
	s_wait_alu 0xfffe
	s_sub_co_i32 s2, s2, s7
	s_add_co_i32 s7, s3, 1
	s_sub_co_i32 s8, s2, s16
	s_cmp_ge_u32 s2, s16
	s_wait_alu 0xfffe
	s_cselect_b32 s3, s7, s3
	s_cselect_b32 s2, s8, s2
	s_add_co_i32 s7, s3, 1
	s_cmp_ge_u32 s2, s16
	s_wait_alu 0xfffe
	s_cselect_b32 s20, s7, s3
.LBB35_3:
	s_add_co_i32 s2, ttmp9, 1
	s_mov_b32 s8, 0
	s_ashr_i32 s3, s2, 31
	s_delay_alu instid0(SALU_CYCLE_1) | instskip(NEXT) | instid1(SALU_CYCLE_1)
	s_mul_u64 s[2:3], s[18:19], s[2:3]
	s_mov_b32 s9, s3
	s_delay_alu instid0(SALU_CYCLE_1)
	s_cmp_lg_u64 s[8:9], 0
	s_cbranch_scc0 .LBB35_22
; %bb.4:
	s_add_nc_u64 s[10:11], s[16:17], 0
	s_mov_b32 s23, s8
	s_xor_b64 s[10:11], s[10:11], 0
	s_mov_b32 s27, s8
	s_cvt_f32_u32 s7, s10
	s_cvt_f32_u32 s9, s11
	s_sub_nc_u64 s[14:15], 0, s[10:11]
	s_wait_alu 0xfffe
	s_delay_alu instid0(SALU_CYCLE_1) | instskip(SKIP_1) | instid1(SALU_CYCLE_2)
	s_fmamk_f32 s7, s9, 0x4f800000, s7
	s_wait_alu 0xfffe
	v_s_rcp_f32 s7, s7
	s_delay_alu instid0(TRANS32_DEP_1) | instskip(SKIP_1) | instid1(SALU_CYCLE_2)
	s_mul_f32 s7, s7, 0x5f7ffffc
	s_wait_alu 0xfffe
	s_mul_f32 s9, s7, 0x2f800000
	s_delay_alu instid0(SALU_CYCLE_3) | instskip(NEXT) | instid1(SALU_CYCLE_3)
	s_trunc_f32 s9, s9
	s_fmamk_f32 s7, s9, 0xcf800000, s7
	s_cvt_u32_f32 s13, s9
	s_wait_alu 0xfffe
	s_delay_alu instid0(SALU_CYCLE_1) | instskip(NEXT) | instid1(SALU_CYCLE_3)
	s_cvt_u32_f32 s12, s7
	s_mul_u64 s[24:25], s[14:15], s[12:13]
	s_delay_alu instid0(SALU_CYCLE_1)
	s_mul_hi_u32 s29, s12, s25
	s_mul_i32 s28, s12, s25
	s_mul_hi_u32 s22, s12, s24
	s_mul_i32 s9, s13, s24
	s_add_nc_u64 s[22:23], s[22:23], s[28:29]
	s_mul_hi_u32 s7, s13, s24
	s_mul_hi_u32 s21, s13, s25
	s_add_co_u32 s9, s22, s9
	s_wait_alu 0xfffe
	s_add_co_ci_u32 s26, s23, s7
	s_mul_i32 s24, s13, s25
	s_add_co_ci_u32 s25, s21, 0
	s_delay_alu instid0(SALU_CYCLE_1)
	s_add_nc_u64 s[22:23], s[26:27], s[24:25]
	s_mov_b32 s25, s8
	s_add_co_u32 s12, s12, s22
	s_cselect_b32 s7, -1, 0
	s_wait_alu 0xfffe
	s_cmp_lg_u32 s7, 0
	s_add_co_ci_u32 s13, s13, s23
	s_mov_b32 s23, s8
	s_mul_u64 s[14:15], s[14:15], s[12:13]
	s_delay_alu instid0(SALU_CYCLE_1)
	s_mul_hi_u32 s27, s12, s15
	s_mul_i32 s26, s12, s15
	s_mul_hi_u32 s22, s12, s14
	s_mul_i32 s9, s13, s14
	s_add_nc_u64 s[22:23], s[22:23], s[26:27]
	s_mul_hi_u32 s7, s13, s14
	s_mul_hi_u32 s21, s13, s15
	s_add_co_u32 s9, s22, s9
	s_wait_alu 0xfffe
	s_add_co_ci_u32 s24, s23, s7
	s_mul_i32 s14, s13, s15
	s_add_co_ci_u32 s15, s21, 0
	s_mov_b32 s23, s8
	s_add_nc_u64 s[14:15], s[24:25], s[14:15]
	s_delay_alu instid0(SALU_CYCLE_1) | instskip(SKIP_1) | instid1(SALU_CYCLE_1)
	s_add_co_u32 s7, s12, s14
	s_cselect_b32 s9, -1, 0
	s_cmp_lg_u32 s9, 0
	s_add_co_ci_u32 s9, s13, s15
	s_ashr_i32 s12, s3, 31
	s_delay_alu instid0(SALU_CYCLE_1) | instskip(NEXT) | instid1(SALU_CYCLE_1)
	s_mov_b32 s13, s12
	s_add_nc_u64 s[14:15], s[2:3], s[12:13]
	s_delay_alu instid0(SALU_CYCLE_1) | instskip(NEXT) | instid1(SALU_CYCLE_1)
	s_xor_b64 s[14:15], s[14:15], s[12:13]
	s_mul_hi_u32 s27, s14, s9
	s_mul_i32 s26, s14, s9
	s_wait_alu 0xfffe
	s_mul_hi_u32 s22, s14, s7
	s_mul_hi_u32 s21, s15, s7
	s_mul_i32 s7, s15, s7
	s_add_nc_u64 s[22:23], s[22:23], s[26:27]
	s_mul_hi_u32 s3, s15, s9
	s_wait_alu 0xfffe
	s_add_co_u32 s7, s22, s7
	s_add_co_ci_u32 s24, s23, s21
	s_mul_i32 s26, s15, s9
	s_add_co_ci_u32 s27, s3, 0
	s_delay_alu instid0(SALU_CYCLE_1) | instskip(NEXT) | instid1(SALU_CYCLE_1)
	s_add_nc_u64 s[22:23], s[24:25], s[26:27]
	s_mul_u64 s[24:25], s[10:11], s[22:23]
	s_add_nc_u64 s[26:27], s[22:23], 1
	s_sub_co_u32 s3, s14, s24
	s_cselect_b32 s7, -1, 0
	s_sub_co_i32 s9, s15, s25
	s_wait_alu 0xfffe
	s_cmp_lg_u32 s7, 0
	s_add_nc_u64 s[28:29], s[22:23], 2
	s_sub_co_ci_u32 s9, s9, s11
	s_sub_co_u32 s14, s3, s10
	s_cselect_b32 s21, -1, 0
	s_delay_alu instid0(SALU_CYCLE_1) | instskip(SKIP_1) | instid1(SALU_CYCLE_1)
	s_cmp_lg_u32 s21, 0
	s_sub_co_ci_u32 s9, s9, 0
	s_cmp_ge_u32 s9, s11
	s_cselect_b32 s21, -1, 0
	s_cmp_ge_u32 s14, s10
	s_cselect_b32 s14, -1, 0
	s_cmp_eq_u32 s9, s11
	s_cselect_b32 s9, s14, s21
	s_delay_alu instid0(SALU_CYCLE_1)
	s_cmp_lg_u32 s9, 0
	s_cselect_b32 s9, s28, s26
	s_cselect_b32 s14, s29, s27
	s_cmp_lg_u32 s7, 0
	s_sub_co_ci_u32 s7, s15, s25
	s_wait_alu 0xfffe
	s_cmp_ge_u32 s7, s11
	s_cselect_b32 s15, -1, 0
	s_cmp_ge_u32 s3, s10
	s_cselect_b32 s3, -1, 0
	s_cmp_eq_u32 s7, s11
	s_cselect_b32 s3, s3, s15
	s_delay_alu instid0(SALU_CYCLE_1) | instskip(SKIP_3) | instid1(SALU_CYCLE_1)
	s_cmp_lg_u32 s3, 0
	s_cselect_b32 s11, s14, s23
	s_cselect_b32 s10, s9, s22
	s_xor_b64 s[12:13], s[12:13], 0
	s_xor_b64 s[10:11], s[10:11], s[12:13]
	s_delay_alu instid0(SALU_CYCLE_1)
	s_sub_nc_u64 s[10:11], s[10:11], s[12:13]
	s_load_b96 s[12:14], s[0:1], 0x44
	s_and_not1_b32 vcc_lo, exec_lo, s8
	s_cbranch_vccnz .LBB35_6
.LBB35_5:
	v_cvt_f32_u32_e32 v1, s16
	s_sub_co_i32 s7, 0, s16
	s_delay_alu instid0(VALU_DEP_1) | instskip(NEXT) | instid1(TRANS32_DEP_1)
	v_rcp_iflag_f32_e32 v1, v1
	v_mul_f32_e32 v1, 0x4f7ffffe, v1
	s_delay_alu instid0(VALU_DEP_1) | instskip(NEXT) | instid1(VALU_DEP_1)
	v_cvt_u32_f32_e32 v1, v1
	v_readfirstlane_b32 s3, v1
	s_wait_alu 0xfffe
	s_mul_i32 s7, s7, s3
	s_wait_alu 0xfffe
	s_mul_hi_u32 s7, s3, s7
	s_wait_alu 0xfffe
	s_add_co_i32 s3, s3, s7
	s_delay_alu instid0(SALU_CYCLE_1) | instskip(NEXT) | instid1(SALU_CYCLE_1)
	s_mul_hi_u32 s3, s2, s3
	s_mul_i32 s7, s3, s16
	s_wait_alu 0xfffe
	s_sub_co_i32 s2, s2, s7
	s_add_co_i32 s7, s3, 1
	s_sub_co_i32 s8, s2, s16
	s_cmp_ge_u32 s2, s16
	s_wait_alu 0xfffe
	s_cselect_b32 s3, s7, s3
	s_cselect_b32 s2, s8, s2
	s_add_co_i32 s7, s3, 1
	s_cmp_ge_u32 s2, s16
	s_wait_alu 0xfffe
	s_cselect_b32 s10, s7, s3
.LBB35_6:
	s_mov_b32 s21, 0
	s_wait_kmcnt 0x0
	s_mov_b32 s22, s12
	s_mov_b32 s23, s21
	s_cmp_eq_u32 s20, s10
	s_mul_u64 s[2:3], s[20:21], s[22:23]
	s_cselect_b32 s7, -1, 0
	s_add_co_i32 s2, s3, s20
	s_mov_b32 s11, s21
	s_lshr_b32 s12, s2, s13
	s_mul_u64 s[2:3], s[10:11], s[22:23]
	s_mul_i32 s2, s12, s14
	s_delay_alu instid0(SALU_CYCLE_1) | instskip(SKIP_2) | instid1(SALU_CYCLE_1)
	s_cmp_eq_u32 s2, s20
	s_cselect_b32 s2, -1, 0
	s_add_co_i32 s3, s3, s10
	s_lshr_b32 s3, s3, s13
	s_delay_alu instid0(SALU_CYCLE_1)
	s_cmp_eq_u32 s12, s3
	s_mul_i32 s3, s3, s14
	s_cselect_b32 s8, -1, 0
	s_cmp_lg_u32 s3, s10
	s_cselect_b32 s3, -1, 0
	s_wait_alu 0xfffe
	s_or_b32 s2, s7, s2
	s_and_b32 s3, s8, s3
	s_delay_alu instid0(SALU_CYCLE_1) | instskip(NEXT) | instid1(SALU_CYCLE_1)
	s_or_b32 s2, s2, s3
	s_and_b32 vcc_lo, exec_lo, s2
	s_cbranch_vccnz .LBB35_24
; %bb.7:
	s_load_b256 s[24:31], s[0:1], 0x20
	s_mov_b32 s3, s21
	s_wait_kmcnt 0x0
	s_mov_b32 s2, s24
	s_delay_alu instid0(SALU_CYCLE_1) | instskip(NEXT) | instid1(SALU_CYCLE_1)
	s_mul_u64 s[2:3], s[20:21], s[2:3]
	s_add_co_i32 s2, s3, s20
	s_delay_alu instid0(SALU_CYCLE_1) | instskip(SKIP_2) | instid1(SALU_CYCLE_1)
	s_lshr_b32 s7, s2, s25
	s_load_b32 s2, s[0:1], 0x40
	s_mul_i32 s3, s7, s26
	s_sub_co_i32 s3, s20, s3
	s_delay_alu instid0(SALU_CYCLE_1) | instskip(NEXT) | instid1(SALU_CYCLE_1)
	s_mul_hi_u32 s8, s3, s27
	s_add_co_i32 s8, s3, s8
	s_delay_alu instid0(SALU_CYCLE_1) | instskip(NEXT) | instid1(SALU_CYCLE_1)
	s_lshr_b32 s8, s8, s28
	s_mul_i32 s9, s8, s29
	s_delay_alu instid0(SALU_CYCLE_1) | instskip(NEXT) | instid1(SALU_CYCLE_1)
	s_sub_co_i32 s9, s3, s9
	s_mul_hi_u32 s3, s9, s30
	s_delay_alu instid0(SALU_CYCLE_1) | instskip(NEXT) | instid1(SALU_CYCLE_1)
	s_add_co_i32 s3, s9, s3
	s_lshr_b32 s24, s3, s31
	s_mov_b32 s3, s21
	s_wait_kmcnt 0x0
	s_mul_i32 s2, s24, s2
	s_lshl_b32 s21, s24, 1
	s_sub_co_i32 s2, s9, s2
	s_delay_alu instid0(SALU_CYCLE_1) | instskip(SKIP_2) | instid1(SALU_CYCLE_1)
	s_mul_u64 s[10:11], s[2:3], s[22:23]
	s_lshr_b32 s3, ttmp7, 16
	s_add_co_i32 s2, s2, s11
	s_lshr_b32 s15, s2, s13
	s_and_b32 s2, ttmp7, 0xffff
	s_lshl_b32 s9, s15, 2
	s_delay_alu instid0(SALU_CYCLE_1) | instskip(NEXT) | instid1(SALU_CYCLE_1)
	s_add_co_i32 s9, s9, s2
	s_cmp_lt_i32 s9, s4
	s_cselect_b32 s9, -1, 0
	s_add_co_i32 s10, s21, s3
	s_delay_alu instid0(SALU_CYCLE_1) | instskip(SKIP_1) | instid1(SALU_CYCLE_1)
	s_cmp_lt_i32 s10, s6
	s_cselect_b32 s10, -1, 0
	s_and_b32 s9, s9, s10
	s_delay_alu instid0(SALU_CYCLE_1)
	s_and_not1_b32 vcc_lo, exec_lo, s9
	s_cbranch_vccnz .LBB35_24
; %bb.8:
	s_mul_i32 s4, s7, s4
	s_mul_i32 s6, s8, s6
	s_add_co_i32 s4, s4, s2
	s_load_b128 s[8:11], s[0:1], 0x0
	s_mul_i32 s4, s4, s5
	s_mul_i32 s1, s5, s15
	s_add_co_i32 s4, s4, s3
	s_lshl_b32 s1, s1, 10
	s_add_co_i32 s0, s4, s6
	s_lshl_b32 s15, s2, 1
	s_add_co_i32 s0, s0, s21
	s_add_co_i32 s15, s15, s3
	s_lshl_b32 s0, s0, 8
	v_cvt_f32_u32_e32 v4, s16
	s_add_co_i32 s1, s1, s0
	s_add_co_i32 s34, ttmp9, -1
	v_or_b32_e32 v1, s1, v0
	s_add_nc_u64 s[0:1], s[16:17], 0
	v_rcp_iflag_f32_e32 v4, v4
	s_wait_alu 0xfffe
	s_xor_b64 s[6:7], s[0:1], 0
	s_lshl_b32 s0, ttmp9, 3
	v_ashrrev_i32_e32 v2, 31, v1
	s_wait_alu 0xfffe
	s_cvt_f32_u32 s1, s6
	s_cvt_f32_u32 s2, s7
	s_add_co_i32 s0, s15, s0
	v_lshl_or_b32 v0, s15, 8, v0
	v_lshlrev_b64_e32 v[1:2], 2, v[1:2]
	s_wait_alu 0xfffe
	s_fmamk_f32 s2, s2, 0x4f800000, s1
	s_ashr_i32 s1, s0, 31
	s_sub_nc_u64 s[30:31], 0, s[6:7]
	s_wait_alu 0xfffe
	s_lshl_b64 s[0:1], s[0:1], 3
	v_s_rcp_f32 s2, s2
	s_wait_kmcnt 0x0
	v_add_co_u32 v1, vcc_lo, s8, v1
	s_delay_alu instid0(VALU_DEP_1)
	v_add_co_ci_u32_e64 v2, null, s9, v2, vcc_lo
	s_wait_alu 0xfffe
	s_add_nc_u64 s[0:1], s[10:11], s[0:1]
	s_mov_b32 s8, 0
	s_load_b64 s[26:27], s[0:1], 0x0
	global_load_b32 v3, v[1:2], off
	s_mul_f32 s2, s2, 0x5f7ffffc
	v_mul_f32_e32 v4, 0x4f7ffffe, v4
	s_lshl_b32 s0, s16, 5
	s_wait_alu 0xfffe
	s_mul_f32 s1, s2, 0x2f800000
	s_wait_alu 0xfffe
	s_delay_alu instid0(SALU_CYCLE_2)
	s_trunc_f32 s3, s1
	s_mov_b32 s1, s8
	s_wait_alu 0xfffe
	s_lshl_b64 s[0:1], s[0:1], 2
	s_fmamk_f32 s2, s3, 0xcf800000, s2
	s_cvt_u32_f32 s29, s3
	s_wait_alu 0xfffe
	s_add_nc_u64 s[24:25], s[10:11], s[0:1]
	s_cvt_u32_f32 s28, s2
	s_wait_kmcnt 0x0
	v_mov_b32_e32 v5, s27
	v_cvt_u32_f32_e32 v4, v4
.LBB35_9:                               ; =>This Inner Loop Header: Depth=1
	s_wait_alu 0xfffe
	s_ashr_i32 s35, s34, 31
	s_mov_b32 s2, -1
	s_wait_alu 0xfffe
	s_mul_u64 s[0:1], s[34:35], s[18:19]
                                        ; implicit-def: $sgpr38_sgpr39
	s_wait_alu 0xfffe
	s_mov_b32 s9, s1
	s_wait_alu 0xfffe
	s_cmp_lg_u64 s[8:9], 0
	s_cbranch_scc0 .LBB35_11
; %bb.10:                               ;   in Loop: Header=BB35_9 Depth=1
	s_mul_u64 s[2:3], s[30:31], s[28:29]
	s_mov_b32 s37, s8
	s_wait_alu 0xfffe
	s_mul_hi_u32 s5, s28, s3
	s_mul_i32 s4, s28, s3
	s_mul_hi_u32 s36, s28, s2
	s_mul_hi_u32 s9, s29, s2
	s_wait_alu 0xfffe
	s_add_nc_u64 s[4:5], s[36:37], s[4:5]
	s_mul_i32 s2, s29, s2
	s_mul_hi_u32 s17, s29, s3
	s_wait_alu 0xfffe
	s_add_co_u32 s2, s4, s2
	s_add_co_ci_u32 s2, s5, s9
	s_add_co_ci_u32 s5, s17, 0
	s_mul_i32 s4, s29, s3
	s_mov_b32 s3, s8
	s_mov_b32 s39, s8
	s_wait_alu 0xfffe
	s_add_nc_u64 s[2:3], s[2:3], s[4:5]
	s_wait_alu 0xfffe
	s_add_co_u32 s2, s28, s2
	s_cselect_b32 s4, -1, 0
	s_wait_alu 0xfffe
	s_cmp_lg_u32 s4, 0
	s_add_co_ci_u32 s3, s29, s3
	s_wait_alu 0xfffe
	s_mul_u64 s[4:5], s[30:31], s[2:3]
	s_wait_alu 0xfffe
	s_mul_hi_u32 s37, s2, s5
	s_mul_i32 s36, s2, s5
	s_mul_hi_u32 s38, s2, s4
	s_mul_hi_u32 s9, s3, s4
	s_mul_i32 s4, s3, s4
	s_wait_alu 0xfffe
	s_add_nc_u64 s[36:37], s[38:39], s[36:37]
	s_mul_hi_u32 s17, s3, s5
	s_wait_alu 0xfffe
	s_add_co_u32 s4, s36, s4
	s_add_co_ci_u32 s4, s37, s9
	s_add_co_ci_u32 s37, s17, 0
	s_mul_i32 s36, s3, s5
	s_mov_b32 s5, s8
	s_wait_alu 0xfffe
	s_add_nc_u64 s[4:5], s[4:5], s[36:37]
	s_mov_b32 s37, s8
	s_wait_alu 0xfffe
	s_add_co_u32 s9, s2, s4
	s_cselect_b32 s2, -1, 0
	s_wait_alu 0xfffe
	s_cmp_lg_u32 s2, 0
	s_add_co_ci_u32 s17, s3, s5
	s_ashr_i32 s2, s1, 31
	s_wait_alu 0xfffe
	s_mov_b32 s3, s2
	s_wait_alu 0xfffe
	s_add_nc_u64 s[4:5], s[0:1], s[2:3]
	s_wait_alu 0xfffe
	s_xor_b64 s[4:5], s[4:5], s[2:3]
	s_wait_alu 0xfffe
	s_mul_hi_u32 s39, s4, s17
	s_mul_i32 s38, s4, s17
	s_mul_hi_u32 s36, s4, s9
	s_mul_i32 s21, s5, s9
	s_wait_alu 0xfffe
	s_add_nc_u64 s[36:37], s[36:37], s[38:39]
	s_mul_hi_u32 s9, s5, s9
	s_mul_hi_u32 s1, s5, s17
	s_wait_alu 0xfffe
	s_add_co_u32 s21, s36, s21
	s_add_co_ci_u32 s36, s37, s9
	s_add_co_ci_u32 s39, s1, 0
	s_mul_i32 s38, s5, s17
	s_mov_b32 s37, s8
	s_wait_alu 0xfffe
	s_add_nc_u64 s[36:37], s[36:37], s[38:39]
	s_wait_alu 0xfffe
	s_mul_u64 s[38:39], s[6:7], s[36:37]
	s_add_nc_u64 s[40:41], s[36:37], 1
	s_sub_co_u32 s1, s4, s38
	s_cselect_b32 s4, -1, 0
	s_sub_co_i32 s9, s5, s39
	s_wait_alu 0xfffe
	s_cmp_lg_u32 s4, 0
	s_add_nc_u64 s[42:43], s[36:37], 2
	s_sub_co_ci_u32 s9, s9, s7
	s_sub_co_u32 s17, s1, s6
	s_cselect_b32 s21, -1, 0
	s_delay_alu instid0(SALU_CYCLE_1)
	s_cmp_lg_u32 s21, 0
	s_wait_alu 0xfffe
	s_sub_co_ci_u32 s9, s9, 0
	s_wait_alu 0xfffe
	s_cmp_ge_u32 s9, s7
	s_cselect_b32 s21, -1, 0
	s_cmp_ge_u32 s17, s6
	s_cselect_b32 s17, -1, 0
	s_cmp_eq_u32 s9, s7
	s_wait_alu 0xfffe
	s_cselect_b32 s9, s17, s21
	s_wait_alu 0xfffe
	s_cmp_lg_u32 s9, 0
	s_cselect_b32 s9, s42, s40
	s_cselect_b32 s17, s43, s41
	s_cmp_lg_u32 s4, 0
	s_sub_co_ci_u32 s4, s5, s39
	s_wait_alu 0xfffe
	s_cmp_ge_u32 s4, s7
	s_cselect_b32 s5, -1, 0
	s_cmp_ge_u32 s1, s6
	s_cselect_b32 s1, -1, 0
	s_cmp_eq_u32 s4, s7
	s_wait_alu 0xfffe
	s_cselect_b32 s1, s1, s5
	s_wait_alu 0xfffe
	s_cmp_lg_u32 s1, 0
	s_cselect_b32 s5, s17, s37
	s_cselect_b32 s4, s9, s36
	s_xor_b64 s[2:3], s[2:3], 0
	s_wait_alu 0xfffe
	s_xor_b64 s[4:5], s[4:5], s[2:3]
	s_wait_alu 0xfffe
	s_sub_nc_u64 s[38:39], s[4:5], s[2:3]
	s_mov_b32 s2, 0
.LBB35_11:                              ;   in Loop: Header=BB35_9 Depth=1
	s_wait_alu 0xfffe
	s_and_not1_b32 vcc_lo, exec_lo, s2
	s_wait_alu 0xfffe
	s_cbranch_vccnz .LBB35_13
; %bb.12:                               ;   in Loop: Header=BB35_9 Depth=1
	v_readfirstlane_b32 s1, v4
	s_sub_co_i32 s2, 0, s16
	s_wait_alu 0xfffe
	s_mul_i32 s2, s2, s1
	s_wait_alu 0xfffe
	s_mul_hi_u32 s2, s1, s2
	s_wait_alu 0xfffe
	s_add_co_i32 s1, s1, s2
	s_wait_alu 0xfffe
	s_mul_hi_u32 s1, s0, s1
	s_wait_alu 0xfffe
	s_mul_i32 s2, s1, s16
	s_wait_alu 0xfffe
	s_sub_co_i32 s0, s0, s2
	s_add_co_i32 s2, s1, 1
	s_wait_alu 0xfffe
	s_sub_co_i32 s3, s0, s16
	s_cmp_ge_u32 s0, s16
	s_cselect_b32 s1, s2, s1
	s_wait_alu 0xfffe
	s_cselect_b32 s0, s3, s0
	s_add_co_i32 s2, s1, 1
	s_wait_alu 0xfffe
	s_cmp_ge_u32 s0, s16
	s_cselect_b32 s38, s2, s1
.LBB35_13:                              ;   in Loop: Header=BB35_9 Depth=1
	v_readfirstlane_b32 s9, v0
	s_cmp_lg_u32 s20, s38
	s_mov_b32 s0, -1
                                        ; implicit-def: $sgpr21
                                        ; implicit-def: $vgpr6
                                        ; implicit-def: $vgpr7
                                        ; implicit-def: $sgpr17
                                        ; implicit-def: $sgpr27
	s_cbranch_scc1 .LBB35_16
; %bb.14:                               ;   in Loop: Header=BB35_9 Depth=1
	s_wait_alu 0xfffe
	s_and_not1_b32 vcc_lo, exec_lo, s0
	s_wait_alu 0xfffe
	s_cbranch_vccz .LBB35_19
.LBB35_15:                              ;   in Loop: Header=BB35_9 Depth=1
	s_and_not1_b32 vcc_lo, exec_lo, s21
	s_wait_alu 0xfffe
	s_cbranch_vccnz .LBB35_20
	s_branch .LBB35_23
.LBB35_16:                              ;   in Loop: Header=BB35_9 Depth=1
	s_add_co_i32 s0, s34, s16
	s_mov_b32 s1, s8
	s_wait_alu 0xfffe
	s_lshl_b32 s0, s0, 3
	v_max_num_f32_e64 v6, s26, s26
	s_wait_alu 0xfffe
	s_add_co_i32 s0, s0, s15
	s_mov_b32 s39, s8
	s_wait_alu 0xfffe
	s_lshl_b64 s[0:1], s[0:1], 3
	s_mul_u64 s[40:41], s[38:39], s[22:23]
	s_wait_alu 0xfffe
	s_add_nc_u64 s[0:1], s[10:11], s[0:1]
	s_mov_b32 s27, s20
	s_load_b64 s[36:37], s[0:1], 0x0
	v_readfirstlane_b32 s0, v6
	s_wait_kmcnt 0x0
	v_max_num_f32_e64 v7, s36, s36
	s_delay_alu instid0(VALU_DEP_1) | instskip(SKIP_2) | instid1(SALU_CYCLE_2)
	v_readfirstlane_b32 s1, v7
	s_max_num_f32 s9, s0, s1
	s_wait_alu 0xfffe
	s_sub_f32 s33, s26, s9
	s_sub_f32 s35, s36, s9
	s_wait_alu 0xfffe
	s_delay_alu instid0(SALU_CYCLE_1)
	s_cmp_nlt_f32 s33, 0xc2ce8ed0
	s_cselect_b32 s0, -1, 0
	s_cmp_ngt_f32 s33, 0x42b17218
	s_cselect_b32 s1, -1, 0
	s_cmp_ge_f32 s33, 0xc1a00000
	s_cselect_b32 s2, -1, 0
	s_cmp_nlt_f32 s35, 0xc2ce8ed0
	s_cselect_b32 s3, -1, 0
	s_cmp_ngt_f32 s35, 0x42b17218
	s_cselect_b32 s4, -1, 0
	s_cmp_ge_f32 s35, 0xc1a00000
	s_cselect_b32 s5, -1, 0
	s_add_co_i32 s17, s41, s38
	s_wait_alu 0xfffe
	s_lshr_b32 s17, s17, s13
	s_wait_alu 0xfffe
	s_mul_i32 s21, s17, s14
	s_delay_alu instid0(SALU_CYCLE_1)
	s_cmp_eq_u32 s21, s38
	s_cselect_b32 s21, -1, 0
	s_cmp_lt_u32 s17, s12
	s_cselect_b32 s17, -1, 0
	s_wait_alu 0xfffe
	s_or_b32 s17, s17, s21
	s_mov_b32 s21, -1
	s_wait_alu 0xfffe
	s_and_b32 vcc_lo, exec_lo, s17
	s_mov_b32 s17, s34
	s_wait_alu 0xfffe
	s_cbranch_vccnz .LBB35_18
; %bb.17:                               ;   in Loop: Header=BB35_9 Depth=1
	s_add_co_i32 s17, s34, -1
	s_mov_b32 s21, 0
	s_mov_b32 s27, s38
.LBB35_18:                              ;   in Loop: Header=BB35_9 Depth=1
	v_lshl_add_u32 v6, s34, 11, v0
	s_mul_f32 s36, s35, 0x3fb8aa3b
	s_mul_f32 s38, s33, 0x3fb8aa3b
	s_wait_alu 0xfffe
	s_delay_alu instid0(SALU_CYCLE_1)
	s_xor_b32 s39, s36, 0x80000000
	v_ashrrev_i32_e32 v7, 31, v6
	s_rndne_f32 s40, s36
	s_fmamk_f32 s39, s35, 0x3fb8aa3b, s39
	s_xor_b32 s41, s38, 0x80000000
	s_rndne_f32 s42, s38
	v_lshlrev_b64_e32 v[6:7], 2, v[6:7]
	s_sub_f32 s36, s36, s40
	s_fmamk_f32 s35, s35, 0x32a5705f, s39
	s_fmamk_f32 s39, s33, 0x3fb8aa3b, s41
	s_sub_f32 s38, s38, s42
	s_delay_alu instid0(VALU_DEP_1)
	v_add_co_u32 v6, vcc_lo, s24, v6
	s_wait_alu 0xfffd
	v_add_co_ci_u32_e64 v7, null, s25, v7, vcc_lo
	s_wait_alu 0xfffe
	s_add_f32 s35, s36, s35
	s_fmamk_f32 s33, s33, 0x32a5705f, s39
	s_cvt_i32_f32 s36, s40
	global_load_b32 v6, v[6:7], off
	s_wait_alu 0xfffe
	v_s_exp_f32 s35, s35
	s_add_f32 s33, s38, s33
	s_wait_alu 0xfffe
	s_delay_alu instid0(SALU_CYCLE_2) | instskip(NEXT) | instid1(TRANS32_DEP_2)
	v_s_exp_f32 s33, s33
	v_ldexp_f32 v7, s35, s36
	s_cvt_i32_f32 s35, s42
	s_wait_alu 0xf1fe
	s_delay_alu instid0(TRANS32_DEP_1) | instid1(SALU_CYCLE_2)
	v_ldexp_f32 v8, s33, s35
	s_delay_alu instid0(VALU_DEP_2) | instskip(NEXT) | instid1(VALU_DEP_2)
	v_cndmask_b32_e64 v7, 0, v7, s3
	v_cndmask_b32_e64 v8, 0, v8, s0
	s_delay_alu instid0(VALU_DEP_2) | instskip(NEXT) | instid1(VALU_DEP_2)
	v_cndmask_b32_e64 v7, 0x7f800000, v7, s4
	v_cndmask_b32_e64 v8, 0x7f800000, v8, s1
	;; [unrolled: 3-line block ×3, first 2 shown]
	s_wait_loadcnt 0x0
	s_delay_alu instid0(VALU_DEP_2) | instskip(SKIP_1) | instid1(VALU_DEP_1)
	v_mul_f32_e32 v6, v6, v7
	v_mul_f32_e32 v7, s37, v7
	v_fmac_f32_e32 v7, v5, v8
	s_delay_alu instid0(VALU_DEP_3)
	v_fmac_f32_e32 v6, v3, v8
	s_cbranch_execnz .LBB35_15
.LBB35_19:                              ;   in Loop: Header=BB35_9 Depth=1
	s_wait_loadcnt 0x0
	v_dual_mov_b32 v7, v5 :: v_dual_mov_b32 v6, v3
	s_add_co_i32 s17, s34, -1
	s_mov_b32 s27, s20
	s_mov_b32 s9, s26
	s_cbranch_execz .LBB35_23
.LBB35_20:                              ;   in Loop: Header=BB35_9 Depth=1
	v_mov_b32_e32 v5, v7
	s_wait_loadcnt 0x0
	v_mov_b32_e32 v3, v6
	s_wait_alu 0xfffe
	s_mov_b32 s20, s27
	s_mov_b32 s34, s17
	;; [unrolled: 1-line block ×3, first 2 shown]
	s_branch .LBB35_9
.LBB35_21:
                                        ; implicit-def: $sgpr20_sgpr21
	s_branch .LBB35_2
.LBB35_22:
                                        ; implicit-def: $sgpr10_sgpr11
	s_load_b96 s[12:14], s[0:1], 0x44
	s_branch .LBB35_5
.LBB35_23:
	v_div_scale_f32 v0, null, v7, v7, v6
	s_wait_loadcnt 0x0
	s_delay_alu instid0(VALU_DEP_1) | instskip(NEXT) | instid1(TRANS32_DEP_1)
	v_rcp_f32_e32 v3, v0
	v_fma_f32 v4, -v0, v3, 1.0
	s_delay_alu instid0(VALU_DEP_1) | instskip(SKIP_1) | instid1(VALU_DEP_1)
	v_fmac_f32_e32 v3, v4, v3
	v_div_scale_f32 v4, vcc_lo, v6, v7, v6
	v_mul_f32_e32 v5, v4, v3
	s_delay_alu instid0(VALU_DEP_1) | instskip(NEXT) | instid1(VALU_DEP_1)
	v_fma_f32 v8, -v0, v5, v4
	v_fmac_f32_e32 v5, v8, v3
	s_delay_alu instid0(VALU_DEP_1) | instskip(SKIP_1) | instid1(VALU_DEP_1)
	v_fma_f32 v0, -v0, v5, v4
	s_wait_alu 0xfffd
	v_div_fmas_f32 v0, v0, v3, v5
	s_delay_alu instid0(VALU_DEP_1)
	v_div_fixup_f32 v0, v0, v7, v6
	global_store_b32 v[1:2], v0, off
.LBB35_24:
	s_endpgm
	.section	.rodata,"a",@progbits
	.p2align	6, 0x0
	.amdhsa_kernel _ZL33flash_attn_stream_k_fixup_generalILi256ELi4ELi2EEvPfPK15HIP_vector_typeIfLj2EEiiiiS1_IjLj3EES5_S5_S5_
		.amdhsa_group_segment_fixed_size 0
		.amdhsa_private_segment_fixed_size 0
		.amdhsa_kernarg_size 336
		.amdhsa_user_sgpr_count 2
		.amdhsa_user_sgpr_dispatch_ptr 0
		.amdhsa_user_sgpr_queue_ptr 0
		.amdhsa_user_sgpr_kernarg_segment_ptr 1
		.amdhsa_user_sgpr_dispatch_id 0
		.amdhsa_user_sgpr_private_segment_size 0
		.amdhsa_wavefront_size32 1
		.amdhsa_uses_dynamic_stack 0
		.amdhsa_enable_private_segment 0
		.amdhsa_system_sgpr_workgroup_id_x 1
		.amdhsa_system_sgpr_workgroup_id_y 1
		.amdhsa_system_sgpr_workgroup_id_z 1
		.amdhsa_system_sgpr_workgroup_info 0
		.amdhsa_system_vgpr_workitem_id 0
		.amdhsa_next_free_vgpr 9
		.amdhsa_next_free_sgpr 44
		.amdhsa_reserve_vcc 1
		.amdhsa_float_round_mode_32 0
		.amdhsa_float_round_mode_16_64 0
		.amdhsa_float_denorm_mode_32 3
		.amdhsa_float_denorm_mode_16_64 3
		.amdhsa_fp16_overflow 0
		.amdhsa_workgroup_processor_mode 1
		.amdhsa_memory_ordered 1
		.amdhsa_forward_progress 1
		.amdhsa_inst_pref_size 28
		.amdhsa_round_robin_scheduling 0
		.amdhsa_exception_fp_ieee_invalid_op 0
		.amdhsa_exception_fp_denorm_src 0
		.amdhsa_exception_fp_ieee_div_zero 0
		.amdhsa_exception_fp_ieee_overflow 0
		.amdhsa_exception_fp_ieee_underflow 0
		.amdhsa_exception_fp_ieee_inexact 0
		.amdhsa_exception_int_div_zero 0
	.end_amdhsa_kernel
	.section	.text._ZL33flash_attn_stream_k_fixup_generalILi256ELi4ELi2EEvPfPK15HIP_vector_typeIfLj2EEiiiiS1_IjLj3EES5_S5_S5_,"axG",@progbits,_ZL33flash_attn_stream_k_fixup_generalILi256ELi4ELi2EEvPfPK15HIP_vector_typeIfLj2EEiiiiS1_IjLj3EES5_S5_S5_,comdat
.Lfunc_end35:
	.size	_ZL33flash_attn_stream_k_fixup_generalILi256ELi4ELi2EEvPfPK15HIP_vector_typeIfLj2EEiiiiS1_IjLj3EES5_S5_S5_, .Lfunc_end35-_ZL33flash_attn_stream_k_fixup_generalILi256ELi4ELi2EEvPfPK15HIP_vector_typeIfLj2EEiiiiS1_IjLj3EES5_S5_S5_
                                        ; -- End function
	.set _ZL33flash_attn_stream_k_fixup_generalILi256ELi4ELi2EEvPfPK15HIP_vector_typeIfLj2EEiiiiS1_IjLj3EES5_S5_S5_.num_vgpr, 9
	.set _ZL33flash_attn_stream_k_fixup_generalILi256ELi4ELi2EEvPfPK15HIP_vector_typeIfLj2EEiiiiS1_IjLj3EES5_S5_S5_.num_agpr, 0
	.set _ZL33flash_attn_stream_k_fixup_generalILi256ELi4ELi2EEvPfPK15HIP_vector_typeIfLj2EEiiiiS1_IjLj3EES5_S5_S5_.numbered_sgpr, 44
	.set _ZL33flash_attn_stream_k_fixup_generalILi256ELi4ELi2EEvPfPK15HIP_vector_typeIfLj2EEiiiiS1_IjLj3EES5_S5_S5_.num_named_barrier, 0
	.set _ZL33flash_attn_stream_k_fixup_generalILi256ELi4ELi2EEvPfPK15HIP_vector_typeIfLj2EEiiiiS1_IjLj3EES5_S5_S5_.private_seg_size, 0
	.set _ZL33flash_attn_stream_k_fixup_generalILi256ELi4ELi2EEvPfPK15HIP_vector_typeIfLj2EEiiiiS1_IjLj3EES5_S5_S5_.uses_vcc, 1
	.set _ZL33flash_attn_stream_k_fixup_generalILi256ELi4ELi2EEvPfPK15HIP_vector_typeIfLj2EEiiiiS1_IjLj3EES5_S5_S5_.uses_flat_scratch, 0
	.set _ZL33flash_attn_stream_k_fixup_generalILi256ELi4ELi2EEvPfPK15HIP_vector_typeIfLj2EEiiiiS1_IjLj3EES5_S5_S5_.has_dyn_sized_stack, 0
	.set _ZL33flash_attn_stream_k_fixup_generalILi256ELi4ELi2EEvPfPK15HIP_vector_typeIfLj2EEiiiiS1_IjLj3EES5_S5_S5_.has_recursion, 0
	.set _ZL33flash_attn_stream_k_fixup_generalILi256ELi4ELi2EEvPfPK15HIP_vector_typeIfLj2EEiiiiS1_IjLj3EES5_S5_S5_.has_indirect_call, 0
	.section	.AMDGPU.csdata,"",@progbits
; Kernel info:
; codeLenInByte = 3548
; TotalNumSgprs: 46
; NumVgprs: 9
; ScratchSize: 0
; MemoryBound: 0
; FloatMode: 240
; IeeeMode: 1
; LDSByteSize: 0 bytes/workgroup (compile time only)
; SGPRBlocks: 0
; VGPRBlocks: 1
; NumSGPRsForWavesPerEU: 46
; NumVGPRsForWavesPerEU: 9
; Occupancy: 16
; WaveLimiterHint : 0
; COMPUTE_PGM_RSRC2:SCRATCH_EN: 0
; COMPUTE_PGM_RSRC2:USER_SGPR: 2
; COMPUTE_PGM_RSRC2:TRAP_HANDLER: 0
; COMPUTE_PGM_RSRC2:TGID_X_EN: 1
; COMPUTE_PGM_RSRC2:TGID_Y_EN: 1
; COMPUTE_PGM_RSRC2:TGID_Z_EN: 1
; COMPUTE_PGM_RSRC2:TIDIG_COMP_CNT: 0
	.section	.text._ZL15flash_attn_tileILi256ELi256ELi2ELi2ELb0EEvPKcS1_S1_S1_S1_PKiPfP15HIP_vector_typeIfLj2EEffffjfiS5_IjLj3EEiiiiiiiiiiiliiliiiiil,"axG",@progbits,_ZL15flash_attn_tileILi256ELi256ELi2ELi2ELb0EEvPKcS1_S1_S1_S1_PKiPfP15HIP_vector_typeIfLj2EEffffjfiS5_IjLj3EEiiiiiiiiiiiliiliiiiil,comdat
	.globl	_ZL15flash_attn_tileILi256ELi256ELi2ELi2ELb0EEvPKcS1_S1_S1_S1_PKiPfP15HIP_vector_typeIfLj2EEffffjfiS5_IjLj3EEiiiiiiiiiiiliiliiiiil ; -- Begin function _ZL15flash_attn_tileILi256ELi256ELi2ELi2ELb0EEvPKcS1_S1_S1_S1_PKiPfP15HIP_vector_typeIfLj2EEffffjfiS5_IjLj3EEiiiiiiiiiiiliiliiiiil
	.p2align	8
	.type	_ZL15flash_attn_tileILi256ELi256ELi2ELi2ELb0EEvPKcS1_S1_S1_S1_PKiPfP15HIP_vector_typeIfLj2EEffffjfiS5_IjLj3EEiiiiiiiiiiiliiliiiiil,@function
_ZL15flash_attn_tileILi256ELi256ELi2ELi2ELb0EEvPKcS1_S1_S1_S1_PKiPfP15HIP_vector_typeIfLj2EEffffjfiS5_IjLj3EEiiiiiiiiiiiliiliiiiil: ; @_ZL15flash_attn_tileILi256ELi256ELi2ELi2ELb0EEvPKcS1_S1_S1_S1_PKiPfP15HIP_vector_typeIfLj2EEffffjfiS5_IjLj3EEiiiiiiiiiiiliiliiiiil
; %bb.0:
	s_clause 0x1
	s_load_b128 s[20:23], s[0:1], 0x5c
	s_load_b64 s[30:31], s[0:1], 0x80
	s_lshr_b32 s5, ttmp7, 16
	s_load_b64 s[36:37], s[0:1], 0xb8
	s_mov_b64 s[34:35], 0
	s_wait_kmcnt 0x0
	s_lshr_b32 s2, s23, 31
	s_delay_alu instid0(SALU_CYCLE_1) | instskip(NEXT) | instid1(SALU_CYCLE_1)
	s_add_co_i32 s2, s23, s2
	s_ashr_i32 s2, s2, 1
	s_delay_alu instid0(SALU_CYCLE_1) | instskip(SKIP_1) | instid1(SALU_CYCLE_2)
	s_cvt_f32_u32 s3, s2
	s_sub_co_i32 s4, 0, s2
	v_rcp_iflag_f32_e32 v1, s3
	s_delay_alu instid0(TRANS32_DEP_1) | instskip(SKIP_2) | instid1(SALU_CYCLE_2)
	v_readfirstlane_b32 s3, v1
	s_mul_f32 s3, s3, 0x4f7ffffe
	s_wait_alu 0xfffe
	s_cvt_u32_f32 s3, s3
	s_wait_alu 0xfffe
	s_delay_alu instid0(SALU_CYCLE_2) | instskip(NEXT) | instid1(SALU_CYCLE_1)
	s_mul_i32 s4, s4, s3
	s_mul_hi_u32 s4, s3, s4
	s_delay_alu instid0(SALU_CYCLE_1)
	s_add_co_i32 s3, s3, s4
	s_wait_alu 0xfffe
	s_mul_hi_u32 s3, s5, s3
	s_wait_alu 0xfffe
	s_mul_i32 s4, s3, s2
	s_add_co_i32 s6, s3, 1
	s_sub_co_i32 s4, s5, s4
	s_delay_alu instid0(SALU_CYCLE_1)
	s_sub_co_i32 s7, s4, s2
	s_cmp_ge_u32 s4, s2
	s_cselect_b32 s3, s6, s3
	s_cselect_b32 s4, s7, s4
	s_wait_alu 0xfffe
	s_add_co_i32 s6, s3, 1
	s_cmp_ge_u32 s4, s2
	s_cselect_b32 s28, s6, s3
	s_abs_i32 s2, s31
	s_abs_i32 s7, s23
	s_wait_alu 0xfffe
	s_cvt_f32_u32 s3, s2
	s_sub_co_i32 s4, 0, s2
	s_lshl_b32 s5, s5, 1
	s_mul_i32 s6, s28, s23
	s_wait_alu 0xfffe
	v_rcp_iflag_f32_e32 v1, s3
	s_sub_co_i32 s33, s5, s6
	s_delay_alu instid0(TRANS32_DEP_1) | instskip(SKIP_2) | instid1(SALU_CYCLE_2)
	v_readfirstlane_b32 s3, v1
	s_mul_f32 s3, s3, 0x4f7ffffe
	s_wait_alu 0xfffe
	s_cvt_u32_f32 s3, s3
	s_wait_alu 0xfffe
	s_delay_alu instid0(SALU_CYCLE_2) | instskip(NEXT) | instid1(SALU_CYCLE_1)
	s_mul_i32 s4, s4, s3
	s_mul_hi_u32 s4, s3, s4
	s_delay_alu instid0(SALU_CYCLE_1)
	s_add_co_i32 s3, s3, s4
	s_xor_b32 s4, s23, s31
	s_wait_alu 0xfffe
	s_mul_hi_u32 s3, s7, s3
	s_ashr_i32 s24, s4, 31
	s_wait_alu 0xfffe
	s_mul_i32 s5, s3, s2
	s_delay_alu instid0(SALU_CYCLE_1)
	s_sub_co_i32 s4, s7, s5
	s_add_co_i32 s5, s3, 1
	s_sub_co_i32 s6, s4, s2
	s_cmp_ge_u32 s4, s2
	s_cselect_b32 s3, s5, s3
	s_cselect_b32 s4, s6, s4
	s_wait_alu 0xfffe
	s_add_co_i32 s5, s3, 1
	s_cmp_ge_u32 s4, s2
	s_cselect_b32 s2, s5, s3
	s_load_b512 s[4:19], s[0:1], 0x0
	s_xor_b32 s2, s2, s24
	s_mov_b32 s3, 0
	s_wait_alu 0xfffe
	s_sub_co_i32 s40, s2, s24
	s_delay_alu instid0(SALU_CYCLE_1) | instskip(NEXT) | instid1(SALU_CYCLE_1)
	s_abs_i32 s31, s40
	s_cvt_f32_u32 s2, s31
	s_wait_alu 0xfffe
	s_delay_alu instid0(SALU_CYCLE_2) | instskip(SKIP_2) | instid1(TRANS32_DEP_1)
	v_rcp_iflag_f32_e32 v1, s2
	s_wait_kmcnt 0x0
	s_cmp_eq_u64 s[10:11], 0
	v_readfirstlane_b32 s2, v1
	s_cbranch_scc1 .LBB36_2
; %bb.1:
	s_abs_i32 s26, s36
	s_delay_alu instid0(SALU_CYCLE_1) | instskip(NEXT) | instid1(SALU_CYCLE_3)
	s_cvt_f32_u32 s24, s26
	v_rcp_iflag_f32_e32 v1, s24
	s_delay_alu instid0(TRANS32_DEP_1) | instskip(SKIP_2) | instid1(SALU_CYCLE_2)
	v_readfirstlane_b32 s24, v1
	s_mul_f32 s24, s24, 0x4f7ffffe
	s_wait_alu 0xfffe
	s_cvt_u32_f32 s27, s24
	s_sub_co_i32 s24, 0, s26
	s_wait_alu 0xfffe
	s_delay_alu instid0(SALU_CYCLE_1) | instskip(SKIP_4) | instid1(SALU_CYCLE_1)
	s_mul_i32 s24, s24, s27
	s_wait_alu 0xfffe
	s_mul_hi_u32 s29, s27, s24
	s_load_b64 s[24:25], s[0:1], 0xc8
	s_add_co_i32 s27, s27, s29
	s_mul_hi_u32 s27, s28, s27
	s_delay_alu instid0(SALU_CYCLE_1) | instskip(NEXT) | instid1(SALU_CYCLE_1)
	s_mul_i32 s27, s27, s26
	s_sub_co_i32 s27, s28, s27
	s_delay_alu instid0(SALU_CYCLE_1) | instskip(SKIP_2) | instid1(SALU_CYCLE_1)
	s_sub_co_i32 s29, s27, s26
	s_cmp_ge_u32 s27, s26
	s_cselect_b32 s27, s29, s27
	s_sub_co_i32 s29, s27, s26
	s_cmp_ge_u32 s27, s26
	s_cselect_b32 s26, s29, s27
	s_delay_alu instid0(SALU_CYCLE_1)
	s_ashr_i32 s27, s26, 31
	s_wait_kmcnt 0x0
	s_mul_u64 s[24:25], s[24:25], s[26:27]
	s_wait_alu 0xfffe
	s_add_nc_u64 s[34:35], s[10:11], s[24:25]
.LBB36_2:
	v_lshrrev_b32_e32 v1, 10, v0
	s_load_b96 s[24:26], s[0:1], 0x70
	v_bfe_u32 v68, v0, 10, 1
	v_and_b32_e32 v33, 0x3ff, v0
	s_delay_alu instid0(VALU_DEP_3) | instskip(NEXT) | instid1(VALU_DEP_2)
	v_bfe_u32 v1, v1, 1, 9
	v_lshlrev_b32_e32 v6, 4, v33
	v_lshlrev_b32_e32 v70, 3, v33
	s_delay_alu instid0(VALU_DEP_3) | instskip(NEXT) | instid1(VALU_DEP_1)
	v_lshl_add_u32 v32, ttmp9, 1, v1
	v_mul_hi_u32 v1, s20, v32
	s_wait_kmcnt 0x0
	s_mul_i32 s10, s33, s25
	s_mov_b32 s20, s25
	s_delay_alu instid0(VALU_DEP_1) | instskip(NEXT) | instid1(VALU_DEP_1)
	v_add_nc_u32_e32 v1, v32, v1
	v_lshrrev_b32_e32 v1, s21, v1
	s_ashr_i32 s21, s25, 31
	s_ashr_i32 s25, s24, 31
	s_wait_alu 0xfffe
	s_lshr_b32 s11, s21, 2
	s_lshr_b64 s[38:39], s[24:25], 2
	v_mul_lo_u32 v1, v1, s22
	v_mul_lo_u32 v5, s11, v68
	s_ashr_i32 s11, s10, 31
	s_delay_alu instid0(VALU_DEP_2) | instskip(NEXT) | instid1(VALU_DEP_1)
	v_sub_nc_u32_e32 v1, v32, v1
	v_mad_co_u64_u32 v[2:3], null, s38, v1, 0
	s_lshr_b64 s[38:39], s[20:21], 2
	s_lshr_b32 s20, s25, 2
	s_wait_alu 0xfffe
	v_mad_co_u64_u32 v[3:4], null, s20, v1, v[3:4]
	v_mul_lo_u32 v4, s38, v68
	s_mul_i32 s20, s28, s26
	s_wait_alu 0xfffe
	s_ashr_i32 s21, s20, 31
	s_cmp_eq_u64 s[14:15], 0
	s_wait_alu 0xfffe
	s_add_nc_u64 s[4:5], s[4:5], s[20:21]
	v_lshlrev_b64_e32 v[2:3], 2, v[2:3]
	s_add_nc_u64 s[4:5], s[4:5], s[10:11]
	v_lshlrev_b64_e32 v[4:5], 2, v[4:5]
	s_delay_alu instid0(VALU_DEP_1) | instskip(NEXT) | instid1(VALU_DEP_1)
	v_add_co_u32 v4, vcc_lo, s4, v4
	v_add_co_ci_u32_e64 v5, null, s5, v5, vcc_lo
	s_load_b32 s4, s[0:1], 0x40
	v_add_co_u32 v2, vcc_lo, v4, v2
	s_wait_alu 0xfffd
	v_add_co_ci_u32_e64 v3, null, v5, v3, vcc_lo
	s_delay_alu instid0(VALU_DEP_2) | instskip(SKIP_1) | instid1(VALU_DEP_2)
	v_add_co_u32 v7, vcc_lo, v2, v6
	s_wait_alu 0xfffd
	v_add_co_ci_u32_e64 v8, null, 0, v3, vcc_lo
	v_bfe_u32 v2, v0, 10, 10
	s_clause 0x1
	global_load_b128 v[3:6], v[7:8], off
	global_load_b128 v[7:10], v[7:8], off offset:512
	v_lshlrev_b32_e32 v0, 9, v2
	s_delay_alu instid0(VALU_DEP_1)
	v_add_nc_u32_e32 v71, 0x4200, v0
	s_wait_loadcnt 0x1
	s_wait_kmcnt 0x0
	v_fma_mixlo_f16 v3, s4, v3, 0
	v_fma_mixlo_f16 v4, s4, v4, 0
	s_wait_loadcnt 0x0
	v_fma_mixlo_f16 v7, s4, v7, 0
	v_fma_mixlo_f16 v8, s4, v8, 0
	;; [unrolled: 1-line block ×6, first 2 shown]
	v_lshlrev_b32_e32 v4, 16, v4
	v_and_b32_e32 v3, 0xffff, v3
	v_lshlrev_b32_e32 v8, 16, v8
	v_and_b32_e32 v7, 0xffff, v7
	;; [unrolled: 2-line block ×4, first 2 shown]
	v_or_b32_e32 v3, v4, v3
	v_or_b32_e32 v7, v8, v7
	v_add_nc_u32_e32 v8, v71, v70
	v_or3_b32 v4, v6, v5, 0
	v_or3_b32 v6, v10, v9, 0
	;; [unrolled: 1-line block ×4, first 2 shown]
	ds_store_2addr_b64 v8, v[3:4], v[5:6] offset1:32
	s_wait_dscnt 0x0
	s_barrier_signal -1
	s_barrier_wait -1
	global_inv scope:SCOPE_SE
	s_cbranch_scc1 .LBB36_4
; %bb.3:
	s_load_b32 s4, s[0:1], 0xd0
	s_mov_b32 s5, 0
	s_wait_kmcnt 0x0
	s_mul_i32 s4, s4, s28
	s_wait_alu 0xfffe
	s_add_co_i32 s4, s4, ttmp9
	s_wait_alu 0xfffe
	s_lshl_b64 s[4:5], s[4:5], 2
	s_wait_alu 0xfffe
	s_add_nc_u64 s[4:5], s[14:15], s[4:5]
	s_load_b32 s30, s[4:5], 0x0
.LBB36_4:
	s_and_b32 s4, ttmp7, 0xffff
	v_lshlrev_b32_e32 v69, 2, v33
	v_mbcnt_lo_u32_b32 v72, -1, 0
	s_wait_alu 0xfffe
	s_lshl_b32 s10, s4, 5
	s_wait_kmcnt 0x0
	s_wait_alu 0xfffe
	s_cmp_lt_i32 s10, s30
	s_cbranch_scc1 .LBB36_7
; %bb.5:
	v_mbcnt_lo_u32_b32 v3, -1, 0
	v_mov_b32_e32 v79, 32
	s_delay_alu instid0(VALU_DEP_2)
	v_xor_b32_e32 v84, 16, v3
	v_xor_b32_e32 v83, 8, v3
	;; [unrolled: 1-line block ×5, first 2 shown]
	s_mov_b32 s29, 0
	s_cbranch_execz .LBB36_8
; %bb.6:
	v_dual_mov_b32 v89, 0 :: v_dual_mov_b32 v110, 0
	v_dual_mov_b32 v34, 0xfeffffff :: v_dual_mov_b32 v93, 0
	v_mov_b32_e32 v91, 0
	v_mov_b32_e32 v85, 0
	s_branch .LBB36_11
.LBB36_7:
                                        ; implicit-def: $vgpr3
                                        ; implicit-def: $vgpr79
                                        ; implicit-def: $vgpr84
                                        ; implicit-def: $vgpr83
                                        ; implicit-def: $vgpr82
                                        ; implicit-def: $vgpr81
                                        ; implicit-def: $vgpr80
	s_mov_b32 s29, 0
.LBB36_8:
	s_mul_f32 s2, s2, 0x4f7ffffe
	s_clause 0x1
	s_load_b128 s[24:27], s[0:1], 0x98
	s_load_b64 s[38:39], s[0:1], 0x8c
	s_sub_co_i32 s11, 0, s31
	s_mov_b32 s15, s3
	s_cvt_u32_f32 s5, s2
	s_abs_i32 s2, s33
	s_ashr_i32 s21, s40, 31
	s_load_b64 s[40:41], s[0:1], 0xa8
	s_mul_i32 s11, s11, s5
	s_ashr_i32 s20, s33, 31
	s_wait_alu 0xfffe
	s_mul_hi_u32 s11, s5, s11
	v_dual_mov_b32 v110, 0 :: v_dual_lshlrev_b32 v73, 2, v69
	s_wait_alu 0xfffe
	s_add_co_i32 s14, s5, s11
	s_ashr_i32 s5, s37, 1
	s_mul_u64 s[14:15], s[2:3], s[14:15]
	s_xor_b32 s11, s20, s21
	s_mul_i32 s3, s15, s31
	s_add_co_i32 s21, s15, 1
	s_wait_alu 0xfffe
	s_sub_co_i32 s2, s2, s3
	s_wait_kmcnt 0x0
	s_ashr_i32 s14, s26, 2
	s_ashr_i32 s20, s38, 2
	s_wait_alu 0xfffe
	s_sub_co_i32 s3, s2, s31
	s_cmp_ge_u32 s2, s31
	v_mul_lo_u32 v3, s20, v2
	s_cselect_b32 s15, s21, s15
	s_wait_alu 0xfffe
	s_cselect_b32 s2, s3, s2
	s_add_co_i32 s3, s15, 1
	s_wait_alu 0xfffe
	s_cmp_ge_u32 s2, s31
	v_mul_lo_u32 v11, s14, v2
	s_cselect_b32 s15, s3, s15
	s_mul_u64 s[2:3], s[24:25], s[28:29]
	s_mul_u64 s[24:25], s[40:41], s[28:29]
	s_wait_alu 0xfffe
	s_add_nc_u64 s[2:3], s[6:7], s[2:3]
	s_xor_b32 s6, s15, s11
	s_add_nc_u64 s[8:9], s[8:9], s[24:25]
	s_sub_co_i32 s7, s6, s11
	s_and_b32 s21, s38, -4
	s_mul_i32 s6, s7, s39
	s_mul_i32 s24, s7, s27
	s_ashr_i32 s7, s6, 31
	s_wait_alu 0xfffe
	v_add_nc_u32_e32 v5, s21, v3
	s_add_nc_u64 s[6:7], s[2:3], s[6:7]
	s_and_b32 s2, s26, -4
	v_mad_co_u64_u32 v[35:36], null, v1, s5, v[33:34]
	s_wait_alu 0xfffe
	v_dual_mov_b32 v34, 0xfeffffff :: v_dual_add_nc_u32 v19, s2, v11
	v_add_nc_u32_e32 v7, s21, v5
	v_mad_u32_u24 v74, 0x210, v2, v73
	v_ashrrev_i32_e32 v4, 31, v3
	s_delay_alu instid0(VALU_DEP_4)
	v_add_nc_u32_e32 v23, s2, v19
	v_ashrrev_i32_e32 v6, 31, v5
	v_add_nc_u32_e32 v9, s21, v7
	v_ashrrev_i32_e32 v8, 31, v7
	v_lshl_add_u32 v92, v2, 6, 0x4a00
	v_add_nc_u32_e32 v25, s2, v23
	v_lshl_add_u32 v31, v2, 9, v73
	v_add_nc_u32_e32 v13, s21, v9
	v_ashrrev_i32_e32 v10, 31, v9
	v_ashrrev_i32_e32 v12, 31, v11
	v_add_nc_u32_e32 v1, s2, v25
	v_ashrrev_i32_e32 v20, 31, v19
	v_add_nc_u32_e32 v15, s21, v13
	v_ashrrev_i32_e32 v14, 31, v13
	v_ashrrev_i32_e32 v24, 31, v23
	v_add_nc_u32_e32 v27, s2, v1
	v_ashrrev_i32_e32 v26, 31, v25
	;; [unrolled: 5-line block ×3, first 2 shown]
	v_add_nc_u32_e32 v21, s21, v17
	v_ashrrev_i32_e32 v18, 31, v17
	v_lshlrev_b64_e32 v[36:37], 2, v[3:4]
	v_add_nc_u32_e32 v66, s2, v29
	v_ashrrev_i32_e32 v30, 31, v29
	v_ashrrev_i32_e32 v22, 31, v21
	v_lshlrev_b64_e32 v[38:39], 2, v[5:6]
	v_lshlrev_b64_e32 v[40:41], 2, v[7:8]
	v_ashrrev_i32_e32 v67, 31, v66
	v_lshlrev_b64_e32 v[42:43], 2, v[9:10]
	v_lshlrev_b64_e32 v[44:45], 2, v[13:14]
	;; [unrolled: 1-line block ×13, first 2 shown]
	v_add_nc_u32_e32 v75, 0x840, v74
	v_dual_mov_b32 v85, 0 :: v_dual_add_nc_u32 v76, 0x1080, v74
	v_add_nc_u32_e32 v77, 0x18c0, v74
	v_dual_mov_b32 v79, 32 :: v_dual_add_nc_u32 v78, 0x2100, v74
	v_dual_mov_b32 v91, 0 :: v_dual_add_nc_u32 v86, 0x2940, v74
	v_add_nc_u32_e32 v87, 0x3180, v74
	v_dual_mov_b32 v93, 0 :: v_dual_add_nc_u32 v88, 0x39c0, v74
	v_mul_u32_u24_e32 v90, 0x210, v33
	v_lshl_add_u32 v94, v33, 1, v92
	v_add_nc_u32_e32 v95, v0, v73
	v_dual_mov_b32 v89, 0 :: v_dual_add_nc_u32 v96, 0x800, v31
	v_add_nc_u32_e32 v97, 0x1000, v31
	v_add_nc_u32_e32 v98, 0x1800, v31
	;; [unrolled: 1-line block ×6, first 2 shown]
	v_xor_b32_e32 v84, 16, v72
	v_xor_b32_e32 v83, 8, v72
	v_xor_b32_e32 v82, 4, v72
	v_xor_b32_e32 v81, 2, v72
	v_xor_b32_e32 v80, 1, v72
	v_add_nc_u32_e32 v103, 0x800, v70
	v_add_nc_u32_e32 v104, 0x1000, v70
	;; [unrolled: 1-line block ×7, first 2 shown]
	s_ashr_i32 s25, s24, 31
	s_ashr_i32 s21, s20, 31
	s_wait_alu 0xfffe
	s_add_nc_u64 s[8:9], s[8:9], s[24:25]
	s_ashr_i32 s15, s14, 31
	s_add_nc_u64 s[24:25], s[0:1], 0xd0
.LBB36_9:                               ; =>This Inner Loop Header: Depth=1
	s_ashr_i32 s11, s10, 31
	v_mov_b32_e32 v115, 0
	s_wait_alu 0xfffe
	s_mul_u64 s[2:3], s[10:11], s[20:21]
	v_dual_mov_b32 v116, v34 :: v_dual_add_nc_u32 v111, s10, v35
	s_wait_alu 0xfffe
	s_lshl_b64 s[2:3], s[2:3], 2
	s_wait_alu 0xfffe
	s_add_nc_u64 s[2:3], s[6:7], s[2:3]
	v_ashrrev_i32_e32 v112, 31, v111
	s_wait_alu 0xfffe
	v_add_co_u32 v0, vcc_lo, s2, v36
	s_wait_alu 0xfffd
	v_add_co_ci_u32_e64 v1, null, s3, v37, vcc_lo
	v_add_co_u32 v2, vcc_lo, s2, v38
	s_wait_alu 0xfffd
	v_add_co_ci_u32_e64 v3, null, s3, v39, vcc_lo
	;; [unrolled: 3-line block ×16, first 2 shown]
	s_clause 0x7
	global_load_b128 v[0:3], v[0:1], off
	global_load_b128 v[4:7], v[4:5], off
	;; [unrolled: 1-line block ×8, first 2 shown]
	v_lshlrev_b64_e32 v[111:112], 1, v[111:112]
	s_mul_u64 s[2:3], s[10:11], s[14:15]
	s_wait_loadcnt 0x7
	ds_store_b128 v74, v[0:3]
	s_wait_loadcnt 0x6
	ds_store_b128 v75, v[4:7]
	;; [unrolled: 2-line block ×8, first 2 shown]
	s_wait_dscnt 0x0
	s_barrier_signal -1
	s_barrier_wait -1
	global_inv scope:SCOPE_SE
	ds_load_b128 v[0:3], v90
	ds_load_b128 v[4:7], v71
	s_wait_dscnt 0x0
	;;#ASMSTART
	v_dot2_f32_f16 v115, v0, v4, v115
	;;#ASMEND
	;;#ASMSTART
	v_dot2_f32_f16 v115, v1, v5, v115
	;;#ASMEND
	;;#ASMSTART
	v_dot2_f32_f16 v115, v2, v6, v115
	;;#ASMEND
	;;#ASMSTART
	v_dot2_f32_f16 v115, v3, v7, v115
	;;#ASMEND
	ds_load_b128 v[0:3], v90 offset:16
	ds_load_b128 v[4:7], v71 offset:16
	s_wait_dscnt 0x0
	;;#ASMSTART
	v_dot2_f32_f16 v115, v0, v4, v115
	;;#ASMEND
	;;#ASMSTART
	v_dot2_f32_f16 v115, v1, v5, v115
	;;#ASMEND
	;;#ASMSTART
	v_dot2_f32_f16 v115, v2, v6, v115
	;;#ASMEND
	;;#ASMSTART
	v_dot2_f32_f16 v115, v3, v7, v115
	;;#ASMEND
	ds_load_b128 v[0:3], v90 offset:32
	ds_load_b128 v[4:7], v71 offset:32
	;; [unrolled: 15-line block ×31, first 2 shown]
	v_add_co_u32 v111, vcc_lo, s34, v111
	s_wait_alu 0xfffd
	v_add_co_ci_u32_e64 v112, null, s35, v112, vcc_lo
	s_wait_dscnt 0x0
	;;#ASMSTART
	v_dot2_f32_f16 v115, v0, v4, v115
	;;#ASMEND
	;;#ASMSTART
	v_dot2_f32_f16 v115, v1, v5, v115
	;;#ASMEND
	;; [unrolled: 3-line block ×4, first 2 shown]
	global_load_u16 v31, v[111:112], off
	v_cmp_gt_i32_e32 vcc_lo, 32, v84
	v_mov_b32_e32 v0, v110
	s_wait_alu 0xfffe
	s_lshl_b64 s[2:3], s[2:3], 2
	s_wait_loadcnt 0x0
	s_wait_alu 0xfffe
	s_add_nc_u64 s[2:3], s[8:9], s[2:3]
	s_wait_alu 0xfffd
	v_cndmask_b32_e32 v1, v72, v84, vcc_lo
	v_cmp_gt_i32_e32 vcc_lo, 32, v83
	s_barrier_signal -1
	s_barrier_wait -1
	global_inv scope:SCOPE_SE
	v_lshlrev_b32_e32 v34, 2, v1
	s_wait_alu 0xfffd
	v_cndmask_b32_e32 v2, v72, v83, vcc_lo
	v_cmp_gt_i32_e32 vcc_lo, 32, v82
	s_delay_alu instid0(VALU_DEP_2) | instskip(SKIP_4) | instid1(VALU_DEP_2)
	v_lshlrev_b32_e32 v110, 2, v2
	s_wait_alu 0xfffd
	v_cndmask_b32_e32 v3, v72, v82, vcc_lo
	v_cmp_gt_i32_e32 vcc_lo, 32, v81
	s_wait_alu 0xfffd
	v_dual_cndmask_b32 v4, v72, v81 :: v_dual_lshlrev_b32 v117, 2, v3
	v_cmp_gt_i32_e32 vcc_lo, 32, v80
	s_delay_alu instid0(VALU_DEP_2)
	v_lshlrev_b32_e32 v118, 2, v4
	s_wait_alu 0xfffd
	v_cndmask_b32_e32 v5, v72, v80, vcc_lo
	s_wait_alu 0xfffe
	v_add_co_u32 v1, vcc_lo, s2, v52
	s_wait_alu 0xfffd
	v_add_co_ci_u32_e64 v2, null, s3, v53, vcc_lo
	v_add_co_u32 v3, vcc_lo, s2, v54
	s_wait_alu 0xfffd
	v_add_co_ci_u32_e64 v4, null, s3, v55, vcc_lo
	;; [unrolled: 3-line block ×8, first 2 shown]
	v_add_co_u32 v1, vcc_lo, v1, v73
	v_lshlrev_b32_e32 v119, 2, v5
	s_wait_alu 0xfffd
	v_add_co_ci_u32_e64 v2, null, 0, v2, vcc_lo
	v_add_co_u32 v5, vcc_lo, v3, v73
	s_wait_alu 0xfffd
	v_add_co_ci_u32_e64 v6, null, 0, v4, vcc_lo
	v_add_co_u32 v9, vcc_lo, v7, v73
	;; [unrolled: 3-line block ×7, first 2 shown]
	s_wait_alu 0xfffd
	v_add_co_ci_u32_e64 v30, null, 0, v28, vcc_lo
	s_clause 0x7
	global_load_b128 v[1:4], v[1:2], off
	global_load_b128 v[5:8], v[5:6], off
	;; [unrolled: 1-line block ×8, first 2 shown]
	v_max_num_f32_e32 v29, v116, v116
	v_cvt_f32_f16_e32 v30, v31
	s_delay_alu instid0(VALU_DEP_1) | instskip(NEXT) | instid1(VALU_DEP_1)
	v_add_f32_e32 v30, v115, v30
	v_add_f32_e32 v31, 0x40051340, v30
	s_delay_alu instid0(VALU_DEP_1) | instskip(SKIP_3) | instid1(VALU_DEP_1)
	v_max_num_f32_e32 v29, v29, v31
	ds_bpermute_b32 v31, v34, v29
	s_wait_dscnt 0x0
	v_max_num_f32_e32 v31, v31, v31
	v_max_num_f32_e32 v29, v29, v31
	ds_bpermute_b32 v31, v110, v29
	s_wait_dscnt 0x0
	v_max_num_f32_e32 v31, v31, v31
	s_delay_alu instid0(VALU_DEP_1) | instskip(SKIP_3) | instid1(VALU_DEP_1)
	v_max_num_f32_e32 v29, v29, v31
	ds_bpermute_b32 v31, v117, v29
	s_wait_dscnt 0x0
	v_max_num_f32_e32 v31, v31, v31
	v_max_num_f32_e32 v29, v29, v31
	ds_bpermute_b32 v31, v118, v29
	s_wait_dscnt 0x0
	v_max_num_f32_e32 v31, v31, v31
	s_delay_alu instid0(VALU_DEP_1) | instskip(SKIP_3) | instid1(VALU_DEP_1)
	v_max_num_f32_e32 v29, v29, v31
	ds_bpermute_b32 v31, v119, v29
	s_wait_dscnt 0x0
	v_max_num_f32_e32 v31, v31, v31
	v_max_num_f32_e32 v34, v29, v31
	s_delay_alu instid0(VALU_DEP_1) | instskip(NEXT) | instid1(VALU_DEP_1)
	v_sub_f32_e32 v29, v30, v34
	v_dual_mul_f32 v31, 0x3fb8aa3b, v29 :: v_dual_sub_f32 v30, v116, v34
	v_cmp_ngt_f32_e32 vcc_lo, 0xc2ce8ed0, v29
	s_delay_alu instid0(VALU_DEP_2) | instskip(NEXT) | instid1(VALU_DEP_3)
	v_fma_f32 v115, 0x3fb8aa3b, v29, -v31
	v_mul_f32_e32 v110, 0x3fb8aa3b, v30
	v_rndne_f32_e32 v118, v31
	v_cmp_ngt_f32_e64 s2, 0xc2ce8ed0, v30
	s_delay_alu instid0(VALU_DEP_4) | instskip(NEXT) | instid1(VALU_DEP_4)
	v_fmac_f32_e32 v115, 0x32a5705f, v29
	v_fma_f32 v116, 0x3fb8aa3b, v30, -v110
	v_rndne_f32_e32 v117, v110
	v_sub_f32_e32 v31, v31, v118
	v_cvt_i32_f32_e32 v118, v118
	s_delay_alu instid0(VALU_DEP_4) | instskip(NEXT) | instid1(VALU_DEP_3)
	v_fmac_f32_e32 v116, 0x32a5705f, v30
	v_dual_sub_f32 v110, v110, v117 :: v_dual_add_f32 v31, v31, v115
	v_cvt_i32_f32_e32 v117, v117
	s_delay_alu instid0(VALU_DEP_2) | instskip(NEXT) | instid1(VALU_DEP_3)
	v_add_f32_e32 v110, v110, v116
	v_exp_f32_e32 v31, v31
	s_delay_alu instid0(VALU_DEP_1) | instskip(NEXT) | instid1(TRANS32_DEP_2)
	v_exp_f32_e32 v110, v110
	v_ldexp_f32 v31, v31, v118
	s_delay_alu instid0(TRANS32_DEP_1) | instskip(SKIP_1) | instid1(VALU_DEP_2)
	v_ldexp_f32 v110, v110, v117
	s_wait_alu 0xfffd
	v_cndmask_b32_e32 v31, 0, v31, vcc_lo
	v_cmp_nlt_f32_e32 vcc_lo, 0x42b17218, v29
	s_wait_alu 0xf1ff
	v_cndmask_b32_e64 v110, 0, v110, s2
	v_cmp_nlt_f32_e64 s2, 0x42b17218, v30
	s_wait_alu 0xf1ff
	s_delay_alu instid0(VALU_DEP_1) | instskip(SKIP_2) | instid1(VALU_DEP_2)
	v_cndmask_b32_e64 v29, 0x7f800000, v110, s2
	s_wait_alu 0xfffd
	v_cndmask_b32_e32 v110, 0x7f800000, v31, vcc_lo
	v_cvt_f16_f32_e32 v30, v29
	s_delay_alu instid0(VALU_DEP_2)
	v_cvt_f16_f32_e32 v31, v110
	ds_store_b16 v94, v31
	s_wait_loadcnt 0x7
	ds_store_b128 v95, v[1:4]
	s_wait_loadcnt 0x6
	ds_store_b128 v96, v[5:8]
	;; [unrolled: 2-line block ×8, first 2 shown]
	v_and_b32_e32 v30, 0xffff, v30
	s_wait_dscnt 0x0
	s_barrier_signal -1
	s_barrier_wait -1
	global_inv scope:SCOPE_SE
	ds_load_2addr_b64 v[1:4], v70 offset1:32
	ds_load_b128 v[5:8], v92
	ds_load_b128 v[9:12], v92 offset:16
	ds_load_b128 v[13:16], v92 offset:32
	;; [unrolled: 1-line block ×3, first 2 shown]
	ds_load_2addr_b64 v[21:24], v70 offset0:64 offset1:96
	ds_load_2addr_b64 v[25:28], v70 offset0:128 offset1:160
	ds_load_2addr_b64 v[111:114], v70 offset0:192 offset1:224
	ds_load_2addr_b64 v[115:118], v103 offset1:32
	ds_load_2addr_b64 v[119:122], v103 offset0:64 offset1:96
	ds_load_2addr_b64 v[123:126], v103 offset0:128 offset1:160
	ds_load_2addr_b64 v[127:130], v103 offset0:192 offset1:224
	ds_load_2addr_b64 v[131:134], v104 offset1:32
	;; [unrolled: 4-line block ×7, first 2 shown]
	ds_load_2addr_b64 v[215:218], v109 offset0:64 offset1:96
	s_wait_dscnt 0x20
	v_and_b32_e32 v222, 0xffff, v5
	v_mul_u32_u24_e32 v30, 0x10001, v30
	v_lshrrev_b32_e32 v31, 16, v5
	v_dual_fmac_f32 v110, v0, v29 :: v_dual_and_b32 v223, 0xffff, v6
	s_delay_alu instid0(VALU_DEP_4) | instskip(NEXT) | instid1(VALU_DEP_4)
	v_mul_u32_u24_e32 v222, 0x10001, v222
	v_pk_mul_f16 v91, v91, v30
	v_pk_mul_f16 v85, v85, v30
	v_mul_u32_u24_e32 v0, 0x10001, v31
	v_lshrrev_b32_e32 v219, 16, v6
	v_pk_mul_f16 v238, v1, v222
	v_pk_fma_f16 v91, v3, v222, v91
	v_pk_fma_f16 v85, v4, v222, v85
	v_pk_mul_f16 v222, v2, v222
	v_mul_u32_u24_e32 v31, 0x10001, v223
	v_pk_fma_f16 v29, v89, v30, v238
	s_wait_dscnt 0x1c
	v_pk_fma_f16 v23, v23, v0, v91
	v_pk_fma_f16 v24, v24, v0, v85
	;; [unrolled: 1-line block ×3, first 2 shown]
	v_and_b32_e32 v224, 0xffff, v7
	v_pk_fma_f16 v21, v21, v0, v29
	s_wait_dscnt 0x1b
	v_pk_fma_f16 v23, v27, v31, v23
	v_pk_fma_f16 v24, v28, v31, v24
	;; [unrolled: 1-line block ×3, first 2 shown]
	v_mul_u32_u24_e32 v22, 0x10001, v219
	v_pk_fma_f16 v21, v25, v31, v21
	v_lshrrev_b32_e32 v220, 16, v7
	v_mul_u32_u24_e32 v25, 0x10001, v224
	v_pk_fma_f16 v0, v26, v31, v0
	s_wait_dscnt 0x1a
	v_pk_fma_f16 v23, v113, v22, v23
	v_pk_fma_f16 v24, v114, v22, v24
	v_pk_fma_f16 v21, v111, v22, v21
	v_and_b32_e32 v225, 0xffff, v8
	v_pk_fma_f16 v0, v112, v22, v0
	v_mul_u32_u24_e32 v22, 0x10001, v220
	s_wait_dscnt 0x19
	v_pk_fma_f16 v23, v117, v25, v23
	v_pk_fma_f16 v24, v118, v25, v24
	;; [unrolled: 1-line block ×4, first 2 shown]
	v_lshrrev_b32_e32 v221, 16, v8
	v_mul_u32_u24_e32 v25, 0x10001, v225
	s_wait_dscnt 0x18
	v_pk_fma_f16 v23, v121, v22, v23
	v_pk_fma_f16 v24, v122, v22, v24
	v_pk_fma_f16 v21, v119, v22, v21
	v_pk_fma_f16 v0, v120, v22, v0
	v_lshrrev_b32_e32 v226, 16, v9
	v_and_b32_e32 v9, 0xffff, v9
	v_mul_u32_u24_e32 v22, 0x10001, v221
	s_wait_dscnt 0x17
	v_pk_fma_f16 v23, v125, v25, v23
	v_pk_fma_f16 v24, v126, v25, v24
	v_pk_fma_f16 v21, v123, v25, v21
	v_pk_fma_f16 v0, v124, v25, v0
	v_mul_u32_u24_e32 v9, 0x10001, v9
	s_wait_dscnt 0x16
	v_pk_fma_f16 v23, v129, v22, v23
	v_pk_fma_f16 v24, v130, v22, v24
	v_pk_fma_f16 v21, v127, v22, v21
	v_pk_fma_f16 v0, v128, v22, v0
	v_lshrrev_b32_e32 v227, 16, v10
	v_and_b32_e32 v10, 0xffff, v10
	v_mul_u32_u24_e32 v22, 0x10001, v226
	s_wait_dscnt 0x15
	v_pk_fma_f16 v23, v133, v9, v23
	v_pk_fma_f16 v24, v134, v9, v24
	v_pk_fma_f16 v21, v131, v9, v21
	v_pk_fma_f16 v0, v132, v9, v0
	;; [unrolled: 14-line block ×10, first 2 shown]
	v_mul_u32_u24_e32 v9, 0x10001, v18
	s_wait_dscnt 0x4
	v_pk_fma_f16 v10, v201, v13, v10
	v_pk_fma_f16 v11, v202, v13, v11
	;; [unrolled: 1-line block ×4, first 2 shown]
	v_lshrrev_b32_e32 v236, 16, v19
	v_and_b32_e32 v19, 0xffff, v19
	ds_load_2addr_b64 v[5:8], v109 offset0:128 offset1:160
	v_mul_u32_u24_e32 v13, 0x10001, v235
	s_wait_dscnt 0x4
	v_pk_fma_f16 v10, v205, v9, v10
	v_pk_fma_f16 v11, v206, v9, v11
	;; [unrolled: 1-line block ×4, first 2 shown]
	ds_load_2addr_b64 v[1:4], v109 offset0:192 offset1:224
	s_wait_loadcnt_dscnt 0x0
	s_barrier_signal -1
	s_barrier_wait -1
	global_inv scope:SCOPE_SE
	s_load_b32 s2, s[24:25], 0x4
	v_mul_u32_u24_e32 v9, 0x10001, v19
	v_pk_fma_f16 v10, v209, v13, v10
	v_pk_fma_f16 v11, v210, v13, v11
	;; [unrolled: 1-line block ×4, first 2 shown]
	v_lshrrev_b32_e32 v237, 16, v20
	v_and_b32_e32 v20, 0xffff, v20
	v_mul_u32_u24_e32 v13, 0x10001, v236
	v_pk_fma_f16 v10, v213, v9, v10
	v_pk_fma_f16 v11, v214, v9, v11
	v_pk_fma_f16 v12, v211, v9, v12
	v_pk_fma_f16 v0, v212, v9, v0
	v_mul_u32_u24_e32 v9, 0x10001, v20
	v_pk_fma_f16 v10, v217, v13, v10
	v_pk_fma_f16 v11, v218, v13, v11
	v_pk_fma_f16 v12, v215, v13, v12
	v_pk_fma_f16 v0, v216, v13, v0
	;; [unrolled: 5-line block ×3, first 2 shown]
	s_wait_kmcnt 0x0
	s_lshl_b32 s2, s2, 5
	v_pk_fma_f16 v91, v3, v13, v7
	v_pk_fma_f16 v85, v4, v13, v8
	;; [unrolled: 1-line block ×4, first 2 shown]
	s_wait_alu 0xfffe
	s_add_co_i32 s10, s2, s10
	s_wait_alu 0xfffe
	s_cmp_ge_i32 s10, s30
	s_cbranch_scc0 .LBB36_9
; %bb.10:
	v_mov_b32_e32 v3, v72
.LBB36_11:
	v_cmp_lt_i32_e32 vcc_lo, v84, v79
	s_cmp_lg_u64 s[12:13], 0
	s_cselect_b32 s2, -1, 0
	s_cmp_eq_u32 s4, 0
	s_wait_alu 0xfffd
	v_cndmask_b32_e32 v0, v3, v84, vcc_lo
	v_cmp_lt_i32_e32 vcc_lo, v83, v79
	s_cselect_b32 s3, -1, 0
	s_wait_alu 0xfffe
	s_and_b32 s2, s3, s2
	s_wait_alu 0xfffd
	v_cndmask_b32_e32 v1, v3, v83, vcc_lo
	v_cmp_lt_i32_e32 vcc_lo, v82, v79
	s_delay_alu instid0(VALU_DEP_2)
	v_lshlrev_b32_e32 v1, 2, v1
	v_lshlrev_b32_e32 v0, 2, v0
	s_wait_alu 0xfffd
	v_cndmask_b32_e32 v2, v3, v82, vcc_lo
	v_cmp_lt_i32_e32 vcc_lo, v81, v79
	ds_bpermute_b32 v0, v0, v110
	v_lshlrev_b32_e32 v2, 2, v2
	s_wait_dscnt 0x0
	v_add_f32_e32 v0, v110, v0
	ds_bpermute_b32 v1, v1, v0
	s_wait_dscnt 0x0
	v_add_f32_e32 v0, v0, v1
	ds_bpermute_b32 v1, v2, v0
	s_wait_alu 0xfffd
	v_cndmask_b32_e32 v2, v3, v81, vcc_lo
	v_cmp_lt_i32_e32 vcc_lo, v80, v79
	s_delay_alu instid0(VALU_DEP_2)
	v_lshlrev_b32_e32 v2, 2, v2
	s_wait_dscnt 0x0
	v_add_f32_e32 v0, v0, v1
	ds_bpermute_b32 v1, v2, v0
	s_wait_alu 0xfffd
	v_cndmask_b32_e32 v2, v3, v80, vcc_lo
	s_wait_alu 0xfffe
	s_and_b32 vcc_lo, exec_lo, s2
	s_delay_alu instid0(VALU_DEP_1)
	v_lshlrev_b32_e32 v2, 2, v2
	s_wait_dscnt 0x0
	v_add_f32_e32 v0, v0, v1
	ds_bpermute_b32 v1, v2, v0
	s_wait_dscnt 0x0
	v_add_f32_e32 v35, v0, v1
	s_wait_alu 0xfffe
	s_cbranch_vccz .LBB36_13
; %bb.12:
	v_add_nc_u32_e32 v0, s33, v68
	s_delay_alu instid0(VALU_DEP_1) | instskip(NEXT) | instid1(VALU_DEP_1)
	v_ashrrev_i32_e32 v1, 31, v0
	v_lshlrev_b64_e32 v[0:1], 2, v[0:1]
	s_delay_alu instid0(VALU_DEP_1) | instskip(SKIP_1) | instid1(VALU_DEP_2)
	v_add_co_u32 v0, vcc_lo, s12, v0
	s_wait_alu 0xfffd
	v_add_co_ci_u32_e64 v1, null, s13, v1, vcc_lo
	global_load_b32 v0, v[0:1], off
	s_wait_loadcnt 0x0
	v_dual_max_num_f32 v1, v34, v34 :: v_dual_max_num_f32 v2, v0, v0
	s_delay_alu instid0(VALU_DEP_1) | instskip(NEXT) | instid1(VALU_DEP_1)
	v_max_num_f32_e32 v1, v1, v2
	v_sub_f32_e32 v0, v0, v1
	s_delay_alu instid0(VALU_DEP_1) | instskip(SKIP_2) | instid1(VALU_DEP_3)
	v_mul_f32_e32 v6, 0x3fb8aa3b, v0
	v_sub_f32_e32 v2, v34, v1
	v_mov_b32_e32 v34, v1
	v_rndne_f32_e32 v8, v6
	s_delay_alu instid0(VALU_DEP_3) | instskip(NEXT) | instid1(VALU_DEP_1)
	v_mul_f32_e32 v3, 0x3fb8aa3b, v2
	v_fma_f32 v4, 0x3fb8aa3b, v2, -v3
	v_rndne_f32_e32 v5, v3
	s_delay_alu instid0(VALU_DEP_1) | instskip(SKIP_1) | instid1(VALU_DEP_2)
	v_dual_fmac_f32 v4, 0x32a5705f, v2 :: v_dual_sub_f32 v3, v3, v5
	v_cvt_i32_f32_e32 v5, v5
	v_add_f32_e32 v3, v3, v4
	v_cmp_ngt_f32_e32 vcc_lo, 0xc2ce8ed0, v2
	v_sub_f32_e32 v4, v6, v8
	s_delay_alu instid0(VALU_DEP_3) | instskip(NEXT) | instid1(TRANS32_DEP_1)
	v_exp_f32_e32 v3, v3
	v_ldexp_f32 v3, v3, v5
	v_cvt_i32_f32_e32 v5, v8
	s_wait_alu 0xfffd
	s_delay_alu instid0(VALU_DEP_2) | instskip(SKIP_2) | instid1(VALU_DEP_2)
	v_cndmask_b32_e32 v3, 0, v3, vcc_lo
	v_fma_f32 v7, 0x3fb8aa3b, v0, -v6
	v_cmp_nlt_f32_e32 vcc_lo, 0x42b17218, v2
	v_fmac_f32_e32 v7, 0x32a5705f, v0
	s_wait_alu 0xfffd
	v_cndmask_b32_e32 v2, 0x7f800000, v3, vcc_lo
	v_cmp_ngt_f32_e32 vcc_lo, 0xc2ce8ed0, v0
	s_delay_alu instid0(VALU_DEP_3) | instskip(NEXT) | instid1(VALU_DEP_1)
	v_add_f32_e32 v4, v4, v7
	v_exp_f32_e32 v4, v4
	s_delay_alu instid0(TRANS32_DEP_1) | instskip(SKIP_1) | instid1(VALU_DEP_1)
	v_ldexp_f32 v4, v4, v5
	s_wait_alu 0xfffd
	v_cndmask_b32_e32 v3, 0, v4, vcc_lo
	v_cmp_nlt_f32_e32 vcc_lo, 0x42b17218, v0
	s_wait_alu 0xfffd
	s_delay_alu instid0(VALU_DEP_2) | instskip(NEXT) | instid1(VALU_DEP_1)
	v_cndmask_b32_e32 v0, 0x7f800000, v3, vcc_lo
	v_fmac_f32_e32 v0, v35, v2
	s_delay_alu instid0(VALU_DEP_1) | instskip(SKIP_1) | instid1(VALU_DEP_1)
	v_mov_b32_e32 v35, v0
	v_cvt_f16_f32_e32 v4, v2
	v_and_b32_e32 v3, 0xffff, v4
	s_delay_alu instid0(VALU_DEP_1) | instskip(NEXT) | instid1(VALU_DEP_1)
	v_mul_u32_u24_e32 v2, 0x10001, v3
	v_pk_mul_f16 v89, v89, v2
	v_pk_mul_f16 v93, v93, v2
	;; [unrolled: 1-line block ×4, first 2 shown]
.LBB36_13:
	s_mov_b32 s2, exec_lo
	v_cmpx_gt_i32_e64 s22, v32
	s_cbranch_execz .LBB36_16
; %bb.14:
	v_div_scale_f32 v3, null, v35, v35, 1.0
	v_mad_co_u64_u32 v[0:1], null, s28, s22, v[32:33]
	s_load_b32 s1, s[0:1], 0xd4
	v_rcp_f32_e32 v5, v3
	v_div_scale_f32 v4, vcc_lo, 1.0, v35, 1.0
	v_cvt_f32_f16_e32 v7, v93
	v_lshrrev_b32_e32 v9, 16, v89
	v_mul_lo_u32 v0, v0, s23
	v_lshrrev_b32_e32 v6, 16, v93
	v_lshrrev_b32_e32 v10, 16, v85
	;; [unrolled: 1-line block ×3, first 2 shown]
	v_cvt_f32_f16_e32 v16, v9
	s_delay_alu instid0(TRANS32_DEP_1)
	v_fma_f32 v1, -v3, v5, 1.0
	v_cvt_f32_f16_e32 v6, v6
	v_cvt_f32_f16_e32 v13, v89
	v_add3_u32 v0, s33, v68, v0
	v_cvt_f32_f16_e32 v14, v85
	v_dual_fmac_f32 v5, v1, v5 :: v_dual_mov_b32 v2, 0
	v_cvt_f32_f16_e32 v15, v91
	v_cvt_f32_f16_e32 v17, v11
	s_wait_kmcnt 0x0
	v_mad_co_u64_u32 v[0:1], null, s1, v0, s[4:5]
	v_mul_f32_e32 v8, v4, v5
	s_cmp_lg_u32 s1, 1
	v_cmp_eq_u32_e64 s0, 0, v33
	s_cselect_b32 s1, -1, 0
	v_fma_f32 v1, -v3, v8, v4
	s_wait_alu 0xfffe
	s_and_b32 s0, s0, s1
	s_delay_alu instid0(VALU_DEP_1) | instskip(SKIP_1) | instid1(VALU_DEP_2)
	v_fmac_f32_e32 v8, v1, v5
	v_lshl_add_u32 v1, v0, 8, v69
	v_fma_f32 v9, -v3, v8, v4
	s_delay_alu instid0(VALU_DEP_2) | instskip(SKIP_1) | instid1(VALU_DEP_2)
	v_lshlrev_b64_e32 v[3:4], 2, v[1:2]
	s_wait_alu 0xfffd
	v_div_fmas_f32 v5, v9, v5, v8
	v_cvt_f32_f16_e32 v8, v10
	s_delay_alu instid0(VALU_DEP_3) | instskip(SKIP_3) | instid1(VALU_DEP_1)
	v_add_co_u32 v9, vcc_lo, s16, v3
	s_wait_alu 0xfffd
	v_add_co_ci_u32_e64 v10, null, s17, v4, vcc_lo
	v_div_fixup_f32 v5, v5, v35, 1.0
	v_cndmask_b32_e64 v5, v5, 1.0, s1
	s_delay_alu instid0(VALU_DEP_1) | instskip(NEXT) | instid1(VALU_DEP_1)
	v_dual_mul_f32 v4, v5, v6 :: v_dual_add_nc_u32 v1, 0x80, v1
	v_lshlrev_b64_e32 v[1:2], 2, v[1:2]
	v_mul_f32_e32 v3, v5, v7
	v_mul_f32_e32 v8, v5, v8
	;; [unrolled: 1-line block ×4, first 2 shown]
	v_add_co_u32 v11, vcc_lo, s16, v1
	s_wait_alu 0xfffd
	v_add_co_ci_u32_e64 v12, null, s17, v2, vcc_lo
	v_mul_f32_e32 v2, v5, v16
	v_mul_f32_e32 v1, v5, v13
	;; [unrolled: 1-line block ×3, first 2 shown]
	s_clause 0x1
	global_store_b128 v[9:10], v[1:4], off
	global_store_b128 v[11:12], v[5:8], off
	s_wait_alu 0xfffe
	s_and_b32 exec_lo, exec_lo, s0
	s_cbranch_execz .LBB36_16
; %bb.15:
	v_ashrrev_i32_e32 v1, 31, v0
	s_delay_alu instid0(VALU_DEP_1) | instskip(NEXT) | instid1(VALU_DEP_1)
	v_lshlrev_b64_e32 v[0:1], 3, v[0:1]
	v_add_co_u32 v0, vcc_lo, s18, v0
	s_wait_alu 0xfffd
	s_delay_alu instid0(VALU_DEP_2)
	v_add_co_ci_u32_e64 v1, null, s19, v1, vcc_lo
	global_store_b64 v[0:1], v[34:35], off
.LBB36_16:
	s_nop 0
	s_sendmsg sendmsg(MSG_DEALLOC_VGPRS)
	s_endpgm
	.section	.rodata,"a",@progbits
	.p2align	6, 0x0
	.amdhsa_kernel _ZL15flash_attn_tileILi256ELi256ELi2ELi2ELb0EEvPKcS1_S1_S1_S1_PKiPfP15HIP_vector_typeIfLj2EEffffjfiS5_IjLj3EEiiiiiiiiiiiliiliiiiil
		.amdhsa_group_segment_fixed_size 19200
		.amdhsa_private_segment_fixed_size 0
		.amdhsa_kernarg_size 464
		.amdhsa_user_sgpr_count 2
		.amdhsa_user_sgpr_dispatch_ptr 0
		.amdhsa_user_sgpr_queue_ptr 0
		.amdhsa_user_sgpr_kernarg_segment_ptr 1
		.amdhsa_user_sgpr_dispatch_id 0
		.amdhsa_user_sgpr_private_segment_size 0
		.amdhsa_wavefront_size32 1
		.amdhsa_uses_dynamic_stack 0
		.amdhsa_enable_private_segment 0
		.amdhsa_system_sgpr_workgroup_id_x 1
		.amdhsa_system_sgpr_workgroup_id_y 1
		.amdhsa_system_sgpr_workgroup_id_z 1
		.amdhsa_system_sgpr_workgroup_info 0
		.amdhsa_system_vgpr_workitem_id 1
		.amdhsa_next_free_vgpr 239
		.amdhsa_next_free_sgpr 42
		.amdhsa_reserve_vcc 1
		.amdhsa_float_round_mode_32 0
		.amdhsa_float_round_mode_16_64 0
		.amdhsa_float_denorm_mode_32 3
		.amdhsa_float_denorm_mode_16_64 3
		.amdhsa_fp16_overflow 0
		.amdhsa_workgroup_processor_mode 1
		.amdhsa_memory_ordered 1
		.amdhsa_forward_progress 1
		.amdhsa_inst_pref_size 58
		.amdhsa_round_robin_scheduling 0
		.amdhsa_exception_fp_ieee_invalid_op 0
		.amdhsa_exception_fp_denorm_src 0
		.amdhsa_exception_fp_ieee_div_zero 0
		.amdhsa_exception_fp_ieee_overflow 0
		.amdhsa_exception_fp_ieee_underflow 0
		.amdhsa_exception_fp_ieee_inexact 0
		.amdhsa_exception_int_div_zero 0
	.end_amdhsa_kernel
	.section	.text._ZL15flash_attn_tileILi256ELi256ELi2ELi2ELb0EEvPKcS1_S1_S1_S1_PKiPfP15HIP_vector_typeIfLj2EEffffjfiS5_IjLj3EEiiiiiiiiiiiliiliiiiil,"axG",@progbits,_ZL15flash_attn_tileILi256ELi256ELi2ELi2ELb0EEvPKcS1_S1_S1_S1_PKiPfP15HIP_vector_typeIfLj2EEffffjfiS5_IjLj3EEiiiiiiiiiiiliiliiiiil,comdat
.Lfunc_end36:
	.size	_ZL15flash_attn_tileILi256ELi256ELi2ELi2ELb0EEvPKcS1_S1_S1_S1_PKiPfP15HIP_vector_typeIfLj2EEffffjfiS5_IjLj3EEiiiiiiiiiiiliiliiiiil, .Lfunc_end36-_ZL15flash_attn_tileILi256ELi256ELi2ELi2ELb0EEvPKcS1_S1_S1_S1_PKiPfP15HIP_vector_typeIfLj2EEffffjfiS5_IjLj3EEiiiiiiiiiiiliiliiiiil
                                        ; -- End function
	.set _ZL15flash_attn_tileILi256ELi256ELi2ELi2ELb0EEvPKcS1_S1_S1_S1_PKiPfP15HIP_vector_typeIfLj2EEffffjfiS5_IjLj3EEiiiiiiiiiiiliiliiiiil.num_vgpr, 239
	.set _ZL15flash_attn_tileILi256ELi256ELi2ELi2ELb0EEvPKcS1_S1_S1_S1_PKiPfP15HIP_vector_typeIfLj2EEffffjfiS5_IjLj3EEiiiiiiiiiiiliiliiiiil.num_agpr, 0
	.set _ZL15flash_attn_tileILi256ELi256ELi2ELi2ELb0EEvPKcS1_S1_S1_S1_PKiPfP15HIP_vector_typeIfLj2EEffffjfiS5_IjLj3EEiiiiiiiiiiiliiliiiiil.numbered_sgpr, 42
	.set _ZL15flash_attn_tileILi256ELi256ELi2ELi2ELb0EEvPKcS1_S1_S1_S1_PKiPfP15HIP_vector_typeIfLj2EEffffjfiS5_IjLj3EEiiiiiiiiiiiliiliiiiil.num_named_barrier, 0
	.set _ZL15flash_attn_tileILi256ELi256ELi2ELi2ELb0EEvPKcS1_S1_S1_S1_PKiPfP15HIP_vector_typeIfLj2EEffffjfiS5_IjLj3EEiiiiiiiiiiiliiliiiiil.private_seg_size, 0
	.set _ZL15flash_attn_tileILi256ELi256ELi2ELi2ELb0EEvPKcS1_S1_S1_S1_PKiPfP15HIP_vector_typeIfLj2EEffffjfiS5_IjLj3EEiiiiiiiiiiiliiliiiiil.uses_vcc, 1
	.set _ZL15flash_attn_tileILi256ELi256ELi2ELi2ELb0EEvPKcS1_S1_S1_S1_PKiPfP15HIP_vector_typeIfLj2EEffffjfiS5_IjLj3EEiiiiiiiiiiiliiliiiiil.uses_flat_scratch, 0
	.set _ZL15flash_attn_tileILi256ELi256ELi2ELi2ELb0EEvPKcS1_S1_S1_S1_PKiPfP15HIP_vector_typeIfLj2EEffffjfiS5_IjLj3EEiiiiiiiiiiiliiliiiiil.has_dyn_sized_stack, 0
	.set _ZL15flash_attn_tileILi256ELi256ELi2ELi2ELb0EEvPKcS1_S1_S1_S1_PKiPfP15HIP_vector_typeIfLj2EEffffjfiS5_IjLj3EEiiiiiiiiiiiliiliiiiil.has_recursion, 0
	.set _ZL15flash_attn_tileILi256ELi256ELi2ELi2ELb0EEvPKcS1_S1_S1_S1_PKiPfP15HIP_vector_typeIfLj2EEffffjfiS5_IjLj3EEiiiiiiiiiiiliiliiiiil.has_indirect_call, 0
	.section	.AMDGPU.csdata,"",@progbits
; Kernel info:
; codeLenInByte = 7344
; TotalNumSgprs: 44
; NumVgprs: 239
; ScratchSize: 0
; MemoryBound: 0
; FloatMode: 240
; IeeeMode: 1
; LDSByteSize: 19200 bytes/workgroup (compile time only)
; SGPRBlocks: 0
; VGPRBlocks: 29
; NumSGPRsForWavesPerEU: 44
; NumVGPRsForWavesPerEU: 239
; Occupancy: 6
; WaveLimiterHint : 1
; COMPUTE_PGM_RSRC2:SCRATCH_EN: 0
; COMPUTE_PGM_RSRC2:USER_SGPR: 2
; COMPUTE_PGM_RSRC2:TRAP_HANDLER: 0
; COMPUTE_PGM_RSRC2:TGID_X_EN: 1
; COMPUTE_PGM_RSRC2:TGID_Y_EN: 1
; COMPUTE_PGM_RSRC2:TGID_Z_EN: 1
; COMPUTE_PGM_RSRC2:TIDIG_COMP_CNT: 1
	.section	.text._ZL33flash_attn_stream_k_fixup_uniformILi256ELi2ELi2EEvPfPK15HIP_vector_typeIfLj2EEiiiiiiS1_IjLj3EES5_S5_,"axG",@progbits,_ZL33flash_attn_stream_k_fixup_uniformILi256ELi2ELi2EEvPfPK15HIP_vector_typeIfLj2EEiiiiiiS1_IjLj3EES5_S5_,comdat
	.globl	_ZL33flash_attn_stream_k_fixup_uniformILi256ELi2ELi2EEvPfPK15HIP_vector_typeIfLj2EEiiiiiiS1_IjLj3EES5_S5_ ; -- Begin function _ZL33flash_attn_stream_k_fixup_uniformILi256ELi2ELi2EEvPfPK15HIP_vector_typeIfLj2EEiiiiiiS1_IjLj3EES5_S5_
	.p2align	8
	.type	_ZL33flash_attn_stream_k_fixup_uniformILi256ELi2ELi2EEvPfPK15HIP_vector_typeIfLj2EEiiiiiiS1_IjLj3EES5_S5_,@function
_ZL33flash_attn_stream_k_fixup_uniformILi256ELi2ELi2EEvPfPK15HIP_vector_typeIfLj2EEiiiiiiS1_IjLj3EES5_S5_: ; @_ZL33flash_attn_stream_k_fixup_uniformILi256ELi2ELi2EEvPfPK15HIP_vector_typeIfLj2EEiiiiiiS1_IjLj3EES5_S5_
; %bb.0:
	s_clause 0x1
	s_load_b256 s[4:11], s[0:1], 0x1c
	s_load_b128 s[12:15], s[0:1], 0x3c
	s_wait_kmcnt 0x0
	s_mul_hi_u32 s2, s7, ttmp9
	s_delay_alu instid0(SALU_CYCLE_1) | instskip(NEXT) | instid1(SALU_CYCLE_1)
	s_add_co_i32 s2, ttmp9, s2
	s_lshr_b32 s2, s2, s8
	s_delay_alu instid0(SALU_CYCLE_1) | instskip(SKIP_2) | instid1(SALU_CYCLE_1)
	s_mul_i32 s3, s2, s9
	s_load_b64 s[8:9], s[0:1], 0x10
	s_sub_co_i32 s7, ttmp9, s3
	s_mul_hi_u32 s3, s7, s10
	s_delay_alu instid0(SALU_CYCLE_1) | instskip(NEXT) | instid1(SALU_CYCLE_1)
	s_add_co_i32 s3, s7, s3
	s_lshr_b32 s3, s3, s11
	s_delay_alu instid0(SALU_CYCLE_1) | instskip(NEXT) | instid1(SALU_CYCLE_1)
	s_mul_i32 s10, s3, s12
	s_sub_co_i32 s7, s7, s10
	s_delay_alu instid0(SALU_CYCLE_1) | instskip(NEXT) | instid1(SALU_CYCLE_1)
	s_mul_hi_u32 s10, s7, s13
	s_add_co_i32 s10, s7, s10
	s_delay_alu instid0(SALU_CYCLE_1) | instskip(NEXT) | instid1(SALU_CYCLE_1)
	s_lshr_b32 s12, s10, s14
	s_mul_i32 s10, s12, s15
	s_lshl_b32 s12, s12, 1
	s_sub_co_i32 s11, s7, s10
	s_and_b32 s7, ttmp7, 0xffff
	s_lshl_b32 s13, s11, 1
	s_lshr_b32 s10, ttmp7, 16
	s_add_co_i32 s13, s13, s7
	s_wait_kmcnt 0x0
	s_cmp_lt_i32 s13, s8
	s_cselect_b32 s13, -1, 0
	s_add_co_i32 s14, s12, s10
	s_delay_alu instid0(SALU_CYCLE_1) | instskip(SKIP_1) | instid1(SALU_CYCLE_1)
	s_cmp_lt_i32 s14, s5
	s_cselect_b32 s14, -1, 0
	s_and_b32 s13, s13, s14
	s_delay_alu instid0(SALU_CYCLE_1)
	s_and_not1_b32 vcc_lo, exec_lo, s13
	s_cbranch_vccnz .LBB37_6
; %bb.1:
	s_mul_i32 s2, s2, s8
	s_mul_i32 s5, s3, s5
	s_add_co_i32 s2, s2, s7
	s_delay_alu instid0(SALU_CYCLE_1) | instskip(NEXT) | instid1(SALU_CYCLE_1)
	s_mul_i32 s2, s2, s9
	s_add_co_i32 s8, s2, s10
	s_load_b128 s[0:3], s[0:1], 0x0
	s_add_co_i32 s5, s8, s5
	s_mul_i32 s8, s9, s11
	s_add_co_i32 s5, s5, s12
	s_lshl_b32 s8, s8, 9
	s_lshl_b32 s5, s5, 8
	s_delay_alu instid0(SALU_CYCLE_1)
	s_add_co_i32 s8, s8, s5
	s_lshl_b32 s5, s7, 1
	v_or_b32_e32 v1, s8, v0
	s_mul_i32 s8, s6, ttmp9
	s_wait_alu 0xfffe
	s_add_co_i32 s9, s8, s6
	s_wait_alu 0xfffe
	s_add_co_i32 s12, s9, -2
	v_ashrrev_i32_e32 v2, 31, v1
	s_delay_alu instid0(VALU_DEP_1) | instskip(SKIP_1) | instid1(VALU_DEP_1)
	v_lshlrev_b64_e32 v[1:2], 2, v[1:2]
	s_wait_kmcnt 0x0
	v_add_co_u32 v1, vcc_lo, s0, v1
	s_delay_alu instid0(VALU_DEP_1)
	v_add_co_ci_u32_e64 v2, null, s1, v2, vcc_lo
	s_add_co_i32 s0, s5, s10
	s_lshl_b32 s1, s9, 2
	global_load_b32 v5, v[1:2], off
	s_wait_alu 0xfffe
	s_add_co_i32 s0, s0, s1
	s_wait_alu 0xfffe
	s_add_co_i32 s0, s0, -4
	s_wait_alu 0xfffe
	s_ashr_i32 s1, s0, 31
	s_wait_alu 0xfffe
	s_lshl_b64 s[0:1], s[0:1], 3
	s_cmp_lt_i32 s12, s8
	s_wait_alu 0xfffe
	s_add_nc_u64 s[0:1], s[2:3], s[0:1]
	s_load_b32 s11, s[0:1], 0x4
	s_cbranch_scc1 .LBB37_4
; %bb.2:
	s_load_b32 s0, s[0:1], 0x0
	s_add_co_i32 s13, ttmp9, 1
	s_lshl_b32 s12, s4, 4
	s_mul_i32 s1, s6, s13
	s_lshl_b32 s6, s7, 9
	s_lshl_b32 s7, s10, 8
	s_wait_alu 0xfffe
	s_lshl_b32 s14, s1, 10
	s_add_co_i32 s6, s7, s6
	s_lshl_b32 s1, s1, 2
	s_add_co_i32 s14, s6, s14
	s_wait_alu 0xfffe
	s_add_co_i32 s1, s10, s1
	v_or_b32_e32 v0, s14, v0
	s_lshl_b32 s4, s4, 2
	s_ashr_i32 s13, s12, 31
	s_wait_alu 0xfffe
	s_add_co_i32 s1, s1, s4
	s_wait_kmcnt 0x0
	v_dual_mov_b32 v6, s11 :: v_dual_add_nc_u32 v3, 0xfffff800, v0
	s_lshl_b64 s[6:7], s[12:13], 2
	s_wait_alu 0xfffe
	s_add_co_i32 s4, s1, s5
	s_add_nc_u64 s[6:7], s[2:3], s[6:7]
	s_add_co_i32 s1, s9, -1
	s_add_co_i32 s4, s4, -8
.LBB37_3:                               ; =>This Inner Loop Header: Depth=1
	v_ashrrev_i32_e32 v4, 31, v3
	s_ashr_i32 s5, s4, 31
	v_mov_b32_e32 v10, v6
	s_lshl_b64 s[10:11], s[4:5], 3
	s_wait_loadcnt 0x0
	v_mov_b32_e32 v9, v5
	v_lshlrev_b64_e32 v[7:8], 2, v[3:4]
	s_wait_alu 0xfffe
	s_add_nc_u64 s[10:11], s[2:3], s[10:11]
	v_max_num_f32_e64 v4, s0, s0
	s_load_b64 s[10:11], s[10:11], 0x0
	v_add_nc_u32_e32 v3, 0xfffffc00, v3
	v_add_co_u32 v7, vcc_lo, s6, v7
	s_wait_alu 0xfffd
	v_add_co_ci_u32_e64 v8, null, s7, v8, vcc_lo
	v_readfirstlane_b32 s5, v4
	global_load_b32 v0, v[7:8], off
	s_wait_kmcnt 0x0
	v_max_num_f32_e64 v4, s10, s10
	s_delay_alu instid0(VALU_DEP_1) | instskip(SKIP_1) | instid1(SALU_CYCLE_3)
	v_readfirstlane_b32 s9, v4
	s_max_num_f32 s5, s5, s9
	s_sub_f32 s0, s0, s5
	s_sub_f32 s9, s10, s5
	s_wait_alu 0xfffe
	s_delay_alu instid0(SALU_CYCLE_1) | instskip(NEXT) | instid1(SALU_CYCLE_1)
	s_mul_f32 s10, s0, 0x3fb8aa3b
	s_mul_f32 s12, s9, 0x3fb8aa3b
	s_wait_alu 0xfffe
	s_delay_alu instid0(SALU_CYCLE_1)
	s_xor_b32 s13, s10, 0x80000000
	s_rndne_f32 s14, s10
	s_fmamk_f32 s13, s0, 0x3fb8aa3b, s13
	s_cmp_nlt_f32 s0, 0xc2ce8ed0
	s_rndne_f32 s15, s12
	s_wait_alu 0xfffe
	s_sub_f32 s10, s10, s14
	s_fmamk_f32 s13, s0, 0x32a5705f, s13
	s_cvt_i32_f32 s14, s14
	s_cselect_b32 vcc_lo, -1, 0
	s_cmp_ngt_f32 s0, 0x42b17218
	s_wait_alu 0xfffe
	s_add_f32 s10, s10, s13
	s_sub_f32 s13, s12, s15
	s_wait_alu 0xfffe
	s_delay_alu instid0(SALU_CYCLE_1) | instskip(SKIP_1) | instid1(TRANS32_DEP_1)
	v_s_exp_f32 s10, s10
	s_wait_alu 0xf1ff
	v_ldexp_f32 v4, s10, s14
	s_cvt_i32_f32 s10, s15
	s_delay_alu instid0(VALU_DEP_1) | instskip(SKIP_3) | instid1(VALU_DEP_1)
	v_cndmask_b32_e32 v4, 0, v4, vcc_lo
	s_cselect_b32 vcc_lo, -1, 0
	s_cmp_ge_f32 s0, 0xc1a00000
	s_wait_alu 0xfffe
	v_cndmask_b32_e32 v4, 0x7f800000, v4, vcc_lo
	s_cselect_b32 vcc_lo, -1, 0
	s_xor_b32 s0, s12, 0x80000000
	s_cmp_nlt_f32 s9, 0xc2ce8ed0
	s_wait_alu 0xfffe
	s_fmamk_f32 s0, s9, 0x3fb8aa3b, s0
	s_wait_alu 0xfffe
	s_delay_alu instid0(SALU_CYCLE_2) | instskip(SKIP_1) | instid1(SALU_CYCLE_2)
	s_fmamk_f32 s0, s9, 0x32a5705f, s0
	s_wait_alu 0xfffe
	s_add_f32 s0, s13, s0
	s_wait_alu 0xfffe
	s_delay_alu instid0(SALU_CYCLE_2) | instskip(SKIP_1) | instid1(TRANS32_DEP_1)
	v_s_exp_f32 s0, s0
	s_wait_alu 0xf1ff
	v_ldexp_f32 v7, s0, s10
	s_cselect_b32 s0, -1, 0
	s_cmp_ngt_f32 s9, 0x42b17218
	s_wait_alu 0xfffe
	s_delay_alu instid0(VALU_DEP_1) | instskip(SKIP_3) | instid1(VALU_DEP_1)
	v_cndmask_b32_e64 v7, 0, v7, s0
	s_cselect_b32 s0, -1, 0
	s_cmp_ge_f32 s9, 0xc1a00000
	s_wait_alu 0xfffe
	v_cndmask_b32_e64 v7, 0x7f800000, v7, s0
	s_cselect_b32 s0, -1, 0
	s_add_co_i32 s1, s1, -1
	s_add_co_i32 s4, s4, -4
	s_wait_alu 0xfffe
	s_cmp_le_i32 s1, s8
	v_cndmask_b32_e64 v7, 0, v7, s0
	s_mov_b32 s0, s5
	s_wait_loadcnt 0x0
	s_delay_alu instid0(VALU_DEP_1) | instskip(NEXT) | instid1(VALU_DEP_1)
	v_dual_mul_f32 v5, v0, v7 :: v_dual_cndmask_b32 v4, 0, v4
	v_dual_mul_f32 v8, s11, v7 :: v_dual_fmac_f32 v5, v9, v4
	s_delay_alu instid0(VALU_DEP_1) | instskip(NEXT) | instid1(VALU_DEP_1)
	v_mov_b32_e32 v6, v8
	v_fmac_f32_e32 v6, v10, v4
	s_cbranch_scc0 .LBB37_3
	s_branch .LBB37_5
.LBB37_4:
	s_wait_kmcnt 0x0
	v_mov_b32_e32 v6, s11
.LBB37_5:
	s_wait_loadcnt 0x0
	s_delay_alu instid0(VALU_DEP_1) | instskip(NEXT) | instid1(VALU_DEP_1)
	v_div_scale_f32 v0, null, v6, v6, v5
	v_rcp_f32_e32 v3, v0
	s_delay_alu instid0(TRANS32_DEP_1) | instskip(NEXT) | instid1(VALU_DEP_1)
	v_fma_f32 v4, -v0, v3, 1.0
	v_fmac_f32_e32 v3, v4, v3
	v_div_scale_f32 v4, vcc_lo, v5, v6, v5
	s_delay_alu instid0(VALU_DEP_1) | instskip(NEXT) | instid1(VALU_DEP_1)
	v_mul_f32_e32 v7, v4, v3
	v_fma_f32 v8, -v0, v7, v4
	s_delay_alu instid0(VALU_DEP_1) | instskip(NEXT) | instid1(VALU_DEP_1)
	v_fmac_f32_e32 v7, v8, v3
	v_fma_f32 v0, -v0, v7, v4
	s_wait_alu 0xfffd
	s_delay_alu instid0(VALU_DEP_1) | instskip(NEXT) | instid1(VALU_DEP_1)
	v_div_fmas_f32 v0, v0, v3, v7
	v_div_fixup_f32 v0, v0, v6, v5
	global_store_b32 v[1:2], v0, off
.LBB37_6:
	s_endpgm
	.section	.rodata,"a",@progbits
	.p2align	6, 0x0
	.amdhsa_kernel _ZL33flash_attn_stream_k_fixup_uniformILi256ELi2ELi2EEvPfPK15HIP_vector_typeIfLj2EEiiiiiiS1_IjLj3EES5_S5_
		.amdhsa_group_segment_fixed_size 0
		.amdhsa_private_segment_fixed_size 0
		.amdhsa_kernarg_size 76
		.amdhsa_user_sgpr_count 2
		.amdhsa_user_sgpr_dispatch_ptr 0
		.amdhsa_user_sgpr_queue_ptr 0
		.amdhsa_user_sgpr_kernarg_segment_ptr 1
		.amdhsa_user_sgpr_dispatch_id 0
		.amdhsa_user_sgpr_private_segment_size 0
		.amdhsa_wavefront_size32 1
		.amdhsa_uses_dynamic_stack 0
		.amdhsa_enable_private_segment 0
		.amdhsa_system_sgpr_workgroup_id_x 1
		.amdhsa_system_sgpr_workgroup_id_y 1
		.amdhsa_system_sgpr_workgroup_id_z 1
		.amdhsa_system_sgpr_workgroup_info 0
		.amdhsa_system_vgpr_workitem_id 0
		.amdhsa_next_free_vgpr 11
		.amdhsa_next_free_sgpr 16
		.amdhsa_reserve_vcc 1
		.amdhsa_float_round_mode_32 0
		.amdhsa_float_round_mode_16_64 0
		.amdhsa_float_denorm_mode_32 3
		.amdhsa_float_denorm_mode_16_64 3
		.amdhsa_fp16_overflow 0
		.amdhsa_workgroup_processor_mode 1
		.amdhsa_memory_ordered 1
		.amdhsa_forward_progress 1
		.amdhsa_inst_pref_size 9
		.amdhsa_round_robin_scheduling 0
		.amdhsa_exception_fp_ieee_invalid_op 0
		.amdhsa_exception_fp_denorm_src 0
		.amdhsa_exception_fp_ieee_div_zero 0
		.amdhsa_exception_fp_ieee_overflow 0
		.amdhsa_exception_fp_ieee_underflow 0
		.amdhsa_exception_fp_ieee_inexact 0
		.amdhsa_exception_int_div_zero 0
	.end_amdhsa_kernel
	.section	.text._ZL33flash_attn_stream_k_fixup_uniformILi256ELi2ELi2EEvPfPK15HIP_vector_typeIfLj2EEiiiiiiS1_IjLj3EES5_S5_,"axG",@progbits,_ZL33flash_attn_stream_k_fixup_uniformILi256ELi2ELi2EEvPfPK15HIP_vector_typeIfLj2EEiiiiiiS1_IjLj3EES5_S5_,comdat
.Lfunc_end37:
	.size	_ZL33flash_attn_stream_k_fixup_uniformILi256ELi2ELi2EEvPfPK15HIP_vector_typeIfLj2EEiiiiiiS1_IjLj3EES5_S5_, .Lfunc_end37-_ZL33flash_attn_stream_k_fixup_uniformILi256ELi2ELi2EEvPfPK15HIP_vector_typeIfLj2EEiiiiiiS1_IjLj3EES5_S5_
                                        ; -- End function
	.set _ZL33flash_attn_stream_k_fixup_uniformILi256ELi2ELi2EEvPfPK15HIP_vector_typeIfLj2EEiiiiiiS1_IjLj3EES5_S5_.num_vgpr, 11
	.set _ZL33flash_attn_stream_k_fixup_uniformILi256ELi2ELi2EEvPfPK15HIP_vector_typeIfLj2EEiiiiiiS1_IjLj3EES5_S5_.num_agpr, 0
	.set _ZL33flash_attn_stream_k_fixup_uniformILi256ELi2ELi2EEvPfPK15HIP_vector_typeIfLj2EEiiiiiiS1_IjLj3EES5_S5_.numbered_sgpr, 16
	.set _ZL33flash_attn_stream_k_fixup_uniformILi256ELi2ELi2EEvPfPK15HIP_vector_typeIfLj2EEiiiiiiS1_IjLj3EES5_S5_.num_named_barrier, 0
	.set _ZL33flash_attn_stream_k_fixup_uniformILi256ELi2ELi2EEvPfPK15HIP_vector_typeIfLj2EEiiiiiiS1_IjLj3EES5_S5_.private_seg_size, 0
	.set _ZL33flash_attn_stream_k_fixup_uniformILi256ELi2ELi2EEvPfPK15HIP_vector_typeIfLj2EEiiiiiiS1_IjLj3EES5_S5_.uses_vcc, 1
	.set _ZL33flash_attn_stream_k_fixup_uniformILi256ELi2ELi2EEvPfPK15HIP_vector_typeIfLj2EEiiiiiiS1_IjLj3EES5_S5_.uses_flat_scratch, 0
	.set _ZL33flash_attn_stream_k_fixup_uniformILi256ELi2ELi2EEvPfPK15HIP_vector_typeIfLj2EEiiiiiiS1_IjLj3EES5_S5_.has_dyn_sized_stack, 0
	.set _ZL33flash_attn_stream_k_fixup_uniformILi256ELi2ELi2EEvPfPK15HIP_vector_typeIfLj2EEiiiiiiS1_IjLj3EES5_S5_.has_recursion, 0
	.set _ZL33flash_attn_stream_k_fixup_uniformILi256ELi2ELi2EEvPfPK15HIP_vector_typeIfLj2EEiiiiiiS1_IjLj3EES5_S5_.has_indirect_call, 0
	.section	.AMDGPU.csdata,"",@progbits
; Kernel info:
; codeLenInByte = 1140
; TotalNumSgprs: 18
; NumVgprs: 11
; ScratchSize: 0
; MemoryBound: 0
; FloatMode: 240
; IeeeMode: 1
; LDSByteSize: 0 bytes/workgroup (compile time only)
; SGPRBlocks: 0
; VGPRBlocks: 1
; NumSGPRsForWavesPerEU: 18
; NumVGPRsForWavesPerEU: 11
; Occupancy: 16
; WaveLimiterHint : 0
; COMPUTE_PGM_RSRC2:SCRATCH_EN: 0
; COMPUTE_PGM_RSRC2:USER_SGPR: 2
; COMPUTE_PGM_RSRC2:TRAP_HANDLER: 0
; COMPUTE_PGM_RSRC2:TGID_X_EN: 1
; COMPUTE_PGM_RSRC2:TGID_Y_EN: 1
; COMPUTE_PGM_RSRC2:TGID_Z_EN: 1
; COMPUTE_PGM_RSRC2:TIDIG_COMP_CNT: 0
	.section	.text._ZL33flash_attn_stream_k_fixup_generalILi256ELi2ELi2EEvPfPK15HIP_vector_typeIfLj2EEiiiiS1_IjLj3EES5_S5_S5_,"axG",@progbits,_ZL33flash_attn_stream_k_fixup_generalILi256ELi2ELi2EEvPfPK15HIP_vector_typeIfLj2EEiiiiS1_IjLj3EES5_S5_S5_,comdat
	.globl	_ZL33flash_attn_stream_k_fixup_generalILi256ELi2ELi2EEvPfPK15HIP_vector_typeIfLj2EEiiiiS1_IjLj3EES5_S5_S5_ ; -- Begin function _ZL33flash_attn_stream_k_fixup_generalILi256ELi2ELi2EEvPfPK15HIP_vector_typeIfLj2EEiiiiS1_IjLj3EES5_S5_S5_
	.p2align	8
	.type	_ZL33flash_attn_stream_k_fixup_generalILi256ELi2ELi2EEvPfPK15HIP_vector_typeIfLj2EEiiiiS1_IjLj3EES5_S5_S5_,@function
_ZL33flash_attn_stream_k_fixup_generalILi256ELi2ELi2EEvPfPK15HIP_vector_typeIfLj2EEiiiiS1_IjLj3EES5_S5_S5_: ; @_ZL33flash_attn_stream_k_fixup_generalILi256ELi2ELi2EEvPfPK15HIP_vector_typeIfLj2EEiiiiS1_IjLj3EES5_S5_S5_
; %bb.0:
	s_clause 0x1
	s_load_b128 s[4:7], s[0:1], 0x10
	s_load_b32 s16, s[0:1], 0x50
	s_mov_b32 s2, ttmp9
	s_ashr_i32 s3, ttmp9, 31
	s_mov_b32 s17, 0
	s_delay_alu instid0(SALU_CYCLE_1) | instskip(SKIP_3) | instid1(SALU_CYCLE_1)
	s_mov_b32 s8, s17
	s_wait_kmcnt 0x0
	s_ashr_i32 s19, s7, 31
	s_mov_b32 s18, s7
	s_mul_u64 s[2:3], s[18:19], s[2:3]
	s_delay_alu instid0(SALU_CYCLE_1) | instskip(NEXT) | instid1(SALU_CYCLE_1)
	s_mov_b32 s9, s3
	s_cmp_lg_u64 s[8:9], 0
	s_cbranch_scc0 .LBB38_21
; %bb.1:
	s_add_nc_u64 s[8:9], s[16:17], 0
	s_mov_b32 s15, s17
	s_xor_b64 s[8:9], s[8:9], 0
	s_mov_b32 s23, s17
	s_cvt_f32_u32 s7, s8
	s_cvt_f32_u32 s10, s9
	s_sub_nc_u64 s[12:13], 0, s[8:9]
	s_delay_alu instid0(SALU_CYCLE_2) | instskip(NEXT) | instid1(SALU_CYCLE_3)
	s_fmamk_f32 s7, s10, 0x4f800000, s7
	v_s_rcp_f32 s7, s7
	s_delay_alu instid0(TRANS32_DEP_1) | instskip(SKIP_1) | instid1(SALU_CYCLE_2)
	s_mul_f32 s7, s7, 0x5f7ffffc
	s_wait_alu 0xfffe
	s_mul_f32 s10, s7, 0x2f800000
	s_delay_alu instid0(SALU_CYCLE_3) | instskip(NEXT) | instid1(SALU_CYCLE_3)
	s_trunc_f32 s10, s10
	s_fmamk_f32 s7, s10, 0xcf800000, s7
	s_cvt_u32_f32 s11, s10
	s_wait_alu 0xfffe
	s_delay_alu instid0(SALU_CYCLE_1) | instskip(NEXT) | instid1(SALU_CYCLE_3)
	s_cvt_u32_f32 s10, s7
	s_mul_u64 s[20:21], s[12:13], s[10:11]
	s_delay_alu instid0(SALU_CYCLE_1)
	s_mul_hi_u32 s25, s10, s21
	s_mul_i32 s24, s10, s21
	s_mul_hi_u32 s14, s10, s20
	s_mul_i32 s22, s11, s20
	s_add_nc_u64 s[14:15], s[14:15], s[24:25]
	s_mul_hi_u32 s7, s11, s20
	s_mul_hi_u32 s26, s11, s21
	s_add_co_u32 s14, s14, s22
	s_wait_alu 0xfffe
	s_add_co_ci_u32 s22, s15, s7
	s_mul_i32 s20, s11, s21
	s_add_co_ci_u32 s21, s26, 0
	s_delay_alu instid0(SALU_CYCLE_1)
	s_add_nc_u64 s[14:15], s[22:23], s[20:21]
	s_mov_b32 s21, s17
	s_add_co_u32 s10, s10, s14
	s_cselect_b32 s7, -1, 0
	s_wait_alu 0xfffe
	s_cmp_lg_u32 s7, 0
	s_add_co_ci_u32 s11, s11, s15
	s_mov_b32 s15, s17
	s_mul_u64 s[12:13], s[12:13], s[10:11]
	s_delay_alu instid0(SALU_CYCLE_1)
	s_mul_hi_u32 s23, s10, s13
	s_mul_i32 s22, s10, s13
	s_mul_hi_u32 s14, s10, s12
	s_mul_i32 s20, s11, s12
	s_add_nc_u64 s[14:15], s[14:15], s[22:23]
	s_mul_hi_u32 s7, s11, s12
	s_mul_hi_u32 s24, s11, s13
	s_mul_i32 s12, s11, s13
	s_add_co_u32 s13, s14, s20
	s_wait_alu 0xfffe
	s_add_co_ci_u32 s20, s15, s7
	s_add_co_ci_u32 s13, s24, 0
	s_mov_b32 s15, s17
	s_add_nc_u64 s[12:13], s[20:21], s[12:13]
	s_delay_alu instid0(SALU_CYCLE_1) | instskip(SKIP_1) | instid1(SALU_CYCLE_1)
	s_add_co_u32 s7, s10, s12
	s_cselect_b32 s10, -1, 0
	s_cmp_lg_u32 s10, 0
	s_add_co_ci_u32 s20, s11, s13
	s_ashr_i32 s10, s3, 31
	s_delay_alu instid0(SALU_CYCLE_1) | instskip(NEXT) | instid1(SALU_CYCLE_1)
	s_mov_b32 s11, s10
	s_add_nc_u64 s[12:13], s[2:3], s[10:11]
	s_delay_alu instid0(SALU_CYCLE_1) | instskip(NEXT) | instid1(SALU_CYCLE_1)
	s_xor_b64 s[12:13], s[12:13], s[10:11]
	s_mul_hi_u32 s23, s12, s20
	s_mul_i32 s22, s12, s20
	s_wait_alu 0xfffe
	s_mul_hi_u32 s14, s12, s7
	s_mul_hi_u32 s24, s13, s7
	s_mul_i32 s7, s13, s7
	s_add_nc_u64 s[14:15], s[14:15], s[22:23]
	s_mul_hi_u32 s3, s13, s20
	s_wait_alu 0xfffe
	s_add_co_u32 s7, s14, s7
	s_mul_i32 s22, s13, s20
	s_add_co_ci_u32 s20, s15, s24
	s_add_co_ci_u32 s23, s3, 0
	s_delay_alu instid0(SALU_CYCLE_1) | instskip(NEXT) | instid1(SALU_CYCLE_1)
	s_add_nc_u64 s[14:15], s[20:21], s[22:23]
	s_mul_u64 s[20:21], s[8:9], s[14:15]
	s_delay_alu instid0(SALU_CYCLE_1)
	s_sub_co_u32 s3, s12, s20
	s_cselect_b32 s7, -1, 0
	s_sub_co_i32 s12, s13, s21
	s_wait_alu 0xfffe
	s_cmp_lg_u32 s7, 0
	s_sub_co_ci_u32 s12, s12, s9
	s_sub_co_u32 s20, s3, s8
	s_cselect_b32 s22, -1, 0
	s_delay_alu instid0(SALU_CYCLE_1) | instskip(SKIP_2) | instid1(SALU_CYCLE_1)
	s_cmp_lg_u32 s22, 0
	s_add_nc_u64 s[22:23], s[14:15], 1
	s_sub_co_ci_u32 s12, s12, 0
	s_cmp_ge_u32 s12, s9
	s_cselect_b32 s24, -1, 0
	s_cmp_ge_u32 s20, s8
	s_cselect_b32 s20, -1, 0
	s_cmp_eq_u32 s12, s9
	s_cselect_b32 s12, s20, s24
	s_add_nc_u64 s[24:25], s[14:15], 2
	s_cmp_lg_u32 s12, 0
	s_cselect_b32 s12, s24, s22
	s_cselect_b32 s20, s25, s23
	s_cmp_lg_u32 s7, 0
	s_sub_co_ci_u32 s7, s13, s21
	s_wait_alu 0xfffe
	s_cmp_ge_u32 s7, s9
	s_cselect_b32 s13, -1, 0
	s_cmp_ge_u32 s3, s8
	s_cselect_b32 s3, -1, 0
	s_cmp_eq_u32 s7, s9
	s_cselect_b32 s3, s3, s13
	s_delay_alu instid0(SALU_CYCLE_1) | instskip(SKIP_4) | instid1(SALU_CYCLE_1)
	s_cmp_lg_u32 s3, 0
	s_mov_b32 s3, s17
	s_cselect_b32 s9, s20, s15
	s_cselect_b32 s8, s12, s14
	s_xor_b64 s[10:11], s[10:11], 0
	s_xor_b64 s[8:9], s[8:9], s[10:11]
	s_delay_alu instid0(SALU_CYCLE_1)
	s_sub_nc_u64 s[20:21], s[8:9], s[10:11]
	s_and_not1_b32 vcc_lo, exec_lo, s3
	s_cbranch_vccnz .LBB38_3
.LBB38_2:
	v_cvt_f32_u32_e32 v1, s16
	s_sub_co_i32 s7, 0, s16
	s_delay_alu instid0(VALU_DEP_1) | instskip(NEXT) | instid1(TRANS32_DEP_1)
	v_rcp_iflag_f32_e32 v1, v1
	v_mul_f32_e32 v1, 0x4f7ffffe, v1
	s_delay_alu instid0(VALU_DEP_1) | instskip(NEXT) | instid1(VALU_DEP_1)
	v_cvt_u32_f32_e32 v1, v1
	v_readfirstlane_b32 s3, v1
	s_wait_alu 0xfffe
	s_mul_i32 s7, s7, s3
	s_wait_alu 0xfffe
	s_mul_hi_u32 s7, s3, s7
	s_wait_alu 0xfffe
	s_add_co_i32 s3, s3, s7
	s_delay_alu instid0(SALU_CYCLE_1) | instskip(NEXT) | instid1(SALU_CYCLE_1)
	s_mul_hi_u32 s3, s2, s3
	s_mul_i32 s7, s3, s16
	s_wait_alu 0xfffe
	s_sub_co_i32 s2, s2, s7
	s_add_co_i32 s7, s3, 1
	s_sub_co_i32 s8, s2, s16
	s_cmp_ge_u32 s2, s16
	s_wait_alu 0xfffe
	s_cselect_b32 s3, s7, s3
	s_cselect_b32 s2, s8, s2
	s_add_co_i32 s7, s3, 1
	s_cmp_ge_u32 s2, s16
	s_wait_alu 0xfffe
	s_cselect_b32 s20, s7, s3
.LBB38_3:
	s_add_co_i32 s2, ttmp9, 1
	s_mov_b32 s8, 0
	s_ashr_i32 s3, s2, 31
	s_delay_alu instid0(SALU_CYCLE_1) | instskip(NEXT) | instid1(SALU_CYCLE_1)
	s_mul_u64 s[2:3], s[18:19], s[2:3]
	s_mov_b32 s9, s3
	s_delay_alu instid0(SALU_CYCLE_1)
	s_cmp_lg_u64 s[8:9], 0
	s_cbranch_scc0 .LBB38_22
; %bb.4:
	s_add_nc_u64 s[10:11], s[16:17], 0
	s_mov_b32 s23, s8
	s_xor_b64 s[10:11], s[10:11], 0
	s_mov_b32 s27, s8
	s_cvt_f32_u32 s7, s10
	s_cvt_f32_u32 s9, s11
	s_sub_nc_u64 s[14:15], 0, s[10:11]
	s_wait_alu 0xfffe
	s_delay_alu instid0(SALU_CYCLE_1) | instskip(SKIP_1) | instid1(SALU_CYCLE_2)
	s_fmamk_f32 s7, s9, 0x4f800000, s7
	s_wait_alu 0xfffe
	v_s_rcp_f32 s7, s7
	s_delay_alu instid0(TRANS32_DEP_1) | instskip(SKIP_1) | instid1(SALU_CYCLE_2)
	s_mul_f32 s7, s7, 0x5f7ffffc
	s_wait_alu 0xfffe
	s_mul_f32 s9, s7, 0x2f800000
	s_delay_alu instid0(SALU_CYCLE_3) | instskip(NEXT) | instid1(SALU_CYCLE_3)
	s_trunc_f32 s9, s9
	s_fmamk_f32 s7, s9, 0xcf800000, s7
	s_cvt_u32_f32 s13, s9
	s_wait_alu 0xfffe
	s_delay_alu instid0(SALU_CYCLE_1) | instskip(NEXT) | instid1(SALU_CYCLE_3)
	s_cvt_u32_f32 s12, s7
	s_mul_u64 s[24:25], s[14:15], s[12:13]
	s_delay_alu instid0(SALU_CYCLE_1)
	s_mul_hi_u32 s29, s12, s25
	s_mul_i32 s28, s12, s25
	s_mul_hi_u32 s22, s12, s24
	s_mul_i32 s9, s13, s24
	s_add_nc_u64 s[22:23], s[22:23], s[28:29]
	s_mul_hi_u32 s7, s13, s24
	s_mul_hi_u32 s21, s13, s25
	s_add_co_u32 s9, s22, s9
	s_wait_alu 0xfffe
	s_add_co_ci_u32 s26, s23, s7
	s_mul_i32 s24, s13, s25
	s_add_co_ci_u32 s25, s21, 0
	s_delay_alu instid0(SALU_CYCLE_1)
	s_add_nc_u64 s[22:23], s[26:27], s[24:25]
	s_mov_b32 s25, s8
	s_add_co_u32 s12, s12, s22
	s_cselect_b32 s7, -1, 0
	s_wait_alu 0xfffe
	s_cmp_lg_u32 s7, 0
	s_add_co_ci_u32 s13, s13, s23
	s_mov_b32 s23, s8
	s_mul_u64 s[14:15], s[14:15], s[12:13]
	s_delay_alu instid0(SALU_CYCLE_1)
	s_mul_hi_u32 s27, s12, s15
	s_mul_i32 s26, s12, s15
	s_mul_hi_u32 s22, s12, s14
	s_mul_i32 s9, s13, s14
	s_add_nc_u64 s[22:23], s[22:23], s[26:27]
	s_mul_hi_u32 s7, s13, s14
	s_mul_hi_u32 s21, s13, s15
	s_add_co_u32 s9, s22, s9
	s_wait_alu 0xfffe
	s_add_co_ci_u32 s24, s23, s7
	s_mul_i32 s14, s13, s15
	s_add_co_ci_u32 s15, s21, 0
	s_mov_b32 s23, s8
	s_add_nc_u64 s[14:15], s[24:25], s[14:15]
	s_delay_alu instid0(SALU_CYCLE_1) | instskip(SKIP_1) | instid1(SALU_CYCLE_1)
	s_add_co_u32 s7, s12, s14
	s_cselect_b32 s9, -1, 0
	s_cmp_lg_u32 s9, 0
	s_add_co_ci_u32 s9, s13, s15
	s_ashr_i32 s12, s3, 31
	s_delay_alu instid0(SALU_CYCLE_1) | instskip(NEXT) | instid1(SALU_CYCLE_1)
	s_mov_b32 s13, s12
	s_add_nc_u64 s[14:15], s[2:3], s[12:13]
	s_delay_alu instid0(SALU_CYCLE_1) | instskip(NEXT) | instid1(SALU_CYCLE_1)
	s_xor_b64 s[14:15], s[14:15], s[12:13]
	s_mul_hi_u32 s27, s14, s9
	s_mul_i32 s26, s14, s9
	s_wait_alu 0xfffe
	s_mul_hi_u32 s22, s14, s7
	s_mul_hi_u32 s21, s15, s7
	s_mul_i32 s7, s15, s7
	s_add_nc_u64 s[22:23], s[22:23], s[26:27]
	s_mul_hi_u32 s3, s15, s9
	s_wait_alu 0xfffe
	s_add_co_u32 s7, s22, s7
	s_add_co_ci_u32 s24, s23, s21
	s_mul_i32 s26, s15, s9
	s_add_co_ci_u32 s27, s3, 0
	s_delay_alu instid0(SALU_CYCLE_1) | instskip(NEXT) | instid1(SALU_CYCLE_1)
	s_add_nc_u64 s[22:23], s[24:25], s[26:27]
	s_mul_u64 s[24:25], s[10:11], s[22:23]
	s_add_nc_u64 s[26:27], s[22:23], 1
	s_sub_co_u32 s3, s14, s24
	s_cselect_b32 s7, -1, 0
	s_sub_co_i32 s9, s15, s25
	s_wait_alu 0xfffe
	s_cmp_lg_u32 s7, 0
	s_add_nc_u64 s[28:29], s[22:23], 2
	s_sub_co_ci_u32 s9, s9, s11
	s_sub_co_u32 s14, s3, s10
	s_cselect_b32 s21, -1, 0
	s_delay_alu instid0(SALU_CYCLE_1) | instskip(SKIP_1) | instid1(SALU_CYCLE_1)
	s_cmp_lg_u32 s21, 0
	s_sub_co_ci_u32 s9, s9, 0
	s_cmp_ge_u32 s9, s11
	s_cselect_b32 s21, -1, 0
	s_cmp_ge_u32 s14, s10
	s_cselect_b32 s14, -1, 0
	s_cmp_eq_u32 s9, s11
	s_cselect_b32 s9, s14, s21
	s_delay_alu instid0(SALU_CYCLE_1)
	s_cmp_lg_u32 s9, 0
	s_cselect_b32 s9, s28, s26
	s_cselect_b32 s14, s29, s27
	s_cmp_lg_u32 s7, 0
	s_sub_co_ci_u32 s7, s15, s25
	s_wait_alu 0xfffe
	s_cmp_ge_u32 s7, s11
	s_cselect_b32 s15, -1, 0
	s_cmp_ge_u32 s3, s10
	s_cselect_b32 s3, -1, 0
	s_cmp_eq_u32 s7, s11
	s_cselect_b32 s3, s3, s15
	s_delay_alu instid0(SALU_CYCLE_1) | instskip(SKIP_3) | instid1(SALU_CYCLE_1)
	s_cmp_lg_u32 s3, 0
	s_cselect_b32 s11, s14, s23
	s_cselect_b32 s10, s9, s22
	s_xor_b64 s[12:13], s[12:13], 0
	s_xor_b64 s[10:11], s[10:11], s[12:13]
	s_delay_alu instid0(SALU_CYCLE_1)
	s_sub_nc_u64 s[10:11], s[10:11], s[12:13]
	s_load_b96 s[12:14], s[0:1], 0x44
	s_and_not1_b32 vcc_lo, exec_lo, s8
	s_cbranch_vccnz .LBB38_6
.LBB38_5:
	v_cvt_f32_u32_e32 v1, s16
	s_sub_co_i32 s7, 0, s16
	s_delay_alu instid0(VALU_DEP_1) | instskip(NEXT) | instid1(TRANS32_DEP_1)
	v_rcp_iflag_f32_e32 v1, v1
	v_mul_f32_e32 v1, 0x4f7ffffe, v1
	s_delay_alu instid0(VALU_DEP_1) | instskip(NEXT) | instid1(VALU_DEP_1)
	v_cvt_u32_f32_e32 v1, v1
	v_readfirstlane_b32 s3, v1
	s_wait_alu 0xfffe
	s_mul_i32 s7, s7, s3
	s_wait_alu 0xfffe
	s_mul_hi_u32 s7, s3, s7
	s_wait_alu 0xfffe
	s_add_co_i32 s3, s3, s7
	s_delay_alu instid0(SALU_CYCLE_1) | instskip(NEXT) | instid1(SALU_CYCLE_1)
	s_mul_hi_u32 s3, s2, s3
	s_mul_i32 s7, s3, s16
	s_wait_alu 0xfffe
	s_sub_co_i32 s2, s2, s7
	s_add_co_i32 s7, s3, 1
	s_sub_co_i32 s8, s2, s16
	s_cmp_ge_u32 s2, s16
	s_wait_alu 0xfffe
	s_cselect_b32 s3, s7, s3
	s_cselect_b32 s2, s8, s2
	s_add_co_i32 s7, s3, 1
	s_cmp_ge_u32 s2, s16
	s_wait_alu 0xfffe
	s_cselect_b32 s10, s7, s3
.LBB38_6:
	s_mov_b32 s21, 0
	s_wait_kmcnt 0x0
	s_mov_b32 s22, s12
	s_mov_b32 s23, s21
	s_cmp_eq_u32 s20, s10
	s_mul_u64 s[2:3], s[20:21], s[22:23]
	s_cselect_b32 s7, -1, 0
	s_add_co_i32 s2, s3, s20
	s_mov_b32 s11, s21
	s_lshr_b32 s12, s2, s13
	s_mul_u64 s[2:3], s[10:11], s[22:23]
	s_mul_i32 s2, s12, s14
	s_delay_alu instid0(SALU_CYCLE_1) | instskip(SKIP_2) | instid1(SALU_CYCLE_1)
	s_cmp_eq_u32 s2, s20
	s_cselect_b32 s2, -1, 0
	s_add_co_i32 s3, s3, s10
	s_lshr_b32 s3, s3, s13
	s_delay_alu instid0(SALU_CYCLE_1)
	s_cmp_eq_u32 s12, s3
	s_mul_i32 s3, s3, s14
	s_cselect_b32 s8, -1, 0
	s_cmp_lg_u32 s3, s10
	s_cselect_b32 s3, -1, 0
	s_wait_alu 0xfffe
	s_or_b32 s2, s7, s2
	s_and_b32 s3, s8, s3
	s_delay_alu instid0(SALU_CYCLE_1) | instskip(NEXT) | instid1(SALU_CYCLE_1)
	s_or_b32 s2, s2, s3
	s_and_b32 vcc_lo, exec_lo, s2
	s_cbranch_vccnz .LBB38_24
; %bb.7:
	s_load_b256 s[24:31], s[0:1], 0x20
	s_mov_b32 s3, s21
	s_wait_kmcnt 0x0
	s_mov_b32 s2, s24
	s_delay_alu instid0(SALU_CYCLE_1) | instskip(NEXT) | instid1(SALU_CYCLE_1)
	s_mul_u64 s[2:3], s[20:21], s[2:3]
	s_add_co_i32 s2, s3, s20
	s_delay_alu instid0(SALU_CYCLE_1) | instskip(SKIP_2) | instid1(SALU_CYCLE_1)
	s_lshr_b32 s7, s2, s25
	s_load_b32 s2, s[0:1], 0x40
	s_mul_i32 s3, s7, s26
	s_sub_co_i32 s3, s20, s3
	s_delay_alu instid0(SALU_CYCLE_1) | instskip(NEXT) | instid1(SALU_CYCLE_1)
	s_mul_hi_u32 s8, s3, s27
	s_add_co_i32 s8, s3, s8
	s_delay_alu instid0(SALU_CYCLE_1) | instskip(NEXT) | instid1(SALU_CYCLE_1)
	s_lshr_b32 s8, s8, s28
	s_mul_i32 s9, s8, s29
	s_delay_alu instid0(SALU_CYCLE_1) | instskip(NEXT) | instid1(SALU_CYCLE_1)
	s_sub_co_i32 s9, s3, s9
	s_mul_hi_u32 s3, s9, s30
	s_delay_alu instid0(SALU_CYCLE_1) | instskip(NEXT) | instid1(SALU_CYCLE_1)
	s_add_co_i32 s3, s9, s3
	s_lshr_b32 s24, s3, s31
	s_mov_b32 s3, s21
	s_wait_kmcnt 0x0
	s_mul_i32 s2, s24, s2
	s_lshl_b32 s21, s24, 1
	s_sub_co_i32 s2, s9, s2
	s_delay_alu instid0(SALU_CYCLE_1) | instskip(SKIP_2) | instid1(SALU_CYCLE_1)
	s_mul_u64 s[10:11], s[2:3], s[22:23]
	s_lshr_b32 s3, ttmp7, 16
	s_add_co_i32 s2, s2, s11
	s_lshr_b32 s15, s2, s13
	s_and_b32 s2, ttmp7, 0xffff
	s_lshl_b32 s9, s15, 1
	s_delay_alu instid0(SALU_CYCLE_1) | instskip(NEXT) | instid1(SALU_CYCLE_1)
	s_add_co_i32 s9, s9, s2
	s_cmp_lt_i32 s9, s4
	s_cselect_b32 s9, -1, 0
	s_add_co_i32 s10, s21, s3
	s_delay_alu instid0(SALU_CYCLE_1) | instskip(SKIP_1) | instid1(SALU_CYCLE_1)
	s_cmp_lt_i32 s10, s6
	s_cselect_b32 s10, -1, 0
	s_and_b32 s9, s9, s10
	s_delay_alu instid0(SALU_CYCLE_1)
	s_and_not1_b32 vcc_lo, exec_lo, s9
	s_cbranch_vccnz .LBB38_24
; %bb.8:
	s_mul_i32 s4, s7, s4
	s_mul_i32 s6, s8, s6
	s_add_co_i32 s4, s4, s2
	s_load_b128 s[8:11], s[0:1], 0x0
	s_mul_i32 s4, s4, s5
	s_mul_i32 s1, s5, s15
	s_add_co_i32 s4, s4, s3
	s_lshl_b32 s1, s1, 9
	s_add_co_i32 s0, s4, s6
	s_lshl_b32 s15, s2, 1
	s_add_co_i32 s0, s0, s21
	s_add_co_i32 s15, s15, s3
	s_lshl_b32 s0, s0, 8
	v_cvt_f32_u32_e32 v4, s16
	s_add_co_i32 s1, s1, s0
	s_add_co_i32 s34, ttmp9, -1
	v_or_b32_e32 v1, s1, v0
	s_add_nc_u64 s[0:1], s[16:17], 0
	v_rcp_iflag_f32_e32 v4, v4
	s_wait_alu 0xfffe
	s_xor_b64 s[6:7], s[0:1], 0
	s_lshl_b32 s0, ttmp9, 2
	v_ashrrev_i32_e32 v2, 31, v1
	s_wait_alu 0xfffe
	s_cvt_f32_u32 s1, s6
	s_cvt_f32_u32 s2, s7
	s_add_co_i32 s0, s15, s0
	v_lshl_or_b32 v0, s15, 8, v0
	v_lshlrev_b64_e32 v[1:2], 2, v[1:2]
	s_wait_alu 0xfffe
	s_fmamk_f32 s2, s2, 0x4f800000, s1
	s_ashr_i32 s1, s0, 31
	s_sub_nc_u64 s[30:31], 0, s[6:7]
	s_wait_alu 0xfffe
	s_lshl_b64 s[0:1], s[0:1], 3
	v_s_rcp_f32 s2, s2
	s_wait_kmcnt 0x0
	v_add_co_u32 v1, vcc_lo, s8, v1
	s_delay_alu instid0(VALU_DEP_1)
	v_add_co_ci_u32_e64 v2, null, s9, v2, vcc_lo
	s_wait_alu 0xfffe
	s_add_nc_u64 s[0:1], s[10:11], s[0:1]
	s_mov_b32 s8, 0
	s_load_b64 s[26:27], s[0:1], 0x0
	global_load_b32 v3, v[1:2], off
	s_mul_f32 s2, s2, 0x5f7ffffc
	v_mul_f32_e32 v4, 0x4f7ffffe, v4
	s_lshl_b32 s0, s16, 4
	s_wait_alu 0xfffe
	s_mul_f32 s1, s2, 0x2f800000
	s_wait_alu 0xfffe
	s_delay_alu instid0(SALU_CYCLE_2)
	s_trunc_f32 s3, s1
	s_mov_b32 s1, s8
	s_wait_alu 0xfffe
	s_lshl_b64 s[0:1], s[0:1], 2
	s_fmamk_f32 s2, s3, 0xcf800000, s2
	s_cvt_u32_f32 s29, s3
	s_wait_alu 0xfffe
	s_add_nc_u64 s[24:25], s[10:11], s[0:1]
	s_cvt_u32_f32 s28, s2
	s_wait_kmcnt 0x0
	v_mov_b32_e32 v5, s27
	v_cvt_u32_f32_e32 v4, v4
.LBB38_9:                               ; =>This Inner Loop Header: Depth=1
	s_wait_alu 0xfffe
	s_ashr_i32 s35, s34, 31
	s_mov_b32 s2, -1
	s_wait_alu 0xfffe
	s_mul_u64 s[0:1], s[34:35], s[18:19]
                                        ; implicit-def: $sgpr38_sgpr39
	s_wait_alu 0xfffe
	s_mov_b32 s9, s1
	s_wait_alu 0xfffe
	s_cmp_lg_u64 s[8:9], 0
	s_cbranch_scc0 .LBB38_11
; %bb.10:                               ;   in Loop: Header=BB38_9 Depth=1
	s_mul_u64 s[2:3], s[30:31], s[28:29]
	s_mov_b32 s37, s8
	s_wait_alu 0xfffe
	s_mul_hi_u32 s5, s28, s3
	s_mul_i32 s4, s28, s3
	s_mul_hi_u32 s36, s28, s2
	s_mul_hi_u32 s9, s29, s2
	s_wait_alu 0xfffe
	s_add_nc_u64 s[4:5], s[36:37], s[4:5]
	s_mul_i32 s2, s29, s2
	s_mul_hi_u32 s17, s29, s3
	s_wait_alu 0xfffe
	s_add_co_u32 s2, s4, s2
	s_add_co_ci_u32 s2, s5, s9
	s_add_co_ci_u32 s5, s17, 0
	s_mul_i32 s4, s29, s3
	s_mov_b32 s3, s8
	s_mov_b32 s39, s8
	s_wait_alu 0xfffe
	s_add_nc_u64 s[2:3], s[2:3], s[4:5]
	s_wait_alu 0xfffe
	s_add_co_u32 s2, s28, s2
	s_cselect_b32 s4, -1, 0
	s_wait_alu 0xfffe
	s_cmp_lg_u32 s4, 0
	s_add_co_ci_u32 s3, s29, s3
	s_wait_alu 0xfffe
	s_mul_u64 s[4:5], s[30:31], s[2:3]
	s_wait_alu 0xfffe
	s_mul_hi_u32 s37, s2, s5
	s_mul_i32 s36, s2, s5
	s_mul_hi_u32 s38, s2, s4
	s_mul_hi_u32 s9, s3, s4
	s_mul_i32 s4, s3, s4
	s_wait_alu 0xfffe
	s_add_nc_u64 s[36:37], s[38:39], s[36:37]
	s_mul_hi_u32 s17, s3, s5
	s_wait_alu 0xfffe
	s_add_co_u32 s4, s36, s4
	s_add_co_ci_u32 s4, s37, s9
	s_add_co_ci_u32 s37, s17, 0
	s_mul_i32 s36, s3, s5
	s_mov_b32 s5, s8
	s_wait_alu 0xfffe
	s_add_nc_u64 s[4:5], s[4:5], s[36:37]
	s_mov_b32 s37, s8
	s_wait_alu 0xfffe
	s_add_co_u32 s9, s2, s4
	s_cselect_b32 s2, -1, 0
	s_wait_alu 0xfffe
	s_cmp_lg_u32 s2, 0
	s_add_co_ci_u32 s17, s3, s5
	s_ashr_i32 s2, s1, 31
	s_wait_alu 0xfffe
	s_mov_b32 s3, s2
	s_wait_alu 0xfffe
	s_add_nc_u64 s[4:5], s[0:1], s[2:3]
	s_wait_alu 0xfffe
	s_xor_b64 s[4:5], s[4:5], s[2:3]
	s_wait_alu 0xfffe
	s_mul_hi_u32 s39, s4, s17
	s_mul_i32 s38, s4, s17
	s_mul_hi_u32 s36, s4, s9
	s_mul_i32 s21, s5, s9
	s_wait_alu 0xfffe
	s_add_nc_u64 s[36:37], s[36:37], s[38:39]
	s_mul_hi_u32 s9, s5, s9
	s_mul_hi_u32 s1, s5, s17
	s_wait_alu 0xfffe
	s_add_co_u32 s21, s36, s21
	s_add_co_ci_u32 s36, s37, s9
	s_add_co_ci_u32 s39, s1, 0
	s_mul_i32 s38, s5, s17
	s_mov_b32 s37, s8
	s_wait_alu 0xfffe
	s_add_nc_u64 s[36:37], s[36:37], s[38:39]
	s_wait_alu 0xfffe
	s_mul_u64 s[38:39], s[6:7], s[36:37]
	s_add_nc_u64 s[40:41], s[36:37], 1
	s_sub_co_u32 s1, s4, s38
	s_cselect_b32 s4, -1, 0
	s_sub_co_i32 s9, s5, s39
	s_wait_alu 0xfffe
	s_cmp_lg_u32 s4, 0
	s_add_nc_u64 s[42:43], s[36:37], 2
	s_sub_co_ci_u32 s9, s9, s7
	s_sub_co_u32 s17, s1, s6
	s_cselect_b32 s21, -1, 0
	s_delay_alu instid0(SALU_CYCLE_1)
	s_cmp_lg_u32 s21, 0
	s_wait_alu 0xfffe
	s_sub_co_ci_u32 s9, s9, 0
	s_wait_alu 0xfffe
	s_cmp_ge_u32 s9, s7
	s_cselect_b32 s21, -1, 0
	s_cmp_ge_u32 s17, s6
	s_cselect_b32 s17, -1, 0
	s_cmp_eq_u32 s9, s7
	s_wait_alu 0xfffe
	s_cselect_b32 s9, s17, s21
	s_wait_alu 0xfffe
	s_cmp_lg_u32 s9, 0
	s_cselect_b32 s9, s42, s40
	s_cselect_b32 s17, s43, s41
	s_cmp_lg_u32 s4, 0
	s_sub_co_ci_u32 s4, s5, s39
	s_wait_alu 0xfffe
	s_cmp_ge_u32 s4, s7
	s_cselect_b32 s5, -1, 0
	s_cmp_ge_u32 s1, s6
	s_cselect_b32 s1, -1, 0
	s_cmp_eq_u32 s4, s7
	s_wait_alu 0xfffe
	s_cselect_b32 s1, s1, s5
	s_wait_alu 0xfffe
	s_cmp_lg_u32 s1, 0
	s_cselect_b32 s5, s17, s37
	s_cselect_b32 s4, s9, s36
	s_xor_b64 s[2:3], s[2:3], 0
	s_wait_alu 0xfffe
	s_xor_b64 s[4:5], s[4:5], s[2:3]
	s_wait_alu 0xfffe
	s_sub_nc_u64 s[38:39], s[4:5], s[2:3]
	s_mov_b32 s2, 0
.LBB38_11:                              ;   in Loop: Header=BB38_9 Depth=1
	s_wait_alu 0xfffe
	s_and_not1_b32 vcc_lo, exec_lo, s2
	s_wait_alu 0xfffe
	s_cbranch_vccnz .LBB38_13
; %bb.12:                               ;   in Loop: Header=BB38_9 Depth=1
	v_readfirstlane_b32 s1, v4
	s_sub_co_i32 s2, 0, s16
	s_wait_alu 0xfffe
	s_mul_i32 s2, s2, s1
	s_wait_alu 0xfffe
	s_mul_hi_u32 s2, s1, s2
	s_wait_alu 0xfffe
	s_add_co_i32 s1, s1, s2
	s_wait_alu 0xfffe
	s_mul_hi_u32 s1, s0, s1
	s_wait_alu 0xfffe
	s_mul_i32 s2, s1, s16
	s_wait_alu 0xfffe
	s_sub_co_i32 s0, s0, s2
	s_add_co_i32 s2, s1, 1
	s_wait_alu 0xfffe
	s_sub_co_i32 s3, s0, s16
	s_cmp_ge_u32 s0, s16
	s_cselect_b32 s1, s2, s1
	s_wait_alu 0xfffe
	s_cselect_b32 s0, s3, s0
	s_add_co_i32 s2, s1, 1
	s_wait_alu 0xfffe
	s_cmp_ge_u32 s0, s16
	s_cselect_b32 s38, s2, s1
.LBB38_13:                              ;   in Loop: Header=BB38_9 Depth=1
	v_readfirstlane_b32 s9, v0
	s_cmp_lg_u32 s20, s38
	s_mov_b32 s0, -1
                                        ; implicit-def: $sgpr21
                                        ; implicit-def: $vgpr6
                                        ; implicit-def: $vgpr7
                                        ; implicit-def: $sgpr17
                                        ; implicit-def: $sgpr27
	s_cbranch_scc1 .LBB38_16
; %bb.14:                               ;   in Loop: Header=BB38_9 Depth=1
	s_wait_alu 0xfffe
	s_and_not1_b32 vcc_lo, exec_lo, s0
	s_wait_alu 0xfffe
	s_cbranch_vccz .LBB38_19
.LBB38_15:                              ;   in Loop: Header=BB38_9 Depth=1
	s_and_not1_b32 vcc_lo, exec_lo, s21
	s_wait_alu 0xfffe
	s_cbranch_vccnz .LBB38_20
	s_branch .LBB38_23
.LBB38_16:                              ;   in Loop: Header=BB38_9 Depth=1
	s_add_co_i32 s0, s34, s16
	s_mov_b32 s1, s8
	s_wait_alu 0xfffe
	s_lshl_b32 s0, s0, 2
	v_max_num_f32_e64 v6, s26, s26
	s_wait_alu 0xfffe
	s_add_co_i32 s0, s0, s15
	s_mov_b32 s39, s8
	s_wait_alu 0xfffe
	s_lshl_b64 s[0:1], s[0:1], 3
	s_mul_u64 s[40:41], s[38:39], s[22:23]
	s_wait_alu 0xfffe
	s_add_nc_u64 s[0:1], s[10:11], s[0:1]
	s_mov_b32 s27, s20
	s_load_b64 s[36:37], s[0:1], 0x0
	v_readfirstlane_b32 s0, v6
	s_wait_kmcnt 0x0
	v_max_num_f32_e64 v7, s36, s36
	s_delay_alu instid0(VALU_DEP_1) | instskip(SKIP_2) | instid1(SALU_CYCLE_2)
	v_readfirstlane_b32 s1, v7
	s_max_num_f32 s9, s0, s1
	s_wait_alu 0xfffe
	s_sub_f32 s33, s26, s9
	s_sub_f32 s35, s36, s9
	s_wait_alu 0xfffe
	s_delay_alu instid0(SALU_CYCLE_1)
	s_cmp_nlt_f32 s33, 0xc2ce8ed0
	s_cselect_b32 s0, -1, 0
	s_cmp_ngt_f32 s33, 0x42b17218
	s_cselect_b32 s1, -1, 0
	s_cmp_ge_f32 s33, 0xc1a00000
	s_cselect_b32 s2, -1, 0
	s_cmp_nlt_f32 s35, 0xc2ce8ed0
	s_cselect_b32 s3, -1, 0
	s_cmp_ngt_f32 s35, 0x42b17218
	s_cselect_b32 s4, -1, 0
	s_cmp_ge_f32 s35, 0xc1a00000
	s_cselect_b32 s5, -1, 0
	s_add_co_i32 s17, s41, s38
	s_wait_alu 0xfffe
	s_lshr_b32 s17, s17, s13
	s_wait_alu 0xfffe
	s_mul_i32 s21, s17, s14
	s_delay_alu instid0(SALU_CYCLE_1)
	s_cmp_eq_u32 s21, s38
	s_cselect_b32 s21, -1, 0
	s_cmp_lt_u32 s17, s12
	s_cselect_b32 s17, -1, 0
	s_wait_alu 0xfffe
	s_or_b32 s17, s17, s21
	s_mov_b32 s21, -1
	s_wait_alu 0xfffe
	s_and_b32 vcc_lo, exec_lo, s17
	s_mov_b32 s17, s34
	s_wait_alu 0xfffe
	s_cbranch_vccnz .LBB38_18
; %bb.17:                               ;   in Loop: Header=BB38_9 Depth=1
	s_add_co_i32 s17, s34, -1
	s_mov_b32 s21, 0
	s_mov_b32 s27, s38
.LBB38_18:                              ;   in Loop: Header=BB38_9 Depth=1
	v_lshl_add_u32 v6, s34, 10, v0
	s_mul_f32 s36, s35, 0x3fb8aa3b
	s_mul_f32 s38, s33, 0x3fb8aa3b
	s_wait_alu 0xfffe
	s_delay_alu instid0(SALU_CYCLE_1)
	s_xor_b32 s39, s36, 0x80000000
	v_ashrrev_i32_e32 v7, 31, v6
	s_rndne_f32 s40, s36
	s_fmamk_f32 s39, s35, 0x3fb8aa3b, s39
	s_xor_b32 s41, s38, 0x80000000
	s_rndne_f32 s42, s38
	v_lshlrev_b64_e32 v[6:7], 2, v[6:7]
	s_sub_f32 s36, s36, s40
	s_fmamk_f32 s35, s35, 0x32a5705f, s39
	s_fmamk_f32 s39, s33, 0x3fb8aa3b, s41
	s_sub_f32 s38, s38, s42
	s_delay_alu instid0(VALU_DEP_1)
	v_add_co_u32 v6, vcc_lo, s24, v6
	s_wait_alu 0xfffd
	v_add_co_ci_u32_e64 v7, null, s25, v7, vcc_lo
	s_wait_alu 0xfffe
	s_add_f32 s35, s36, s35
	s_fmamk_f32 s33, s33, 0x32a5705f, s39
	s_cvt_i32_f32 s36, s40
	global_load_b32 v6, v[6:7], off
	s_wait_alu 0xfffe
	v_s_exp_f32 s35, s35
	s_add_f32 s33, s38, s33
	s_wait_alu 0xfffe
	s_delay_alu instid0(SALU_CYCLE_2) | instskip(NEXT) | instid1(TRANS32_DEP_2)
	v_s_exp_f32 s33, s33
	v_ldexp_f32 v7, s35, s36
	s_cvt_i32_f32 s35, s42
	s_wait_alu 0xf1fe
	s_delay_alu instid0(TRANS32_DEP_1) | instid1(SALU_CYCLE_2)
	v_ldexp_f32 v8, s33, s35
	s_delay_alu instid0(VALU_DEP_2) | instskip(NEXT) | instid1(VALU_DEP_2)
	v_cndmask_b32_e64 v7, 0, v7, s3
	v_cndmask_b32_e64 v8, 0, v8, s0
	s_delay_alu instid0(VALU_DEP_2) | instskip(NEXT) | instid1(VALU_DEP_2)
	v_cndmask_b32_e64 v7, 0x7f800000, v7, s4
	v_cndmask_b32_e64 v8, 0x7f800000, v8, s1
	;; [unrolled: 3-line block ×3, first 2 shown]
	s_wait_loadcnt 0x0
	s_delay_alu instid0(VALU_DEP_2) | instskip(SKIP_1) | instid1(VALU_DEP_1)
	v_mul_f32_e32 v6, v6, v7
	v_mul_f32_e32 v7, s37, v7
	v_fmac_f32_e32 v7, v5, v8
	s_delay_alu instid0(VALU_DEP_3)
	v_fmac_f32_e32 v6, v3, v8
	s_cbranch_execnz .LBB38_15
.LBB38_19:                              ;   in Loop: Header=BB38_9 Depth=1
	s_wait_loadcnt 0x0
	v_dual_mov_b32 v7, v5 :: v_dual_mov_b32 v6, v3
	s_add_co_i32 s17, s34, -1
	s_mov_b32 s27, s20
	s_mov_b32 s9, s26
	s_cbranch_execz .LBB38_23
.LBB38_20:                              ;   in Loop: Header=BB38_9 Depth=1
	v_mov_b32_e32 v5, v7
	s_wait_loadcnt 0x0
	v_mov_b32_e32 v3, v6
	s_wait_alu 0xfffe
	s_mov_b32 s20, s27
	s_mov_b32 s34, s17
	;; [unrolled: 1-line block ×3, first 2 shown]
	s_branch .LBB38_9
.LBB38_21:
                                        ; implicit-def: $sgpr20_sgpr21
	s_branch .LBB38_2
.LBB38_22:
                                        ; implicit-def: $sgpr10_sgpr11
	s_load_b96 s[12:14], s[0:1], 0x44
	s_branch .LBB38_5
.LBB38_23:
	v_div_scale_f32 v0, null, v7, v7, v6
	s_wait_loadcnt 0x0
	s_delay_alu instid0(VALU_DEP_1) | instskip(NEXT) | instid1(TRANS32_DEP_1)
	v_rcp_f32_e32 v3, v0
	v_fma_f32 v4, -v0, v3, 1.0
	s_delay_alu instid0(VALU_DEP_1) | instskip(SKIP_1) | instid1(VALU_DEP_1)
	v_fmac_f32_e32 v3, v4, v3
	v_div_scale_f32 v4, vcc_lo, v6, v7, v6
	v_mul_f32_e32 v5, v4, v3
	s_delay_alu instid0(VALU_DEP_1) | instskip(NEXT) | instid1(VALU_DEP_1)
	v_fma_f32 v8, -v0, v5, v4
	v_fmac_f32_e32 v5, v8, v3
	s_delay_alu instid0(VALU_DEP_1) | instskip(SKIP_1) | instid1(VALU_DEP_1)
	v_fma_f32 v0, -v0, v5, v4
	s_wait_alu 0xfffd
	v_div_fmas_f32 v0, v0, v3, v5
	s_delay_alu instid0(VALU_DEP_1)
	v_div_fixup_f32 v0, v0, v7, v6
	global_store_b32 v[1:2], v0, off
.LBB38_24:
	s_endpgm
	.section	.rodata,"a",@progbits
	.p2align	6, 0x0
	.amdhsa_kernel _ZL33flash_attn_stream_k_fixup_generalILi256ELi2ELi2EEvPfPK15HIP_vector_typeIfLj2EEiiiiS1_IjLj3EES5_S5_S5_
		.amdhsa_group_segment_fixed_size 0
		.amdhsa_private_segment_fixed_size 0
		.amdhsa_kernarg_size 336
		.amdhsa_user_sgpr_count 2
		.amdhsa_user_sgpr_dispatch_ptr 0
		.amdhsa_user_sgpr_queue_ptr 0
		.amdhsa_user_sgpr_kernarg_segment_ptr 1
		.amdhsa_user_sgpr_dispatch_id 0
		.amdhsa_user_sgpr_private_segment_size 0
		.amdhsa_wavefront_size32 1
		.amdhsa_uses_dynamic_stack 0
		.amdhsa_enable_private_segment 0
		.amdhsa_system_sgpr_workgroup_id_x 1
		.amdhsa_system_sgpr_workgroup_id_y 1
		.amdhsa_system_sgpr_workgroup_id_z 1
		.amdhsa_system_sgpr_workgroup_info 0
		.amdhsa_system_vgpr_workitem_id 0
		.amdhsa_next_free_vgpr 9
		.amdhsa_next_free_sgpr 44
		.amdhsa_reserve_vcc 1
		.amdhsa_float_round_mode_32 0
		.amdhsa_float_round_mode_16_64 0
		.amdhsa_float_denorm_mode_32 3
		.amdhsa_float_denorm_mode_16_64 3
		.amdhsa_fp16_overflow 0
		.amdhsa_workgroup_processor_mode 1
		.amdhsa_memory_ordered 1
		.amdhsa_forward_progress 1
		.amdhsa_inst_pref_size 28
		.amdhsa_round_robin_scheduling 0
		.amdhsa_exception_fp_ieee_invalid_op 0
		.amdhsa_exception_fp_denorm_src 0
		.amdhsa_exception_fp_ieee_div_zero 0
		.amdhsa_exception_fp_ieee_overflow 0
		.amdhsa_exception_fp_ieee_underflow 0
		.amdhsa_exception_fp_ieee_inexact 0
		.amdhsa_exception_int_div_zero 0
	.end_amdhsa_kernel
	.section	.text._ZL33flash_attn_stream_k_fixup_generalILi256ELi2ELi2EEvPfPK15HIP_vector_typeIfLj2EEiiiiS1_IjLj3EES5_S5_S5_,"axG",@progbits,_ZL33flash_attn_stream_k_fixup_generalILi256ELi2ELi2EEvPfPK15HIP_vector_typeIfLj2EEiiiiS1_IjLj3EES5_S5_S5_,comdat
.Lfunc_end38:
	.size	_ZL33flash_attn_stream_k_fixup_generalILi256ELi2ELi2EEvPfPK15HIP_vector_typeIfLj2EEiiiiS1_IjLj3EES5_S5_S5_, .Lfunc_end38-_ZL33flash_attn_stream_k_fixup_generalILi256ELi2ELi2EEvPfPK15HIP_vector_typeIfLj2EEiiiiS1_IjLj3EES5_S5_S5_
                                        ; -- End function
	.set _ZL33flash_attn_stream_k_fixup_generalILi256ELi2ELi2EEvPfPK15HIP_vector_typeIfLj2EEiiiiS1_IjLj3EES5_S5_S5_.num_vgpr, 9
	.set _ZL33flash_attn_stream_k_fixup_generalILi256ELi2ELi2EEvPfPK15HIP_vector_typeIfLj2EEiiiiS1_IjLj3EES5_S5_S5_.num_agpr, 0
	.set _ZL33flash_attn_stream_k_fixup_generalILi256ELi2ELi2EEvPfPK15HIP_vector_typeIfLj2EEiiiiS1_IjLj3EES5_S5_S5_.numbered_sgpr, 44
	.set _ZL33flash_attn_stream_k_fixup_generalILi256ELi2ELi2EEvPfPK15HIP_vector_typeIfLj2EEiiiiS1_IjLj3EES5_S5_S5_.num_named_barrier, 0
	.set _ZL33flash_attn_stream_k_fixup_generalILi256ELi2ELi2EEvPfPK15HIP_vector_typeIfLj2EEiiiiS1_IjLj3EES5_S5_S5_.private_seg_size, 0
	.set _ZL33flash_attn_stream_k_fixup_generalILi256ELi2ELi2EEvPfPK15HIP_vector_typeIfLj2EEiiiiS1_IjLj3EES5_S5_S5_.uses_vcc, 1
	.set _ZL33flash_attn_stream_k_fixup_generalILi256ELi2ELi2EEvPfPK15HIP_vector_typeIfLj2EEiiiiS1_IjLj3EES5_S5_S5_.uses_flat_scratch, 0
	.set _ZL33flash_attn_stream_k_fixup_generalILi256ELi2ELi2EEvPfPK15HIP_vector_typeIfLj2EEiiiiS1_IjLj3EES5_S5_S5_.has_dyn_sized_stack, 0
	.set _ZL33flash_attn_stream_k_fixup_generalILi256ELi2ELi2EEvPfPK15HIP_vector_typeIfLj2EEiiiiS1_IjLj3EES5_S5_S5_.has_recursion, 0
	.set _ZL33flash_attn_stream_k_fixup_generalILi256ELi2ELi2EEvPfPK15HIP_vector_typeIfLj2EEiiiiS1_IjLj3EES5_S5_S5_.has_indirect_call, 0
	.section	.AMDGPU.csdata,"",@progbits
; Kernel info:
; codeLenInByte = 3548
; TotalNumSgprs: 46
; NumVgprs: 9
; ScratchSize: 0
; MemoryBound: 0
; FloatMode: 240
; IeeeMode: 1
; LDSByteSize: 0 bytes/workgroup (compile time only)
; SGPRBlocks: 0
; VGPRBlocks: 1
; NumSGPRsForWavesPerEU: 46
; NumVGPRsForWavesPerEU: 9
; Occupancy: 16
; WaveLimiterHint : 0
; COMPUTE_PGM_RSRC2:SCRATCH_EN: 0
; COMPUTE_PGM_RSRC2:USER_SGPR: 2
; COMPUTE_PGM_RSRC2:TRAP_HANDLER: 0
; COMPUTE_PGM_RSRC2:TGID_X_EN: 1
; COMPUTE_PGM_RSRC2:TGID_Y_EN: 1
; COMPUTE_PGM_RSRC2:TGID_Z_EN: 1
; COMPUTE_PGM_RSRC2:TIDIG_COMP_CNT: 0
	.section	.text._ZL15flash_attn_tileILi256ELi256ELi1ELi2ELb0EEvPKcS1_S1_S1_S1_PKiPfP15HIP_vector_typeIfLj2EEffffjfiS5_IjLj3EEiiiiiiiiiiiliiliiiiil,"axG",@progbits,_ZL15flash_attn_tileILi256ELi256ELi1ELi2ELb0EEvPKcS1_S1_S1_S1_PKiPfP15HIP_vector_typeIfLj2EEffffjfiS5_IjLj3EEiiiiiiiiiiiliiliiiiil,comdat
	.globl	_ZL15flash_attn_tileILi256ELi256ELi1ELi2ELb0EEvPKcS1_S1_S1_S1_PKiPfP15HIP_vector_typeIfLj2EEffffjfiS5_IjLj3EEiiiiiiiiiiiliiliiiiil ; -- Begin function _ZL15flash_attn_tileILi256ELi256ELi1ELi2ELb0EEvPKcS1_S1_S1_S1_PKiPfP15HIP_vector_typeIfLj2EEffffjfiS5_IjLj3EEiiiiiiiiiiiliiliiiiil
	.p2align	8
	.type	_ZL15flash_attn_tileILi256ELi256ELi1ELi2ELb0EEvPKcS1_S1_S1_S1_PKiPfP15HIP_vector_typeIfLj2EEffffjfiS5_IjLj3EEiiiiiiiiiiiliiliiiiil,@function
_ZL15flash_attn_tileILi256ELi256ELi1ELi2ELb0EEvPKcS1_S1_S1_S1_PKiPfP15HIP_vector_typeIfLj2EEffffjfiS5_IjLj3EEiiiiiiiiiiiliiliiiiil: ; @_ZL15flash_attn_tileILi256ELi256ELi1ELi2ELb0EEvPKcS1_S1_S1_S1_PKiPfP15HIP_vector_typeIfLj2EEffffjfiS5_IjLj3EEiiiiiiiiiiiliiliiiiil
; %bb.0:
	s_clause 0x1
	s_load_b128 s[20:23], s[0:1], 0x5c
	s_load_b64 s[30:31], s[0:1], 0x80
	s_lshr_b32 s5, ttmp7, 16
	s_load_b64 s[36:37], s[0:1], 0xb8
	s_mov_b64 s[34:35], 0
	s_wait_kmcnt 0x0
	s_lshr_b32 s2, s23, 31
	s_delay_alu instid0(SALU_CYCLE_1) | instskip(NEXT) | instid1(SALU_CYCLE_1)
	s_add_co_i32 s2, s23, s2
	s_ashr_i32 s2, s2, 1
	s_delay_alu instid0(SALU_CYCLE_1) | instskip(SKIP_1) | instid1(SALU_CYCLE_2)
	s_cvt_f32_u32 s3, s2
	s_sub_co_i32 s4, 0, s2
	v_rcp_iflag_f32_e32 v1, s3
	s_delay_alu instid0(TRANS32_DEP_1) | instskip(SKIP_2) | instid1(SALU_CYCLE_2)
	v_readfirstlane_b32 s3, v1
	s_mul_f32 s3, s3, 0x4f7ffffe
	s_wait_alu 0xfffe
	s_cvt_u32_f32 s3, s3
	s_wait_alu 0xfffe
	s_delay_alu instid0(SALU_CYCLE_2) | instskip(NEXT) | instid1(SALU_CYCLE_1)
	s_mul_i32 s4, s4, s3
	s_mul_hi_u32 s4, s3, s4
	s_delay_alu instid0(SALU_CYCLE_1)
	s_add_co_i32 s3, s3, s4
	s_wait_alu 0xfffe
	s_mul_hi_u32 s3, s5, s3
	s_wait_alu 0xfffe
	s_mul_i32 s4, s3, s2
	s_add_co_i32 s6, s3, 1
	s_sub_co_i32 s4, s5, s4
	s_delay_alu instid0(SALU_CYCLE_1)
	s_sub_co_i32 s7, s4, s2
	s_cmp_ge_u32 s4, s2
	s_cselect_b32 s3, s6, s3
	s_cselect_b32 s4, s7, s4
	s_wait_alu 0xfffe
	s_add_co_i32 s6, s3, 1
	s_cmp_ge_u32 s4, s2
	s_cselect_b32 s28, s6, s3
	s_abs_i32 s2, s31
	s_abs_i32 s7, s23
	s_wait_alu 0xfffe
	s_cvt_f32_u32 s3, s2
	s_sub_co_i32 s4, 0, s2
	s_lshl_b32 s5, s5, 1
	s_mul_i32 s6, s28, s23
	s_wait_alu 0xfffe
	v_rcp_iflag_f32_e32 v1, s3
	s_sub_co_i32 s33, s5, s6
	s_delay_alu instid0(TRANS32_DEP_1) | instskip(SKIP_2) | instid1(SALU_CYCLE_2)
	v_readfirstlane_b32 s3, v1
	s_mul_f32 s3, s3, 0x4f7ffffe
	s_wait_alu 0xfffe
	s_cvt_u32_f32 s3, s3
	s_wait_alu 0xfffe
	s_delay_alu instid0(SALU_CYCLE_2) | instskip(NEXT) | instid1(SALU_CYCLE_1)
	s_mul_i32 s4, s4, s3
	s_mul_hi_u32 s4, s3, s4
	s_delay_alu instid0(SALU_CYCLE_1)
	s_add_co_i32 s3, s3, s4
	s_xor_b32 s4, s23, s31
	s_wait_alu 0xfffe
	s_mul_hi_u32 s3, s7, s3
	s_ashr_i32 s24, s4, 31
	s_wait_alu 0xfffe
	s_mul_i32 s5, s3, s2
	s_delay_alu instid0(SALU_CYCLE_1)
	s_sub_co_i32 s4, s7, s5
	s_add_co_i32 s5, s3, 1
	s_sub_co_i32 s6, s4, s2
	s_cmp_ge_u32 s4, s2
	s_cselect_b32 s3, s5, s3
	s_cselect_b32 s4, s6, s4
	s_wait_alu 0xfffe
	s_add_co_i32 s5, s3, 1
	s_cmp_ge_u32 s4, s2
	s_cselect_b32 s2, s5, s3
	s_load_b512 s[4:19], s[0:1], 0x0
	s_xor_b32 s2, s2, s24
	s_mov_b32 s3, 0
	s_wait_alu 0xfffe
	s_sub_co_i32 s38, s2, s24
	s_delay_alu instid0(SALU_CYCLE_1) | instskip(NEXT) | instid1(SALU_CYCLE_1)
	s_abs_i32 s31, s38
	s_cvt_f32_u32 s2, s31
	s_wait_alu 0xfffe
	s_delay_alu instid0(SALU_CYCLE_2) | instskip(SKIP_2) | instid1(TRANS32_DEP_1)
	v_rcp_iflag_f32_e32 v1, s2
	s_wait_kmcnt 0x0
	s_cmp_eq_u64 s[10:11], 0
	v_readfirstlane_b32 s2, v1
	s_cbranch_scc1 .LBB39_2
; %bb.1:
	s_abs_i32 s26, s36
	s_delay_alu instid0(SALU_CYCLE_1) | instskip(NEXT) | instid1(SALU_CYCLE_3)
	s_cvt_f32_u32 s24, s26
	v_rcp_iflag_f32_e32 v1, s24
	s_delay_alu instid0(TRANS32_DEP_1) | instskip(SKIP_2) | instid1(SALU_CYCLE_2)
	v_readfirstlane_b32 s24, v1
	s_mul_f32 s24, s24, 0x4f7ffffe
	s_wait_alu 0xfffe
	s_cvt_u32_f32 s27, s24
	s_sub_co_i32 s24, 0, s26
	s_wait_alu 0xfffe
	s_delay_alu instid0(SALU_CYCLE_1) | instskip(SKIP_4) | instid1(SALU_CYCLE_1)
	s_mul_i32 s24, s24, s27
	s_wait_alu 0xfffe
	s_mul_hi_u32 s29, s27, s24
	s_load_b64 s[24:25], s[0:1], 0xc8
	s_add_co_i32 s27, s27, s29
	s_mul_hi_u32 s27, s28, s27
	s_delay_alu instid0(SALU_CYCLE_1) | instskip(NEXT) | instid1(SALU_CYCLE_1)
	s_mul_i32 s27, s27, s26
	s_sub_co_i32 s27, s28, s27
	s_delay_alu instid0(SALU_CYCLE_1) | instskip(SKIP_2) | instid1(SALU_CYCLE_1)
	s_sub_co_i32 s29, s27, s26
	s_cmp_ge_u32 s27, s26
	s_cselect_b32 s27, s29, s27
	s_sub_co_i32 s29, s27, s26
	s_cmp_ge_u32 s27, s26
	s_cselect_b32 s26, s29, s27
	s_delay_alu instid0(SALU_CYCLE_1)
	s_ashr_i32 s27, s26, 31
	s_wait_kmcnt 0x0
	s_mul_u64 s[24:25], s[24:25], s[26:27]
	s_wait_alu 0xfffe
	s_add_nc_u64 s[34:35], s[10:11], s[24:25]
.LBB39_2:
	v_lshrrev_b32_e32 v1, 10, v0
	s_load_b96 s[24:26], s[0:1], 0x70
	v_bfe_u32 v68, v0, 10, 1
	v_and_b32_e32 v49, 0x3ff, v0
	s_delay_alu instid0(VALU_DEP_3) | instskip(NEXT) | instid1(VALU_DEP_2)
	v_bfe_u32 v1, v1, 1, 9
	v_lshlrev_b32_e32 v6, 4, v49
	v_lshlrev_b32_e32 v70, 3, v49
	s_delay_alu instid0(VALU_DEP_3) | instskip(NEXT) | instid1(VALU_DEP_1)
	v_add_nc_u32_e32 v48, ttmp9, v1
	v_mul_hi_u32 v1, s20, v48
	s_wait_kmcnt 0x0
	s_mul_i32 s10, s33, s25
	s_mov_b32 s20, s25
	s_delay_alu instid0(VALU_DEP_1) | instskip(NEXT) | instid1(VALU_DEP_1)
	v_add_nc_u32_e32 v1, v48, v1
	v_lshrrev_b32_e32 v1, s21, v1
	s_ashr_i32 s21, s25, 31
	s_ashr_i32 s25, s24, 31
	s_wait_alu 0xfffe
	s_lshr_b32 s11, s21, 2
	s_lshr_b64 s[40:41], s[24:25], 2
	v_mul_lo_u32 v1, v1, s22
	v_mul_lo_u32 v5, s11, v68
	s_ashr_i32 s11, s10, 31
	s_delay_alu instid0(VALU_DEP_2) | instskip(NEXT) | instid1(VALU_DEP_1)
	v_sub_nc_u32_e32 v1, v48, v1
	v_mad_co_u64_u32 v[2:3], null, s40, v1, 0
	s_lshr_b64 s[40:41], s[20:21], 2
	s_lshr_b32 s20, s25, 2
	s_wait_alu 0xfffe
	v_mad_co_u64_u32 v[3:4], null, s20, v1, v[3:4]
	v_mul_lo_u32 v4, s40, v68
	s_mul_i32 s20, s28, s26
	s_wait_alu 0xfffe
	s_ashr_i32 s21, s20, 31
	s_cmp_eq_u64 s[14:15], 0
	s_wait_alu 0xfffe
	s_add_nc_u64 s[4:5], s[4:5], s[20:21]
	v_lshlrev_b64_e32 v[2:3], 2, v[2:3]
	s_add_nc_u64 s[4:5], s[4:5], s[10:11]
	v_lshlrev_b64_e32 v[4:5], 2, v[4:5]
	s_delay_alu instid0(VALU_DEP_1) | instskip(NEXT) | instid1(VALU_DEP_1)
	v_add_co_u32 v4, vcc_lo, s4, v4
	v_add_co_ci_u32_e64 v5, null, s5, v5, vcc_lo
	s_load_b32 s4, s[0:1], 0x40
	v_add_co_u32 v2, vcc_lo, v4, v2
	s_wait_alu 0xfffd
	v_add_co_ci_u32_e64 v3, null, v5, v3, vcc_lo
	s_delay_alu instid0(VALU_DEP_2) | instskip(SKIP_1) | instid1(VALU_DEP_2)
	v_add_co_u32 v7, vcc_lo, v2, v6
	s_wait_alu 0xfffd
	v_add_co_ci_u32_e64 v8, null, 0, v3, vcc_lo
	v_bfe_u32 v2, v0, 10, 10
	s_clause 0x1
	global_load_b128 v[3:6], v[7:8], off
	global_load_b128 v[7:10], v[7:8], off offset:512
	v_lshlrev_b32_e32 v0, 9, v2
	s_delay_alu instid0(VALU_DEP_1)
	v_add_nc_u32_e32 v71, 0x1200, v0
	s_wait_loadcnt 0x1
	s_wait_kmcnt 0x0
	v_fma_mixlo_f16 v3, s4, v3, 0
	v_fma_mixlo_f16 v4, s4, v4, 0
	s_wait_loadcnt 0x0
	v_fma_mixlo_f16 v7, s4, v7, 0
	v_fma_mixlo_f16 v8, s4, v8, 0
	;; [unrolled: 1-line block ×6, first 2 shown]
	v_lshlrev_b32_e32 v4, 16, v4
	v_and_b32_e32 v3, 0xffff, v3
	v_lshlrev_b32_e32 v8, 16, v8
	v_and_b32_e32 v7, 0xffff, v7
	;; [unrolled: 2-line block ×4, first 2 shown]
	v_or_b32_e32 v3, v4, v3
	v_or_b32_e32 v7, v8, v7
	v_add_nc_u32_e32 v8, v71, v70
	v_or3_b32 v4, v6, v5, 0
	v_or3_b32 v6, v10, v9, 0
	;; [unrolled: 1-line block ×4, first 2 shown]
	ds_store_2addr_b64 v8, v[3:4], v[5:6] offset1:32
	s_wait_dscnt 0x0
	s_barrier_signal -1
	s_barrier_wait -1
	global_inv scope:SCOPE_SE
	s_cbranch_scc1 .LBB39_4
; %bb.3:
	s_load_b32 s4, s[0:1], 0xd0
	s_mov_b32 s5, 0
	s_wait_kmcnt 0x0
	s_mul_i32 s4, s4, s28
	s_wait_alu 0xfffe
	s_add_co_i32 s4, s4, ttmp9
	s_wait_alu 0xfffe
	s_lshl_b64 s[4:5], s[4:5], 2
	s_wait_alu 0xfffe
	s_add_nc_u64 s[4:5], s[14:15], s[4:5]
	s_load_b32 s30, s[4:5], 0x0
.LBB39_4:
	s_and_b32 s10, ttmp7, 0xffff
	v_lshlrev_b32_e32 v69, 2, v49
	v_mbcnt_lo_u32_b32 v72, -1, 0
	s_wait_alu 0xfffe
	s_lshl_b32 s14, s10, 5
	s_wait_kmcnt 0x0
	s_cmp_lt_i32 s14, s30
	s_cbranch_scc1 .LBB39_7
; %bb.5:
	v_mbcnt_lo_u32_b32 v3, -1, 0
	v_mov_b32_e32 v73, 32
	s_delay_alu instid0(VALU_DEP_2)
	v_xor_b32_e32 v78, 16, v3
	v_xor_b32_e32 v77, 8, v3
	;; [unrolled: 1-line block ×5, first 2 shown]
	s_mov_b32 s29, 0
	s_cbranch_execz .LBB39_8
; %bb.6:
	v_dual_mov_b32 v95, 0 :: v_dual_mov_b32 v96, 0
	v_dual_mov_b32 v81, 0 :: v_dual_mov_b32 v94, 0
	v_mov_b32_e32 v67, 0xfeffffff
	v_mov_b32_e32 v97, 0
	s_branch .LBB39_11
.LBB39_7:
                                        ; implicit-def: $vgpr3
                                        ; implicit-def: $vgpr73
                                        ; implicit-def: $vgpr78
                                        ; implicit-def: $vgpr77
                                        ; implicit-def: $vgpr76
                                        ; implicit-def: $vgpr75
                                        ; implicit-def: $vgpr74
	s_mov_b32 s29, 0
.LBB39_8:
	s_mul_f32 s2, s2, 0x4f7ffffe
	s_clause 0x1
	s_load_b128 s[24:27], s[0:1], 0x98
	s_load_b64 s[4:5], s[0:1], 0x8c
	s_sub_co_i32 s15, 0, s31
	s_mov_b32 s21, s3
	s_cvt_u32_f32 s11, s2
	s_abs_i32 s2, s33
	s_ashr_i32 s36, s33, 31
	s_ashr_i32 s40, s38, 31
	s_wait_alu 0xfffe
	s_mul_i32 s15, s15, s11
	s_load_b64 s[38:39], s[0:1], 0xa8
	s_mul_hi_u32 s15, s11, s15
	v_lshrrev_b32_e32 v3, 3, v49
	s_add_co_i32 s20, s11, s15
	s_ashr_i32 s11, s37, 1
	s_wait_alu 0xfffe
	s_mul_u64 s[20:21], s[2:3], s[20:21]
	s_xor_b32 s15, s36, s40
	s_wait_alu 0xfffe
	s_mul_i32 s3, s21, s31
	s_add_co_i32 s36, s21, 1
	s_wait_alu 0xfffe
	s_sub_co_i32 s2, s2, s3
	v_lshl_add_u32 v4, v2, 2, v3
	s_wait_kmcnt 0x0
	s_ashr_i32 s20, s26, 2
	s_ashr_i32 s26, s4, 2
	s_wait_alu 0xfffe
	s_sub_co_i32 s3, s2, s31
	s_cmp_ge_u32 s2, s31
	v_mul_lo_u32 v3, s26, v4
	s_cselect_b32 s4, s36, s21
	s_wait_alu 0xfffe
	s_cselect_b32 s2, s3, s2
	s_add_co_i32 s3, s4, 1
	s_wait_alu 0xfffe
	s_cmp_ge_u32 s2, s31
	v_mul_lo_u32 v11, s20, v2
	s_cselect_b32 s4, s3, s4
	s_mul_u64 s[2:3], s[24:25], s[28:29]
	s_wait_alu 0xfffe
	s_xor_b32 s4, s4, s15
	s_add_nc_u64 s[2:3], s[6:7], s[2:3]
	s_wait_alu 0xfffe
	s_sub_co_i32 s15, s4, s15
	s_mul_u64 s[36:37], s[38:39], s[28:29]
	s_mul_i32 s4, s15, s5
	s_lshl_b32 s6, s26, 3
	s_wait_alu 0xfffe
	s_ashr_i32 s5, s4, 31
	v_dual_mov_b32 v96, 0 :: v_dual_add_nc_u32 v5, s6, v3
	s_wait_alu 0xfffe
	s_add_nc_u64 s[24:25], s[2:3], s[4:5]
	s_mul_i32 s2, s15, s27
	s_add_nc_u64 s[4:5], s[8:9], s[36:37]
	s_wait_alu 0xfffe
	s_ashr_i32 s3, s2, 31
	v_dual_mov_b32 v94, 0 :: v_dual_and_b32 v17, 28, v69
	s_wait_alu 0xfffe
	s_add_nc_u64 s[36:37], s[4:5], s[2:3]
	s_lshl_b32 s2, s20, 1
	v_add_nc_u32_e32 v7, s6, v5
	s_wait_alu 0xfffe
	v_add_nc_u32_e32 v13, s2, v11
	v_lshlrev_b32_e32 v85, 2, v69
	v_mad_co_u64_u32 v[50:51], null, v1, s11, v[49:50]
	v_dual_mov_b32 v67, 0xfeffffff :: v_dual_lshlrev_b32 v6, 2, v17
	s_delay_alu instid0(VALU_DEP_4) | instskip(SKIP_2) | instid1(VALU_DEP_4)
	v_add_nc_u32_e32 v1, s2, v13
	v_add_nc_u32_e32 v9, s6, v7
	v_lshl_add_u32 v16, v2, 9, v85
	v_mad_u32_u24 v79, 0x90, v4, v6
	v_ashrrev_i32_e32 v4, 31, v3
	v_add_nc_u32_e32 v15, s2, v1
	v_ashrrev_i32_e32 v6, 31, v5
	v_ashrrev_i32_e32 v8, 31, v7
	v_ashrrev_i32_e32 v10, 31, v9
	v_lshl_add_u32 v86, v2, 6, 0x1600
	v_ashrrev_i32_e32 v12, 31, v11
	v_add_nc_u32_e32 v89, 0x400, v16
	v_ashrrev_i32_e32 v14, 31, v13
	v_dual_mov_b32 v81, 0 :: v_dual_add_nc_u32 v90, 0x800, v16
	v_ashrrev_i32_e32 v2, 31, v1
	v_add_nc_u32_e32 v91, 0xc00, v16
	v_ashrrev_i32_e32 v16, 31, v15
	v_lshlrev_b64_e32 v[51:52], 2, v[3:4]
	v_lshlrev_b64_e32 v[53:54], 2, v[5:6]
	v_lshlrev_b64_e32 v[55:56], 2, v[7:8]
	v_lshlrev_b64_e32 v[57:58], 2, v[9:10]
	v_lshlrev_b64_e32 v[59:60], 2, v[11:12]
	v_lshlrev_b64_e32 v[61:62], 2, v[13:14]
	v_lshlrev_b64_e32 v[63:64], 2, v[1:2]
	v_lshlrev_b64_e32 v[65:66], 2, v[15:16]
	v_dual_mov_b32 v73, 32 :: v_dual_add_nc_u32 v80, 0x480, v79
	v_dual_mov_b32 v97, 0 :: v_dual_add_nc_u32 v82, 0x900, v79
	v_add_nc_u32_e32 v83, 0xd80, v79
	v_mul_u32_u24_e32 v84, 0x90, v49
	v_lshl_add_u32 v87, v49, 1, v86
	v_dual_mov_b32 v95, 0 :: v_dual_add_nc_u32 v88, v0, v85
	v_lshlrev_b32_e32 v92, 2, v17
	v_xor_b32_e32 v78, 16, v72
	v_xor_b32_e32 v77, 8, v72
	;; [unrolled: 1-line block ×5, first 2 shown]
	v_add_nc_u32_e32 v93, 0x800, v70
	s_ashr_i32 s27, s26, 31
	s_ashr_i32 s21, s20, 31
	s_add_nc_u64 s[38:39], s[0:1], 0xd0
.LBB39_9:                               ; =>This Inner Loop Header: Depth=1
	s_ashr_i32 s15, s14, 31
	s_or_b32 s6, s14, 8
	s_wait_alu 0xfffe
	s_mul_u64 s[2:3], s[14:15], s[26:27]
	s_mul_u64 s[8:9], s[14:15], s[20:21]
	s_wait_alu 0xfffe
	s_lshl_b64 s[2:3], s[2:3], 2
	s_ashr_i32 s7, s6, 31
	s_wait_alu 0xfffe
	s_add_nc_u64 s[4:5], s[24:25], s[2:3]
	s_mul_u64 s[6:7], s[6:7], s[20:21]
	s_wait_alu 0xfffe
	v_add_co_u32 v0, vcc_lo, s4, v51
	v_add_co_u32 v1, s2, s4, v53
	v_add_co_u32 v3, s3, s4, v55
	s_wait_alu 0xfffd
	v_add_co_ci_u32_e64 v7, null, s5, v52, vcc_lo
	v_add_co_u32 v5, s4, s4, v57
	s_wait_alu 0xf1ff
	v_add_co_ci_u32_e64 v8, null, s5, v54, s2
	v_add_co_ci_u32_e64 v9, null, s5, v56, s3
	;; [unrolled: 1-line block ×3, first 2 shown]
	v_add_co_u32 v0, vcc_lo, v0, v92
	v_add_co_u32 v2, s2, v1, v92
	v_add_co_u32 v4, s3, v3, v92
	s_wait_alu 0xfffd
	v_add_co_ci_u32_e64 v1, null, 0, v7, vcc_lo
	v_add_co_u32 v6, s4, v5, v92
	s_wait_alu 0xf1ff
	v_add_co_ci_u32_e64 v3, null, 0, v8, s2
	v_add_co_ci_u32_e64 v5, null, 0, v9, s3
	;; [unrolled: 1-line block ×3, first 2 shown]
	s_clause 0x3
	global_load_b128 v[9:12], v[0:1], off
	global_load_b128 v[13:16], v[2:3], off
	;; [unrolled: 1-line block ×4, first 2 shown]
	v_mov_b32_e32 v8, 0
	v_cmp_gt_i32_e64 s3, 32, v76
	v_cmp_gt_i32_e64 s5, 32, v74
	;; [unrolled: 1-line block ×4, first 2 shown]
	s_lshl_b64 s[6:7], s[6:7], 2
	s_wait_loadcnt 0x3
	ds_store_b128 v79, v[9:12]
	s_wait_loadcnt 0x2
	ds_store_b128 v80, v[13:16]
	;; [unrolled: 2-line block ×4, first 2 shown]
	s_wait_dscnt 0x0
	s_barrier_signal -1
	s_barrier_wait -1
	global_inv scope:SCOPE_SE
	ds_load_b128 v[9:12], v84
	ds_load_b128 v[13:16], v71
	s_wait_dscnt 0x0
	;;#ASMSTART
	v_dot2_f32_f16 v8, v9, v13, v8
	;;#ASMEND
	;;#ASMSTART
	v_dot2_f32_f16 v8, v10, v14, v8
	;;#ASMEND
	;;#ASMSTART
	v_dot2_f32_f16 v8, v11, v15, v8
	;;#ASMEND
	;;#ASMSTART
	v_dot2_f32_f16 v8, v12, v16, v8
	;;#ASMEND
	ds_load_b128 v[9:12], v84 offset:16
	ds_load_b128 v[13:16], v71 offset:16
	s_wait_dscnt 0x0
	;;#ASMSTART
	v_dot2_f32_f16 v8, v9, v13, v8
	;;#ASMEND
	;;#ASMSTART
	v_dot2_f32_f16 v8, v10, v14, v8
	;;#ASMEND
	;;#ASMSTART
	v_dot2_f32_f16 v8, v11, v15, v8
	;;#ASMEND
	;;#ASMSTART
	v_dot2_f32_f16 v8, v12, v16, v8
	;;#ASMEND
	ds_load_b128 v[9:12], v84 offset:32
	ds_load_b128 v[13:16], v71 offset:32
	;; [unrolled: 15-line block ×7, first 2 shown]
	s_wait_dscnt 0x0
	;;#ASMSTART
	v_dot2_f32_f16 v8, v9, v13, v8
	;;#ASMEND
	;;#ASMSTART
	v_dot2_f32_f16 v8, v10, v14, v8
	;;#ASMEND
	;; [unrolled: 3-line block ×4, first 2 shown]
	s_wait_loadcnt 0x0
	s_barrier_signal -1
	s_barrier_wait -1
	global_inv scope:SCOPE_SE
	s_clause 0x3
	global_load_b128 v[9:12], v[0:1], off offset:128
	global_load_b128 v[13:16], v[2:3], off offset:128
	;; [unrolled: 1-line block ×4, first 2 shown]
	s_wait_alu 0xfffe
	s_add_nc_u64 s[6:7], s[36:37], s[6:7]
	s_wait_loadcnt 0x3
	ds_store_b128 v79, v[9:12]
	s_wait_loadcnt 0x2
	ds_store_b128 v80, v[13:16]
	;; [unrolled: 2-line block ×4, first 2 shown]
	s_wait_dscnt 0x0
	s_barrier_signal -1
	s_barrier_wait -1
	global_inv scope:SCOPE_SE
	ds_load_b128 v[9:12], v84
	ds_load_b128 v[13:16], v71 offset:128
	s_wait_dscnt 0x0
	;;#ASMSTART
	v_dot2_f32_f16 v8, v9, v13, v8
	;;#ASMEND
	;;#ASMSTART
	v_dot2_f32_f16 v8, v10, v14, v8
	;;#ASMEND
	;;#ASMSTART
	v_dot2_f32_f16 v8, v11, v15, v8
	;;#ASMEND
	;;#ASMSTART
	v_dot2_f32_f16 v8, v12, v16, v8
	;;#ASMEND
	ds_load_b128 v[9:12], v84 offset:16
	ds_load_b128 v[13:16], v71 offset:144
	s_wait_dscnt 0x0
	;;#ASMSTART
	v_dot2_f32_f16 v8, v9, v13, v8
	;;#ASMEND
	;;#ASMSTART
	v_dot2_f32_f16 v8, v10, v14, v8
	;;#ASMEND
	;;#ASMSTART
	v_dot2_f32_f16 v8, v11, v15, v8
	;;#ASMEND
	;;#ASMSTART
	v_dot2_f32_f16 v8, v12, v16, v8
	;;#ASMEND
	ds_load_b128 v[9:12], v84 offset:32
	;; [unrolled: 15-line block ×7, first 2 shown]
	ds_load_b128 v[13:16], v71 offset:240
	s_wait_dscnt 0x0
	;;#ASMSTART
	v_dot2_f32_f16 v8, v9, v13, v8
	;;#ASMEND
	;;#ASMSTART
	v_dot2_f32_f16 v8, v10, v14, v8
	;;#ASMEND
	;; [unrolled: 3-line block ×4, first 2 shown]
	s_wait_loadcnt 0x0
	s_barrier_signal -1
	s_barrier_wait -1
	global_inv scope:SCOPE_SE
	s_clause 0x3
	global_load_b128 v[9:12], v[0:1], off offset:256
	global_load_b128 v[13:16], v[2:3], off offset:256
	;; [unrolled: 1-line block ×4, first 2 shown]
	s_wait_loadcnt 0x3
	ds_store_b128 v79, v[9:12]
	s_wait_loadcnt 0x2
	ds_store_b128 v80, v[13:16]
	;; [unrolled: 2-line block ×4, first 2 shown]
	s_wait_dscnt 0x0
	s_barrier_signal -1
	s_barrier_wait -1
	global_inv scope:SCOPE_SE
	ds_load_b128 v[9:12], v84
	ds_load_b128 v[13:16], v71 offset:256
	s_wait_dscnt 0x0
	;;#ASMSTART
	v_dot2_f32_f16 v8, v9, v13, v8
	;;#ASMEND
	;;#ASMSTART
	v_dot2_f32_f16 v8, v10, v14, v8
	;;#ASMEND
	;;#ASMSTART
	v_dot2_f32_f16 v8, v11, v15, v8
	;;#ASMEND
	;;#ASMSTART
	v_dot2_f32_f16 v8, v12, v16, v8
	;;#ASMEND
	ds_load_b128 v[9:12], v84 offset:16
	ds_load_b128 v[13:16], v71 offset:272
	s_wait_dscnt 0x0
	;;#ASMSTART
	v_dot2_f32_f16 v8, v9, v13, v8
	;;#ASMEND
	;;#ASMSTART
	v_dot2_f32_f16 v8, v10, v14, v8
	;;#ASMEND
	;;#ASMSTART
	v_dot2_f32_f16 v8, v11, v15, v8
	;;#ASMEND
	;;#ASMSTART
	v_dot2_f32_f16 v8, v12, v16, v8
	;;#ASMEND
	ds_load_b128 v[9:12], v84 offset:32
	ds_load_b128 v[13:16], v71 offset:288
	s_wait_dscnt 0x0
	;;#ASMSTART
	v_dot2_f32_f16 v8, v9, v13, v8
	;;#ASMEND
	;;#ASMSTART
	v_dot2_f32_f16 v8, v10, v14, v8
	;;#ASMEND
	;;#ASMSTART
	v_dot2_f32_f16 v8, v11, v15, v8
	;;#ASMEND
	;;#ASMSTART
	v_dot2_f32_f16 v8, v12, v16, v8
	;;#ASMEND
	ds_load_b128 v[9:12], v84 offset:48
	ds_load_b128 v[13:16], v71 offset:304
	s_wait_dscnt 0x0
	;;#ASMSTART
	v_dot2_f32_f16 v8, v9, v13, v8
	;;#ASMEND
	;;#ASMSTART
	v_dot2_f32_f16 v8, v10, v14, v8
	;;#ASMEND
	;;#ASMSTART
	v_dot2_f32_f16 v8, v11, v15, v8
	;;#ASMEND
	;;#ASMSTART
	v_dot2_f32_f16 v8, v12, v16, v8
	;;#ASMEND
	ds_load_b128 v[9:12], v84 offset:64
	ds_load_b128 v[13:16], v71 offset:320
	s_wait_dscnt 0x0
	;;#ASMSTART
	v_dot2_f32_f16 v8, v9, v13, v8
	;;#ASMEND
	;;#ASMSTART
	v_dot2_f32_f16 v8, v10, v14, v8
	;;#ASMEND
	;;#ASMSTART
	v_dot2_f32_f16 v8, v11, v15, v8
	;;#ASMEND
	;;#ASMSTART
	v_dot2_f32_f16 v8, v12, v16, v8
	;;#ASMEND
	ds_load_b128 v[9:12], v84 offset:80
	ds_load_b128 v[13:16], v71 offset:336
	s_wait_dscnt 0x0
	;;#ASMSTART
	v_dot2_f32_f16 v8, v9, v13, v8
	;;#ASMEND
	;;#ASMSTART
	v_dot2_f32_f16 v8, v10, v14, v8
	;;#ASMEND
	;;#ASMSTART
	v_dot2_f32_f16 v8, v11, v15, v8
	;;#ASMEND
	;;#ASMSTART
	v_dot2_f32_f16 v8, v12, v16, v8
	;;#ASMEND
	ds_load_b128 v[9:12], v84 offset:96
	ds_load_b128 v[13:16], v71 offset:352
	s_wait_dscnt 0x0
	;;#ASMSTART
	v_dot2_f32_f16 v8, v9, v13, v8
	;;#ASMEND
	;;#ASMSTART
	v_dot2_f32_f16 v8, v10, v14, v8
	;;#ASMEND
	;;#ASMSTART
	v_dot2_f32_f16 v8, v11, v15, v8
	;;#ASMEND
	;;#ASMSTART
	v_dot2_f32_f16 v8, v12, v16, v8
	;;#ASMEND
	ds_load_b128 v[9:12], v84 offset:112
	ds_load_b128 v[13:16], v71 offset:368
	s_wait_dscnt 0x0
	;;#ASMSTART
	v_dot2_f32_f16 v8, v9, v13, v8
	;;#ASMEND
	;;#ASMSTART
	v_dot2_f32_f16 v8, v10, v14, v8
	;;#ASMEND
	;; [unrolled: 3-line block ×4, first 2 shown]
	s_wait_loadcnt 0x0
	s_barrier_signal -1
	s_barrier_wait -1
	global_inv scope:SCOPE_SE
	s_clause 0x3
	global_load_b128 v[9:12], v[0:1], off offset:384
	global_load_b128 v[0:3], v[2:3], off offset:384
	;; [unrolled: 1-line block ×4, first 2 shown]
	v_add_nc_u32_e32 v17, s14, v50
	s_wait_loadcnt 0x3
	ds_store_b128 v79, v[9:12]
	s_wait_loadcnt 0x2
	ds_store_b128 v80, v[0:3]
	;; [unrolled: 2-line block ×4, first 2 shown]
	s_wait_dscnt 0x0
	s_barrier_signal -1
	s_barrier_wait -1
	global_inv scope:SCOPE_SE
	ds_load_b128 v[0:3], v84
	ds_load_b128 v[4:7], v71 offset:384
	s_wait_dscnt 0x0
	;;#ASMSTART
	v_dot2_f32_f16 v8, v0, v4, v8
	;;#ASMEND
	;;#ASMSTART
	v_dot2_f32_f16 v8, v1, v5, v8
	;;#ASMEND
	;;#ASMSTART
	v_dot2_f32_f16 v8, v2, v6, v8
	;;#ASMEND
	;;#ASMSTART
	v_dot2_f32_f16 v8, v3, v7, v8
	;;#ASMEND
	ds_load_b128 v[0:3], v84 offset:16
	ds_load_b128 v[4:7], v71 offset:400
	s_wait_dscnt 0x0
	;;#ASMSTART
	v_dot2_f32_f16 v8, v0, v4, v8
	;;#ASMEND
	;;#ASMSTART
	v_dot2_f32_f16 v8, v1, v5, v8
	;;#ASMEND
	;;#ASMSTART
	v_dot2_f32_f16 v8, v2, v6, v8
	;;#ASMEND
	;;#ASMSTART
	v_dot2_f32_f16 v8, v3, v7, v8
	;;#ASMEND
	ds_load_b128 v[0:3], v84 offset:32
	;; [unrolled: 15-line block ×7, first 2 shown]
	ds_load_b128 v[4:7], v71 offset:496
	v_ashrrev_i32_e32 v18, 31, v17
	s_wait_dscnt 0x0
	;;#ASMSTART
	v_dot2_f32_f16 v8, v0, v4, v8
	;;#ASMEND
	s_delay_alu instid0(VALU_DEP_1)
	v_lshlrev_b64_e32 v[17:18], 1, v[17:18]
	;;#ASMSTART
	v_dot2_f32_f16 v8, v1, v5, v8
	;;#ASMEND
	;;#ASMSTART
	v_dot2_f32_f16 v8, v2, v6, v8
	;;#ASMEND
	;; [unrolled: 3-line block ×3, first 2 shown]
	v_cndmask_b32_e64 v2, v72, v76, s3
	v_cndmask_b32_e64 v4, v72, v74, s5
	v_add_co_u32 v17, vcc_lo, s34, v17
	s_wait_alu 0xfffd
	v_add_co_ci_u32_e64 v18, null, s35, v18, vcc_lo
	v_cmp_gt_i32_e32 vcc_lo, 32, v78
	v_lshlrev_b32_e32 v29, 2, v4
	v_cndmask_b32_e64 v1, v72, v77, s2
	global_load_u16 v23, v[17:18], off
	s_lshl_b64 s[2:3], s[8:9], 2
	s_wait_alu 0xfffd
	v_cndmask_b32_e32 v0, v72, v78, vcc_lo
	v_mov_b32_e32 v98, v67
	v_cndmask_b32_e64 v3, v72, v75, s4
	s_wait_alu 0xfffe
	s_add_nc_u64 s[4:5], s[36:37], s[2:3]
	s_wait_loadcnt 0x0
	v_lshlrev_b32_e32 v25, 2, v0
	s_wait_alu 0xfffe
	v_add_co_u32 v0, vcc_lo, s4, v59
	s_wait_alu 0xfffd
	v_add_co_ci_u32_e64 v5, null, s5, v60, vcc_lo
	v_add_co_u32 v12, vcc_lo, s6, v59
	s_wait_alu 0xfffd
	v_add_co_ci_u32_e64 v20, null, s7, v60, vcc_lo
	v_add_co_u32 v0, vcc_lo, v0, v85
	s_barrier_signal -1
	s_barrier_wait -1
	global_inv scope:SCOPE_SE
	v_cvt_f32_f16_e32 v23, v23
	v_lshlrev_b32_e32 v27, 2, v2
	v_add_co_u32 v2, s3, s4, v63
	s_wait_alu 0xf1ff
	v_add_co_ci_u32_e64 v7, null, s5, v64, s3
	v_add_f32_e32 v8, v8, v23
	v_max_num_f32_e32 v24, v98, v98
	v_add_co_u32 v16, s3, s6, v63
	s_wait_alu 0xf1ff
	v_add_co_ci_u32_e64 v30, null, s7, v64, s3
	v_dual_add_f32 v23, 0x40051340, v8 :: v_dual_lshlrev_b32 v26, 2, v1
	v_add_co_u32 v1, s2, s4, v61
	s_wait_alu 0xf1ff
	v_add_co_ci_u32_e64 v6, null, s5, v62, s2
	s_delay_alu instid0(VALU_DEP_3)
	v_max_num_f32_e32 v23, v24, v23
	v_add_co_u32 v15, s2, s6, v61
	s_wait_alu 0xf1ff
	v_add_co_ci_u32_e64 v22, null, s7, v62, s2
	ds_bpermute_b32 v24, v25, v23
	v_add_co_u32 v4, s2, v1, v85
	v_add_co_u32 v9, s3, v2, v85
	s_wait_alu 0xfffd
	v_add_co_ci_u32_e64 v1, null, 0, v5, vcc_lo
	s_wait_alu 0xf1ff
	v_add_co_ci_u32_e64 v5, null, 0, v6, s2
	v_add_co_ci_u32_e64 v10, null, 0, v7, s3
	v_add_co_u32 v17, vcc_lo, v12, v85
	v_add_co_u32 v19, s2, v15, v85
	v_add_co_u32 v21, s3, v16, v85
	s_wait_dscnt 0x0
	v_max_num_f32_e32 v24, v24, v24
	v_lshlrev_b32_e32 v28, 2, v3
	v_add_co_u32 v3, s4, s4, v65
	s_wait_alu 0xf1ff
	v_add_co_ci_u32_e64 v11, null, s5, v66, s4
	v_add_co_u32 v18, s4, s6, v65
	s_wait_alu 0xf1ff
	v_add_co_ci_u32_e64 v31, null, s7, v66, s4
	;; [unrolled: 3-line block ×3, first 2 shown]
	s_clause 0x3
	global_load_b128 v[0:3], v[0:1], off
	global_load_b128 v[4:7], v[4:5], off
	;; [unrolled: 1-line block ×4, first 2 shown]
	v_max_num_f32_e32 v23, v23, v24
	v_add_co_u32 v104, s4, v18, v85
	s_wait_alu 0xfffd
	v_add_co_ci_u32_e64 v18, null, 0, v20, vcc_lo
	ds_bpermute_b32 v24, v26, v23
	v_add_co_ci_u32_e64 v20, null, 0, v22, s2
	v_add_co_ci_u32_e64 v22, null, 0, v30, s3
	s_wait_alu 0xf1ff
	v_add_co_ci_u32_e64 v105, null, 0, v31, s4
	s_or_b32 s4, s14, 24
	s_wait_alu 0xfffe
	s_ashr_i32 s5, s4, 31
	s_wait_alu 0xfffe
	s_mul_u64 s[4:5], s[4:5], s[20:21]
	s_wait_alu 0xfffe
	s_lshl_b64 s[4:5], s[4:5], 2
	s_wait_alu 0xfffe
	s_add_nc_u64 s[40:41], s[36:37], s[4:5]
	s_wait_alu 0xfffe
	v_add_co_u32 v108, s5, s40, v59
	s_wait_dscnt 0x0
	v_max_num_f32_e32 v24, v24, v24
	s_delay_alu instid0(VALU_DEP_1) | instskip(SKIP_3) | instid1(VALU_DEP_1)
	v_max_num_f32_e32 v23, v23, v24
	ds_bpermute_b32 v24, v27, v23
	s_wait_dscnt 0x0
	v_max_num_f32_e32 v24, v24, v24
	v_max_num_f32_e32 v23, v23, v24
	ds_bpermute_b32 v24, v28, v23
	s_wait_dscnt 0x0
	v_max_num_f32_e32 v24, v24, v24
	s_delay_alu instid0(VALU_DEP_1) | instskip(SKIP_3) | instid1(VALU_DEP_1)
	v_max_num_f32_e32 v23, v23, v24
	ds_bpermute_b32 v24, v29, v23
	s_wait_dscnt 0x0
	v_max_num_f32_e32 v24, v24, v24
	v_max_num_f32_e32 v67, v23, v24
	s_delay_alu instid0(VALU_DEP_1) | instskip(NEXT) | instid1(VALU_DEP_1)
	v_sub_f32_e32 v98, v98, v67
	v_mul_f32_e32 v109, 0x3fb8aa3b, v98
	v_cmp_ngt_f32_e64 s6, 0xc2ce8ed0, v98
	v_cmp_nlt_f32_e64 s7, 0x42b17218, v98
	s_delay_alu instid0(VALU_DEP_3) | instskip(SKIP_1) | instid1(VALU_DEP_2)
	v_fma_f32 v110, 0x3fb8aa3b, v98, -v109
	v_rndne_f32_e32 v111, v109
	v_fmac_f32_e32 v110, 0x32a5705f, v98
	s_delay_alu instid0(VALU_DEP_2) | instskip(SKIP_2) | instid1(VALU_DEP_2)
	v_sub_f32_e32 v98, v109, v111
	v_sub_f32_e32 v8, v8, v67
	v_cvt_i32_f32_e32 v109, v111
	v_dual_add_f32 v98, v98, v110 :: v_dual_mul_f32 v23, 0x3fb8aa3b, v8
	v_cmp_ngt_f32_e32 vcc_lo, 0xc2ce8ed0, v8
	v_cmp_nlt_f32_e64 s2, 0x42b17218, v8
	s_delay_alu instid0(VALU_DEP_3) | instskip(NEXT) | instid1(VALU_DEP_3)
	v_exp_f32_e32 v98, v98
	v_fma_f32 v24, 0x3fb8aa3b, v8, -v23
	v_rndne_f32_e32 v25, v23
	s_delay_alu instid0(TRANS32_DEP_1) | instskip(SKIP_1) | instid1(VALU_DEP_1)
	v_ldexp_f32 v98, v98, v109
	s_wait_alu 0xf1ff
	v_cndmask_b32_e64 v98, 0, v98, s6
	s_delay_alu instid0(VALU_DEP_1) | instskip(SKIP_3) | instid1(VALU_DEP_4)
	v_cndmask_b32_e64 v98, 0x7f800000, v98, s7
	v_fmac_f32_e32 v24, 0x32a5705f, v8
	v_sub_f32_e32 v8, v23, v25
	v_cvt_i32_f32_e32 v23, v25
	v_cvt_f16_f32_e32 v109, v98
	s_delay_alu instid0(VALU_DEP_1) | instskip(NEXT) | instid1(VALU_DEP_1)
	v_dual_add_f32 v8, v8, v24 :: v_dual_and_b32 v109, 0xffff, v109
	v_exp_f32_e32 v8, v8
	s_delay_alu instid0(VALU_DEP_1) | instskip(NEXT) | instid1(VALU_DEP_1)
	v_mul_u32_u24_e32 v109, 0x10001, v109
	v_pk_mul_f16 v97, v97, v109
	v_pk_mul_f16 v94, v94, v109
	s_delay_alu instid0(TRANS32_DEP_1) | instskip(SKIP_1) | instid1(VALU_DEP_1)
	v_ldexp_f32 v8, v8, v23
	s_wait_alu 0xfffd
	v_cndmask_b32_e32 v8, 0, v8, vcc_lo
	s_delay_alu instid0(VALU_DEP_1) | instskip(SKIP_3) | instid1(VALU_DEP_1)
	v_cndmask_b32_e64 v99, 0x7f800000, v8, s2
	s_or_b32 s2, s14, 16
	s_wait_alu 0xfffe
	s_ashr_i32 s3, s2, 31
	v_cvt_f16_f32_e32 v8, v99
	s_wait_alu 0xfffe
	s_mul_u64 s[2:3], s[2:3], s[20:21]
	ds_store_b16 v87, v8
	s_wait_loadcnt 0x3
	ds_store_b128 v88, v[0:3]
	s_wait_loadcnt 0x2
	ds_store_b128 v89, v[4:7]
	s_wait_loadcnt 0x1
	ds_store_b128 v90, v[9:12]
	s_wait_loadcnt 0x0
	ds_store_b128 v91, v[13:16]
	s_wait_dscnt 0x0
	s_barrier_signal -1
	s_barrier_wait -1
	global_inv scope:SCOPE_SE
	ds_load_2addr_b64 v[100:103], v70 offset1:32
	ds_load_b128 v[36:39], v86
	ds_load_2addr_b64 v[44:47], v70 offset0:64 offset1:96
	ds_load_2addr_b64 v[40:43], v70 offset0:128 offset1:160
	;; [unrolled: 1-line block ×3, first 2 shown]
	ds_load_2addr_b64 v[28:31], v93 offset1:32
	ds_load_2addr_b64 v[24:27], v93 offset0:64 offset1:96
	ds_load_2addr_b64 v[4:7], v93 offset0:128 offset1:160
	;; [unrolled: 1-line block ×3, first 2 shown]
	s_wait_loadcnt_dscnt 0x0
	s_barrier_signal -1
	s_barrier_wait -1
	global_inv scope:SCOPE_SE
	s_clause 0x3
	global_load_b128 v[8:11], v[17:18], off
	global_load_b128 v[12:15], v[19:20], off
	global_load_b128 v[16:19], v[21:22], off
	global_load_b128 v[20:23], v[104:105], off
	s_wait_alu 0xfffe
	s_lshl_b64 s[2:3], s[2:3], 2
	s_wait_loadcnt 0x3
	ds_store_b128 v88, v[8:11]
	s_wait_loadcnt 0x2
	ds_store_b128 v89, v[12:15]
	;; [unrolled: 2-line block ×4, first 2 shown]
	v_and_b32_e32 v110, 0xffff, v36
	v_lshrrev_b32_e32 v36, 16, v36
	s_wait_alu 0xfffe
	s_add_nc_u64 s[8:9], s[36:37], s[2:3]
	s_wait_dscnt 0x0
	s_wait_alu 0xfffe
	v_add_co_u32 v104, vcc_lo, s8, v59
	v_mul_u32_u24_e32 v110, 0x10001, v110
	v_mul_u32_u24_e32 v36, 0x10001, v36
	v_add_co_u32 v106, s3, s8, v63
	s_wait_alu 0xfffd
	v_add_co_ci_u32_e64 v111, null, s9, v60, vcc_lo
	v_pk_mul_f16 v100, v100, v110
	v_pk_mul_f16 v101, v101, v110
	v_pk_fma_f16 v97, v102, v110, v97
	v_pk_fma_f16 v94, v103, v110, v94
	v_add_co_u32 v105, s2, s8, v61
	v_pk_fma_f16 v95, v95, v109, v100
	v_pk_fma_f16 v96, v96, v109, v101
	;; [unrolled: 1-line block ×4, first 2 shown]
	s_wait_alu 0xf1ff
	v_add_co_ci_u32_e64 v101, null, s9, v64, s3
	v_pk_fma_f16 v44, v44, v36, v95
	v_pk_fma_f16 v36, v45, v36, v96
	v_and_b32_e32 v45, 0xffff, v37
	v_add_co_ci_u32_e64 v96, null, s41, v60, s5
	v_lshrrev_b32_e32 v37, 16, v37
	v_add_co_u32 v102, s6, s40, v61
	s_delay_alu instid0(VALU_DEP_4) | instskip(SKIP_1) | instid1(VALU_DEP_4)
	v_mul_u32_u24_e32 v45, 0x10001, v45
	v_add_co_ci_u32_e64 v112, null, s9, v62, s2
	v_mul_u32_u24_e32 v37, 0x10001, v37
	v_add_co_u32 v103, s7, s40, v63
	s_delay_alu instid0(VALU_DEP_4)
	v_pk_fma_f16 v113, v40, v45, v44
	v_add_co_u32 v40, vcc_lo, v104, v85
	v_pk_fma_f16 v36, v41, v45, v36
	v_add_co_u32 v44, s3, v106, v85
	s_wait_alu 0xfffd
	v_add_co_ci_u32_e64 v41, null, 0, v111, vcc_lo
	v_add_co_u32 v100, vcc_lo, v108, v85
	v_pk_fma_f16 v46, v42, v45, v46
	v_pk_fma_f16 v47, v43, v45, v47
	s_wait_alu 0xf1ff
	v_add_co_ci_u32_e64 v45, null, 0, v101, s3
	s_wait_alu 0xfffd
	v_add_co_ci_u32_e64 v101, null, 0, v96, vcc_lo
	v_and_b32_e32 v96, 0xffff, v38
	v_add_co_ci_u32_e64 v97, null, s41, v62, s6
	v_lshrrev_b32_e32 v38, 16, v38
	v_pk_fma_f16 v34, v34, v37, v46
	s_delay_alu instid0(VALU_DEP_4)
	v_mul_u32_u24_e32 v96, 0x10001, v96
	v_pk_fma_f16 v35, v35, v37, v47
	v_pk_fma_f16 v32, v32, v37, v113
	v_pk_fma_f16 v33, v33, v37, v36
	v_add_co_u32 v42, s2, v105, v85
	s_wait_alu 0xf1ff
	v_add_co_ci_u32_e64 v43, null, 0, v112, s2
	v_add_co_u32 v102, s2, v102, v85
	v_add_co_u32 v104, s3, v103, v85
	s_wait_alu 0xf1ff
	v_add_co_ci_u32_e64 v103, null, 0, v97, s2
	v_and_b32_e32 v97, 0xffff, v39
	v_mul_u32_u24_e32 v38, 0x10001, v38
	v_pk_fma_f16 v30, v30, v96, v34
	v_pk_fma_f16 v31, v31, v96, v35
	;; [unrolled: 1-line block ×4, first 2 shown]
	v_lshrrev_b32_e32 v39, 16, v39
	v_mul_u32_u24_e32 v97, 0x10001, v97
	v_pk_fma_f16 v26, v26, v38, v30
	v_pk_fma_f16 v27, v27, v38, v31
	;; [unrolled: 1-line block ×4, first 2 shown]
	v_add_co_u32 v107, s4, s8, v65
	s_wait_alu 0xf1ff
	v_add_co_ci_u32_e64 v95, null, s9, v66, s4
	v_add_co_u32 v110, s8, s40, v65
	v_add_co_ci_u32_e64 v109, null, s41, v64, s7
	v_mul_u32_u24_e32 v39, 0x10001, v39
	v_pk_fma_f16 v6, v6, v97, v26
	v_pk_fma_f16 v7, v7, v97, v27
	;; [unrolled: 1-line block ×4, first 2 shown]
	v_add_co_u32 v94, s4, v107, v85
	s_wait_alu 0xf1ff
	v_add_co_ci_u32_e64 v95, null, 0, v95, s4
	v_add_co_u32 v106, s4, v110, v85
	v_add_co_ci_u32_e64 v105, null, 0, v109, s3
	v_pk_fma_f16 v108, v2, v39, v6
	v_pk_fma_f16 v109, v3, v39, v7
	;; [unrolled: 1-line block ×4, first 2 shown]
	s_barrier_signal -1
	s_barrier_wait -1
	global_inv scope:SCOPE_SE
	ds_load_2addr_b64 v[0:3], v70 offset1:32
	ds_load_b128 v[4:7], v86 offset:16
	ds_load_2addr_b64 v[8:11], v70 offset0:64 offset1:96
	ds_load_2addr_b64 v[12:15], v70 offset0:128 offset1:160
	;; [unrolled: 1-line block ×3, first 2 shown]
	ds_load_2addr_b64 v[20:23], v93 offset1:32
	ds_load_2addr_b64 v[24:27], v93 offset0:64 offset1:96
	ds_load_2addr_b64 v[28:31], v93 offset0:128 offset1:160
	;; [unrolled: 1-line block ×3, first 2 shown]
	s_wait_loadcnt_dscnt 0x0
	s_barrier_signal -1
	s_barrier_wait -1
	global_inv scope:SCOPE_SE
	s_clause 0x3
	global_load_b128 v[36:39], v[40:41], off
	global_load_b128 v[40:43], v[42:43], off
	;; [unrolled: 1-line block ×4, first 2 shown]
	v_dual_mov_b32 v112, v81 :: v_dual_mov_b32 v81, v99
	v_add_co_ci_u32_e64 v114, null, s41, v66, s8
	s_wait_loadcnt 0x3
	ds_store_b128 v88, v[36:39]
	s_wait_loadcnt 0x2
	ds_store_b128 v89, v[40:43]
	;; [unrolled: 2-line block ×4, first 2 shown]
	v_dual_fmac_f32 v81, v112, v98 :: v_dual_and_b32 v98, 0xffff, v4
	v_lshrrev_b32_e32 v4, 16, v4
	v_lshrrev_b32_e32 v99, 16, v6
	v_and_b32_e32 v6, 0xffff, v6
	s_wait_alu 0xf1ff
	v_add_co_ci_u32_e64 v107, null, 0, v114, s4
	v_mul_u32_u24_e32 v98, 0x10001, v98
	v_mul_u32_u24_e32 v4, 0x10001, v4
	;; [unrolled: 1-line block ×3, first 2 shown]
	s_wait_dscnt 0x0
	s_barrier_signal -1
	v_pk_fma_f16 v0, v0, v98, v110
	v_pk_fma_f16 v1, v1, v98, v111
	v_pk_fma_f16 v2, v2, v98, v108
	v_pk_fma_f16 v3, v3, v98, v109
	v_lshrrev_b32_e32 v98, 16, v5
	v_and_b32_e32 v5, 0xffff, v5
	v_pk_fma_f16 v0, v8, v4, v0
	v_pk_fma_f16 v1, v9, v4, v1
	;; [unrolled: 1-line block ×4, first 2 shown]
	v_mul_u32_u24_e32 v5, 0x10001, v5
	v_lshrrev_b32_e32 v108, 16, v7
	v_and_b32_e32 v109, 0xffff, v7
	v_mul_u32_u24_e32 v7, 0x10001, v98
	v_mul_u32_u24_e32 v98, 0x10001, v99
	v_pk_fma_f16 v0, v12, v5, v0
	v_pk_fma_f16 v1, v13, v5, v1
	;; [unrolled: 1-line block ×4, first 2 shown]
	s_barrier_wait -1
	v_pk_fma_f16 v0, v16, v7, v0
	v_pk_fma_f16 v1, v17, v7, v1
	v_pk_fma_f16 v2, v18, v7, v2
	v_pk_fma_f16 v3, v19, v7, v3
	global_inv scope:SCOPE_SE
	v_pk_fma_f16 v0, v20, v6, v0
	v_pk_fma_f16 v1, v21, v6, v1
	v_pk_fma_f16 v2, v22, v6, v2
	v_pk_fma_f16 v3, v23, v6, v3
	s_delay_alu instid0(VALU_DEP_4) | instskip(NEXT) | instid1(VALU_DEP_4)
	v_pk_fma_f16 v110, v24, v98, v0
	v_pk_fma_f16 v111, v25, v98, v1
	s_delay_alu instid0(VALU_DEP_4) | instskip(NEXT) | instid1(VALU_DEP_4)
	v_pk_fma_f16 v112, v26, v98, v2
	v_pk_fma_f16 v113, v27, v98, v3
	ds_load_2addr_b64 v[0:3], v70 offset1:32
	ds_load_b128 v[4:7], v86 offset:32
	ds_load_2addr_b64 v[8:11], v70 offset0:64 offset1:96
	ds_load_2addr_b64 v[12:15], v70 offset0:128 offset1:160
	;; [unrolled: 1-line block ×3, first 2 shown]
	ds_load_2addr_b64 v[20:23], v93 offset1:32
	ds_load_2addr_b64 v[24:27], v93 offset0:64 offset1:96
	ds_load_2addr_b64 v[36:39], v93 offset0:128 offset1:160
	;; [unrolled: 1-line block ×3, first 2 shown]
	s_wait_loadcnt_dscnt 0x0
	s_barrier_signal -1
	s_barrier_wait -1
	global_inv scope:SCOPE_SE
	s_clause 0x3
	global_load_b128 v[44:47], v[100:101], off
	global_load_b128 v[94:97], v[102:103], off
	;; [unrolled: 1-line block ×4, first 2 shown]
	v_mul_u32_u24_e32 v106, 0x10001, v109
	v_mul_u32_u24_e32 v107, 0x10001, v108
	s_wait_loadcnt 0x3
	ds_store_b128 v88, v[44:47]
	s_wait_loadcnt 0x2
	ds_store_b128 v89, v[94:97]
	;; [unrolled: 2-line block ×4, first 2 shown]
	v_pk_fma_f16 v28, v28, v106, v110
	v_pk_fma_f16 v29, v29, v106, v111
	v_pk_fma_f16 v30, v30, v106, v112
	v_pk_fma_f16 v31, v31, v106, v113
	s_wait_dscnt 0x0
	v_pk_fma_f16 v28, v32, v107, v28
	v_lshrrev_b32_e32 v32, 16, v4
	v_and_b32_e32 v4, 0xffff, v4
	v_pk_fma_f16 v29, v33, v107, v29
	v_pk_fma_f16 v30, v34, v107, v30
	;; [unrolled: 1-line block ×3, first 2 shown]
	v_lshrrev_b32_e32 v33, 16, v5
	v_mul_u32_u24_e32 v4, 0x10001, v4
	v_and_b32_e32 v5, 0xffff, v5
	v_mul_u32_u24_e32 v32, 0x10001, v32
	v_lshrrev_b32_e32 v34, 16, v6
	v_and_b32_e32 v6, 0xffff, v6
	v_pk_fma_f16 v0, v0, v4, v28
	v_pk_fma_f16 v1, v1, v4, v29
	v_pk_fma_f16 v2, v2, v4, v30
	v_pk_fma_f16 v3, v3, v4, v31
	v_mul_u32_u24_e32 v5, 0x10001, v5
	v_pk_fma_f16 v0, v8, v32, v0
	v_pk_fma_f16 v1, v9, v32, v1
	v_pk_fma_f16 v2, v10, v32, v2
	v_pk_fma_f16 v3, v11, v32, v3
	v_mul_u32_u24_e32 v33, 0x10001, v33
	;; [unrolled: 5-line block ×3, first 2 shown]
	v_pk_fma_f16 v0, v16, v33, v0
	v_pk_fma_f16 v1, v17, v33, v1
	v_pk_fma_f16 v2, v18, v33, v2
	v_pk_fma_f16 v3, v19, v33, v3
	v_lshrrev_b32_e32 v35, 16, v7
	v_and_b32_e32 v7, 0xffff, v7
	v_mul_u32_u24_e32 v34, 0x10001, v34
	v_pk_fma_f16 v0, v20, v6, v0
	v_pk_fma_f16 v1, v21, v6, v1
	v_pk_fma_f16 v2, v22, v6, v2
	v_pk_fma_f16 v3, v23, v6, v3
	v_mul_u32_u24_e32 v7, 0x10001, v7
	v_pk_fma_f16 v0, v24, v34, v0
	v_pk_fma_f16 v1, v25, v34, v1
	v_pk_fma_f16 v2, v26, v34, v2
	v_pk_fma_f16 v3, v27, v34, v3
	;; [unrolled: 5-line block ×3, first 2 shown]
	s_barrier_signal -1
	v_pk_fma_f16 v36, v40, v35, v0
	v_pk_fma_f16 v37, v41, v35, v1
	;; [unrolled: 1-line block ×4, first 2 shown]
	s_barrier_wait -1
	global_inv scope:SCOPE_SE
	ds_load_2addr_b64 v[0:3], v70 offset1:32
	ds_load_b128 v[4:7], v86 offset:48
	ds_load_2addr_b64 v[8:11], v70 offset0:64 offset1:96
	ds_load_2addr_b64 v[12:15], v70 offset0:128 offset1:160
	;; [unrolled: 1-line block ×3, first 2 shown]
	ds_load_2addr_b64 v[20:23], v93 offset1:32
	ds_load_2addr_b64 v[24:27], v93 offset0:64 offset1:96
	ds_load_2addr_b64 v[28:31], v93 offset0:128 offset1:160
	;; [unrolled: 1-line block ×3, first 2 shown]
	s_wait_loadcnt_dscnt 0x0
	s_barrier_signal -1
	s_barrier_wait -1
	global_inv scope:SCOPE_SE
	s_load_b32 s2, s[38:39], 0x4
	v_lshrrev_b32_e32 v40, 16, v4
	v_and_b32_e32 v4, 0xffff, v4
	v_lshrrev_b32_e32 v41, 16, v5
	v_and_b32_e32 v5, 0xffff, v5
	v_lshrrev_b32_e32 v42, 16, v6
	v_mul_u32_u24_e32 v40, 0x10001, v40
	v_mul_u32_u24_e32 v4, 0x10001, v4
	v_and_b32_e32 v6, 0xffff, v6
	v_lshrrev_b32_e32 v43, 16, v7
	v_and_b32_e32 v7, 0xffff, v7
	s_delay_alu instid0(VALU_DEP_4)
	v_pk_fma_f16 v0, v0, v4, v36
	v_pk_fma_f16 v1, v1, v4, v37
	v_pk_fma_f16 v2, v2, v4, v38
	v_pk_fma_f16 v3, v3, v4, v39
	v_mul_u32_u24_e32 v4, 0x10001, v5
	v_pk_fma_f16 v0, v8, v40, v0
	v_pk_fma_f16 v1, v9, v40, v1
	v_pk_fma_f16 v2, v10, v40, v2
	v_pk_fma_f16 v3, v11, v40, v3
	v_mul_u32_u24_e32 v5, 0x10001, v41
	;; [unrolled: 5-line block ×6, first 2 shown]
	v_pk_fma_f16 v0, v28, v4, v0
	v_pk_fma_f16 v1, v29, v4, v1
	;; [unrolled: 1-line block ×4, first 2 shown]
	s_wait_kmcnt 0x0
	s_lshl_b32 s2, s2, 5
	v_pk_fma_f16 v95, v32, v5, v0
	v_pk_fma_f16 v96, v33, v5, v1
	;; [unrolled: 1-line block ×4, first 2 shown]
	s_wait_alu 0xfffe
	s_add_co_i32 s14, s2, s14
	s_wait_alu 0xfffe
	s_cmp_ge_i32 s14, s30
	s_cbranch_scc0 .LBB39_9
; %bb.10:
	v_mov_b32_e32 v3, v72
.LBB39_11:
	v_cmp_lt_i32_e32 vcc_lo, v78, v73
	s_cmp_lg_u64 s[12:13], 0
	s_cselect_b32 s2, -1, 0
	s_cmp_eq_u32 s10, 0
	s_wait_alu 0xfffd
	v_cndmask_b32_e32 v0, v3, v78, vcc_lo
	v_cmp_lt_i32_e32 vcc_lo, v77, v73
	s_cselect_b32 s3, -1, 0
	s_wait_alu 0xfffe
	s_and_b32 s2, s3, s2
	s_wait_alu 0xfffd
	v_cndmask_b32_e32 v1, v3, v77, vcc_lo
	v_cmp_lt_i32_e32 vcc_lo, v76, v73
	s_delay_alu instid0(VALU_DEP_2)
	v_lshlrev_b32_e32 v1, 2, v1
	v_lshlrev_b32_e32 v0, 2, v0
	s_wait_alu 0xfffd
	v_cndmask_b32_e32 v2, v3, v76, vcc_lo
	v_cmp_lt_i32_e32 vcc_lo, v75, v73
	ds_bpermute_b32 v0, v0, v81
	v_lshlrev_b32_e32 v2, 2, v2
	s_wait_dscnt 0x0
	v_add_f32_e32 v0, v81, v0
	ds_bpermute_b32 v1, v1, v0
	s_wait_dscnt 0x0
	v_add_f32_e32 v0, v0, v1
	ds_bpermute_b32 v1, v2, v0
	s_wait_alu 0xfffd
	v_cndmask_b32_e32 v2, v3, v75, vcc_lo
	v_cmp_lt_i32_e32 vcc_lo, v74, v73
	s_delay_alu instid0(VALU_DEP_2)
	v_lshlrev_b32_e32 v2, 2, v2
	s_wait_dscnt 0x0
	v_add_f32_e32 v0, v0, v1
	ds_bpermute_b32 v1, v2, v0
	s_wait_alu 0xfffd
	v_cndmask_b32_e32 v2, v3, v74, vcc_lo
	s_wait_alu 0xfffe
	s_and_b32 vcc_lo, exec_lo, s2
	s_wait_dscnt 0x0
	s_delay_alu instid0(VALU_DEP_1)
	v_dual_add_f32 v1, v0, v1 :: v_dual_lshlrev_b32 v2, 2, v2
	v_add_nc_u32_e32 v0, s33, v68
	ds_bpermute_b32 v2, v2, v1
	s_wait_dscnt 0x0
	v_add_f32_e32 v68, v1, v2
	s_wait_alu 0xfffe
	s_cbranch_vccz .LBB39_13
; %bb.12:
	v_ashrrev_i32_e32 v1, 31, v0
	s_delay_alu instid0(VALU_DEP_1) | instskip(NEXT) | instid1(VALU_DEP_1)
	v_lshlrev_b64_e32 v[1:2], 2, v[0:1]
	v_add_co_u32 v1, vcc_lo, s12, v1
	s_wait_alu 0xfffd
	s_delay_alu instid0(VALU_DEP_2) | instskip(SKIP_3) | instid1(VALU_DEP_1)
	v_add_co_ci_u32_e64 v2, null, s13, v2, vcc_lo
	global_load_b32 v1, v[1:2], off
	s_wait_loadcnt 0x0
	v_dual_max_num_f32 v2, v67, v67 :: v_dual_max_num_f32 v3, v1, v1
	v_max_num_f32_e32 v2, v2, v3
	s_delay_alu instid0(VALU_DEP_1) | instskip(NEXT) | instid1(VALU_DEP_1)
	v_sub_f32_e32 v1, v1, v2
	v_mul_f32_e32 v7, 0x3fb8aa3b, v1
	v_sub_f32_e32 v3, v67, v2
	v_mov_b32_e32 v67, v2
	s_delay_alu instid0(VALU_DEP_3) | instskip(NEXT) | instid1(VALU_DEP_3)
	v_rndne_f32_e32 v9, v7
	v_mul_f32_e32 v4, 0x3fb8aa3b, v3
	s_delay_alu instid0(VALU_DEP_1) | instskip(SKIP_1) | instid1(VALU_DEP_1)
	v_fma_f32 v5, 0x3fb8aa3b, v3, -v4
	v_rndne_f32_e32 v6, v4
	v_dual_fmac_f32 v5, 0x32a5705f, v3 :: v_dual_sub_f32 v4, v4, v6
	v_cvt_i32_f32_e32 v6, v6
	s_delay_alu instid0(VALU_DEP_2) | instskip(SKIP_2) | instid1(VALU_DEP_3)
	v_add_f32_e32 v4, v4, v5
	v_cmp_ngt_f32_e32 vcc_lo, 0xc2ce8ed0, v3
	v_sub_f32_e32 v5, v7, v9
	v_exp_f32_e32 v4, v4
	s_delay_alu instid0(TRANS32_DEP_1) | instskip(SKIP_2) | instid1(VALU_DEP_2)
	v_ldexp_f32 v4, v4, v6
	v_cvt_i32_f32_e32 v6, v9
	s_wait_alu 0xfffd
	v_cndmask_b32_e32 v4, 0, v4, vcc_lo
	v_fma_f32 v8, 0x3fb8aa3b, v1, -v7
	v_cmp_nlt_f32_e32 vcc_lo, 0x42b17218, v3
	s_wait_alu 0xfffd
	s_delay_alu instid0(VALU_DEP_3) | instskip(NEXT) | instid1(VALU_DEP_3)
	v_cndmask_b32_e32 v3, 0x7f800000, v4, vcc_lo
	v_fmac_f32_e32 v8, 0x32a5705f, v1
	v_cmp_ngt_f32_e32 vcc_lo, 0xc2ce8ed0, v1
	s_delay_alu instid0(VALU_DEP_2) | instskip(NEXT) | instid1(VALU_DEP_1)
	v_add_f32_e32 v5, v5, v8
	v_exp_f32_e32 v5, v5
	s_delay_alu instid0(TRANS32_DEP_1) | instskip(SKIP_1) | instid1(VALU_DEP_1)
	v_ldexp_f32 v5, v5, v6
	s_wait_alu 0xfffd
	v_cndmask_b32_e32 v4, 0, v5, vcc_lo
	v_cmp_nlt_f32_e32 vcc_lo, 0x42b17218, v1
	s_wait_alu 0xfffd
	s_delay_alu instid0(VALU_DEP_2) | instskip(NEXT) | instid1(VALU_DEP_1)
	v_cndmask_b32_e32 v1, 0x7f800000, v4, vcc_lo
	v_fmac_f32_e32 v1, v68, v3
	s_delay_alu instid0(VALU_DEP_1) | instskip(SKIP_1) | instid1(VALU_DEP_1)
	v_mov_b32_e32 v68, v1
	v_cvt_f16_f32_e32 v5, v3
	v_and_b32_e32 v4, 0xffff, v5
	s_delay_alu instid0(VALU_DEP_1) | instskip(NEXT) | instid1(VALU_DEP_1)
	v_mul_u32_u24_e32 v3, 0x10001, v4
	v_pk_mul_f16 v95, v95, v3
	v_pk_mul_f16 v96, v96, v3
	;; [unrolled: 1-line block ×4, first 2 shown]
.LBB39_13:
	s_delay_alu instid0(VALU_DEP_1)
	v_div_scale_f32 v3, null, v68, v68, 1.0
	s_load_b32 s1, s[0:1], 0xd4
	v_mad_co_u64_u32 v[1:2], null, s28, s22, v[48:49]
	v_rcp_f32_e32 v5, v3
	v_div_scale_f32 v4, vcc_lo, 1.0, v68, 1.0
	v_cvt_f32_f16_e32 v7, v96
	v_lshrrev_b32_e32 v9, 16, v95
	v_lshrrev_b32_e32 v6, 16, v96
	v_mad_co_u64_u32 v[0:1], null, v1, s23, v[0:1]
	v_lshrrev_b32_e32 v10, 16, v94
	s_delay_alu instid0(VALU_DEP_4) | instskip(NEXT) | instid1(TRANS32_DEP_1)
	v_cvt_f32_f16_e32 v16, v9
	v_fma_f32 v2, -v3, v5, 1.0
	v_cvt_f32_f16_e32 v6, v6
	v_lshrrev_b32_e32 v11, 16, v97
	v_cvt_f32_f16_e32 v13, v95
	v_cvt_f32_f16_e32 v14, v94
	v_dual_fmac_f32 v5, v2, v5 :: v_dual_mov_b32 v2, 0
	s_wait_kmcnt 0x0
	v_mad_co_u64_u32 v[0:1], null, s1, v0, s[10:11]
	s_cmp_lg_u32 s1, 1
	v_mul_f32_e32 v8, v4, v5
	s_cselect_b32 s1, -1, 0
	v_cvt_f32_f16_e32 v15, v97
	v_cvt_f32_f16_e32 v17, v11
	v_cmp_eq_u32_e64 s0, 0, v49
	v_fma_f32 v1, -v3, v8, v4
	s_wait_alu 0xfffe
	s_and_b32 s0, s0, s1
	s_delay_alu instid0(VALU_DEP_1) | instskip(SKIP_1) | instid1(VALU_DEP_2)
	v_fmac_f32_e32 v8, v1, v5
	v_lshl_add_u32 v1, v0, 8, v69
	v_fma_f32 v9, -v3, v8, v4
	s_delay_alu instid0(VALU_DEP_2) | instskip(SKIP_1) | instid1(VALU_DEP_2)
	v_lshlrev_b64_e32 v[3:4], 2, v[1:2]
	s_wait_alu 0xfffd
	v_div_fmas_f32 v5, v9, v5, v8
	v_cvt_f32_f16_e32 v8, v10
	s_delay_alu instid0(VALU_DEP_3) | instskip(SKIP_3) | instid1(VALU_DEP_1)
	v_add_co_u32 v9, vcc_lo, s16, v3
	s_wait_alu 0xfffd
	v_add_co_ci_u32_e64 v10, null, s17, v4, vcc_lo
	v_div_fixup_f32 v5, v5, v68, 1.0
	v_cndmask_b32_e64 v5, v5, 1.0, s1
	s_delay_alu instid0(VALU_DEP_1) | instskip(NEXT) | instid1(VALU_DEP_1)
	v_dual_mul_f32 v4, v5, v6 :: v_dual_add_nc_u32 v1, 0x80, v1
	v_lshlrev_b64_e32 v[1:2], 2, v[1:2]
	v_mul_f32_e32 v3, v5, v7
	v_mul_f32_e32 v8, v5, v8
	;; [unrolled: 1-line block ×4, first 2 shown]
	v_add_co_u32 v11, vcc_lo, s16, v1
	s_wait_alu 0xfffd
	v_add_co_ci_u32_e64 v12, null, s17, v2, vcc_lo
	v_mul_f32_e32 v2, v5, v16
	v_mul_f32_e32 v1, v5, v13
	;; [unrolled: 1-line block ×3, first 2 shown]
	s_clause 0x1
	global_store_b128 v[9:10], v[1:4], off
	global_store_b128 v[11:12], v[5:8], off
	s_wait_alu 0xfffe
	s_and_saveexec_b32 s1, s0
	s_cbranch_execz .LBB39_15
; %bb.14:
	v_ashrrev_i32_e32 v1, 31, v0
	s_delay_alu instid0(VALU_DEP_1) | instskip(NEXT) | instid1(VALU_DEP_1)
	v_lshlrev_b64_e32 v[0:1], 3, v[0:1]
	v_add_co_u32 v0, vcc_lo, s18, v0
	s_wait_alu 0xfffd
	s_delay_alu instid0(VALU_DEP_2)
	v_add_co_ci_u32_e64 v1, null, s19, v1, vcc_lo
	global_store_b64 v[0:1], v[67:68], off
.LBB39_15:
	s_nop 0
	s_sendmsg sendmsg(MSG_DEALLOC_VGPRS)
	s_endpgm
	.section	.rodata,"a",@progbits
	.p2align	6, 0x0
	.amdhsa_kernel _ZL15flash_attn_tileILi256ELi256ELi1ELi2ELb0EEvPKcS1_S1_S1_S1_PKiPfP15HIP_vector_typeIfLj2EEffffjfiS5_IjLj3EEiiiiiiiiiiiliiliiiiil
		.amdhsa_group_segment_fixed_size 5760
		.amdhsa_private_segment_fixed_size 0
		.amdhsa_kernarg_size 464
		.amdhsa_user_sgpr_count 2
		.amdhsa_user_sgpr_dispatch_ptr 0
		.amdhsa_user_sgpr_queue_ptr 0
		.amdhsa_user_sgpr_kernarg_segment_ptr 1
		.amdhsa_user_sgpr_dispatch_id 0
		.amdhsa_user_sgpr_private_segment_size 0
		.amdhsa_wavefront_size32 1
		.amdhsa_uses_dynamic_stack 0
		.amdhsa_enable_private_segment 0
		.amdhsa_system_sgpr_workgroup_id_x 1
		.amdhsa_system_sgpr_workgroup_id_y 1
		.amdhsa_system_sgpr_workgroup_id_z 1
		.amdhsa_system_sgpr_workgroup_info 0
		.amdhsa_system_vgpr_workitem_id 1
		.amdhsa_next_free_vgpr 115
		.amdhsa_next_free_sgpr 42
		.amdhsa_reserve_vcc 1
		.amdhsa_float_round_mode_32 0
		.amdhsa_float_round_mode_16_64 0
		.amdhsa_float_denorm_mode_32 3
		.amdhsa_float_denorm_mode_16_64 3
		.amdhsa_fp16_overflow 0
		.amdhsa_workgroup_processor_mode 1
		.amdhsa_memory_ordered 1
		.amdhsa_forward_progress 1
		.amdhsa_inst_pref_size 63
		.amdhsa_round_robin_scheduling 0
		.amdhsa_exception_fp_ieee_invalid_op 0
		.amdhsa_exception_fp_denorm_src 0
		.amdhsa_exception_fp_ieee_div_zero 0
		.amdhsa_exception_fp_ieee_overflow 0
		.amdhsa_exception_fp_ieee_underflow 0
		.amdhsa_exception_fp_ieee_inexact 0
		.amdhsa_exception_int_div_zero 0
	.end_amdhsa_kernel
	.section	.text._ZL15flash_attn_tileILi256ELi256ELi1ELi2ELb0EEvPKcS1_S1_S1_S1_PKiPfP15HIP_vector_typeIfLj2EEffffjfiS5_IjLj3EEiiiiiiiiiiiliiliiiiil,"axG",@progbits,_ZL15flash_attn_tileILi256ELi256ELi1ELi2ELb0EEvPKcS1_S1_S1_S1_PKiPfP15HIP_vector_typeIfLj2EEffffjfiS5_IjLj3EEiiiiiiiiiiiliiliiiiil,comdat
.Lfunc_end39:
	.size	_ZL15flash_attn_tileILi256ELi256ELi1ELi2ELb0EEvPKcS1_S1_S1_S1_PKiPfP15HIP_vector_typeIfLj2EEffffjfiS5_IjLj3EEiiiiiiiiiiiliiliiiiil, .Lfunc_end39-_ZL15flash_attn_tileILi256ELi256ELi1ELi2ELb0EEvPKcS1_S1_S1_S1_PKiPfP15HIP_vector_typeIfLj2EEffffjfiS5_IjLj3EEiiiiiiiiiiiliiliiiiil
                                        ; -- End function
	.set _ZL15flash_attn_tileILi256ELi256ELi1ELi2ELb0EEvPKcS1_S1_S1_S1_PKiPfP15HIP_vector_typeIfLj2EEffffjfiS5_IjLj3EEiiiiiiiiiiiliiliiiiil.num_vgpr, 115
	.set _ZL15flash_attn_tileILi256ELi256ELi1ELi2ELb0EEvPKcS1_S1_S1_S1_PKiPfP15HIP_vector_typeIfLj2EEffffjfiS5_IjLj3EEiiiiiiiiiiiliiliiiiil.num_agpr, 0
	.set _ZL15flash_attn_tileILi256ELi256ELi1ELi2ELb0EEvPKcS1_S1_S1_S1_PKiPfP15HIP_vector_typeIfLj2EEffffjfiS5_IjLj3EEiiiiiiiiiiiliiliiiiil.numbered_sgpr, 42
	.set _ZL15flash_attn_tileILi256ELi256ELi1ELi2ELb0EEvPKcS1_S1_S1_S1_PKiPfP15HIP_vector_typeIfLj2EEffffjfiS5_IjLj3EEiiiiiiiiiiiliiliiiiil.num_named_barrier, 0
	.set _ZL15flash_attn_tileILi256ELi256ELi1ELi2ELb0EEvPKcS1_S1_S1_S1_PKiPfP15HIP_vector_typeIfLj2EEffffjfiS5_IjLj3EEiiiiiiiiiiiliiliiiiil.private_seg_size, 0
	.set _ZL15flash_attn_tileILi256ELi256ELi1ELi2ELb0EEvPKcS1_S1_S1_S1_PKiPfP15HIP_vector_typeIfLj2EEffffjfiS5_IjLj3EEiiiiiiiiiiiliiliiiiil.uses_vcc, 1
	.set _ZL15flash_attn_tileILi256ELi256ELi1ELi2ELb0EEvPKcS1_S1_S1_S1_PKiPfP15HIP_vector_typeIfLj2EEffffjfiS5_IjLj3EEiiiiiiiiiiiliiliiiiil.uses_flat_scratch, 0
	.set _ZL15flash_attn_tileILi256ELi256ELi1ELi2ELb0EEvPKcS1_S1_S1_S1_PKiPfP15HIP_vector_typeIfLj2EEffffjfiS5_IjLj3EEiiiiiiiiiiiliiliiiiil.has_dyn_sized_stack, 0
	.set _ZL15flash_attn_tileILi256ELi256ELi1ELi2ELb0EEvPKcS1_S1_S1_S1_PKiPfP15HIP_vector_typeIfLj2EEffffjfiS5_IjLj3EEiiiiiiiiiiiliiliiiiil.has_recursion, 0
	.set _ZL15flash_attn_tileILi256ELi256ELi1ELi2ELb0EEvPKcS1_S1_S1_S1_PKiPfP15HIP_vector_typeIfLj2EEffffjfiS5_IjLj3EEiiiiiiiiiiiliiliiiiil.has_indirect_call, 0
	.section	.AMDGPU.csdata,"",@progbits
; Kernel info:
; codeLenInByte = 7980
; TotalNumSgprs: 44
; NumVgprs: 115
; ScratchSize: 0
; MemoryBound: 0
; FloatMode: 240
; IeeeMode: 1
; LDSByteSize: 5760 bytes/workgroup (compile time only)
; SGPRBlocks: 0
; VGPRBlocks: 14
; NumSGPRsForWavesPerEU: 44
; NumVGPRsForWavesPerEU: 115
; Occupancy: 11
; WaveLimiterHint : 1
; COMPUTE_PGM_RSRC2:SCRATCH_EN: 0
; COMPUTE_PGM_RSRC2:USER_SGPR: 2
; COMPUTE_PGM_RSRC2:TRAP_HANDLER: 0
; COMPUTE_PGM_RSRC2:TGID_X_EN: 1
; COMPUTE_PGM_RSRC2:TGID_Y_EN: 1
; COMPUTE_PGM_RSRC2:TGID_Z_EN: 1
; COMPUTE_PGM_RSRC2:TIDIG_COMP_CNT: 1
	.section	.text._ZL33flash_attn_stream_k_fixup_uniformILi256ELi1ELi2EEvPfPK15HIP_vector_typeIfLj2EEiiiiiiS1_IjLj3EES5_S5_,"axG",@progbits,_ZL33flash_attn_stream_k_fixup_uniformILi256ELi1ELi2EEvPfPK15HIP_vector_typeIfLj2EEiiiiiiS1_IjLj3EES5_S5_,comdat
	.globl	_ZL33flash_attn_stream_k_fixup_uniformILi256ELi1ELi2EEvPfPK15HIP_vector_typeIfLj2EEiiiiiiS1_IjLj3EES5_S5_ ; -- Begin function _ZL33flash_attn_stream_k_fixup_uniformILi256ELi1ELi2EEvPfPK15HIP_vector_typeIfLj2EEiiiiiiS1_IjLj3EES5_S5_
	.p2align	8
	.type	_ZL33flash_attn_stream_k_fixup_uniformILi256ELi1ELi2EEvPfPK15HIP_vector_typeIfLj2EEiiiiiiS1_IjLj3EES5_S5_,@function
_ZL33flash_attn_stream_k_fixup_uniformILi256ELi1ELi2EEvPfPK15HIP_vector_typeIfLj2EEiiiiiiS1_IjLj3EES5_S5_: ; @_ZL33flash_attn_stream_k_fixup_uniformILi256ELi1ELi2EEvPfPK15HIP_vector_typeIfLj2EEiiiiiiS1_IjLj3EES5_S5_
; %bb.0:
	s_clause 0x1
	s_load_b256 s[4:11], s[0:1], 0x1c
	s_load_b128 s[16:19], s[0:1], 0x3c
	s_wait_kmcnt 0x0
	s_mul_hi_u32 s2, s7, ttmp9
	s_delay_alu instid0(SALU_CYCLE_1) | instskip(NEXT) | instid1(SALU_CYCLE_1)
	s_add_co_i32 s2, ttmp9, s2
	s_lshr_b32 s12, s2, s8
	s_delay_alu instid0(SALU_CYCLE_1) | instskip(SKIP_2) | instid1(SALU_CYCLE_1)
	s_mul_i32 s2, s12, s9
	s_load_b64 s[8:9], s[0:1], 0x10
	s_sub_co_i32 s2, ttmp9, s2
	s_mul_hi_u32 s3, s2, s10
	s_and_b32 s10, ttmp7, 0xffff
	s_add_co_i32 s3, s2, s3
	s_delay_alu instid0(SALU_CYCLE_1) | instskip(NEXT) | instid1(SALU_CYCLE_1)
	s_lshr_b32 s11, s3, s11
	s_mul_i32 s3, s11, s16
	s_delay_alu instid0(SALU_CYCLE_1) | instskip(NEXT) | instid1(SALU_CYCLE_1)
	s_sub_co_i32 s2, s2, s3
	s_mul_hi_u32 s3, s2, s17
	s_delay_alu instid0(SALU_CYCLE_1) | instskip(NEXT) | instid1(SALU_CYCLE_1)
	s_add_co_i32 s3, s2, s3
	s_lshr_b32 s3, s3, s18
	s_delay_alu instid0(SALU_CYCLE_1)
	s_mul_i32 s7, s3, s19
	s_lshl_b32 s14, s3, 1
	s_sub_co_i32 s13, s2, s7
	s_lshr_b32 s7, ttmp7, 16
	s_add_co_i32 s13, s13, s10
	s_wait_kmcnt 0x0
	s_cmp_lt_i32 s13, s8
	s_cselect_b32 s2, -1, 0
	s_add_co_i32 s14, s14, s7
	s_delay_alu instid0(SALU_CYCLE_1) | instskip(SKIP_1) | instid1(SALU_CYCLE_1)
	s_cmp_lt_i32 s14, s5
	s_cselect_b32 s3, -1, 0
	s_and_b32 s2, s2, s3
	s_delay_alu instid0(SALU_CYCLE_1)
	s_and_not1_b32 vcc_lo, exec_lo, s2
	s_cbranch_vccnz .LBB40_6
; %bb.1:
	s_mul_i32 s12, s12, s8
	s_mul_i32 s11, s11, s5
	s_add_co_i32 s5, s13, s12
	s_load_b128 s[0:3], s[0:1], 0x0
	s_add_co_i32 s8, s14, s11
	s_mul_i32 s5, s5, s9
	s_delay_alu instid0(SALU_CYCLE_1) | instskip(NEXT) | instid1(SALU_CYCLE_1)
	s_add_co_i32 s8, s8, s5
	v_lshl_or_b32 v1, s8, 8, v0
	s_mul_i32 s8, s6, ttmp9
	s_wait_alu 0xfffe
	s_add_co_i32 s9, s8, s6
	s_delay_alu instid0(VALU_DEP_1) | instskip(SKIP_2) | instid1(VALU_DEP_1)
	v_ashrrev_i32_e32 v2, 31, v1
	s_wait_alu 0xfffe
	s_add_co_i32 s5, s9, -2
	v_lshlrev_b64_e32 v[1:2], 2, v[1:2]
	s_wait_kmcnt 0x0
	s_delay_alu instid0(VALU_DEP_1) | instskip(NEXT) | instid1(VALU_DEP_1)
	v_add_co_u32 v1, vcc_lo, s0, v1
	v_add_co_ci_u32_e64 v2, null, s1, v2, vcc_lo
	s_add_co_i32 s0, s10, s9
	s_wait_alu 0xfffe
	s_lshl_b32 s0, s0, 1
	global_load_b32 v5, v[1:2], off
	s_wait_alu 0xfffe
	s_add_co_i32 s0, s0, s7
	s_wait_alu 0xfffe
	s_add_co_i32 s0, s0, -2
	s_wait_alu 0xfffe
	s_ashr_i32 s1, s0, 31
	s_wait_alu 0xfffe
	s_lshl_b64 s[0:1], s[0:1], 3
	s_cmp_lt_i32 s5, s8
	s_wait_alu 0xfffe
	s_add_nc_u64 s[0:1], s[2:3], s[0:1]
	s_load_b32 s11, s[0:1], 0x4
	s_cbranch_scc1 .LBB40_4
; %bb.2:
	s_load_b32 s0, s[0:1], 0x0
	s_add_co_i32 s1, ttmp9, 1
	s_lshl_b32 s5, s7, 8
	s_wait_alu 0xfffe
	s_mul_i32 s1, s6, s1
	s_lshl_b32 s6, s10, 9
	s_wait_alu 0xfffe
	s_lshl_b32 s1, s1, 9
	s_add_co_i32 s5, s5, s6
	s_lshl_b32 s12, s4, 3
	s_wait_alu 0xfffe
	s_add_co_i32 s5, s5, s1
	s_add_co_i32 s1, s10, s4
	v_or_b32_e32 v0, s5, v0
	s_wait_alu 0xfffe
	s_add_co_i32 s1, s1, s9
	s_ashr_i32 s13, s12, 31
	s_wait_alu 0xfffe
	s_lshl_b32 s1, s1, 1
	s_wait_kmcnt 0x0
	v_dual_mov_b32 v6, s11 :: v_dual_add_nc_u32 v3, 0xfffffc00, v0
	s_lshl_b64 s[4:5], s[12:13], 2
	s_wait_alu 0xfffe
	s_add_co_i32 s6, s7, s1
	s_add_nc_u64 s[4:5], s[2:3], s[4:5]
	s_add_co_i32 s1, s9, -1
	s_add_co_i32 s6, s6, -4
.LBB40_3:                               ; =>This Inner Loop Header: Depth=1
	v_ashrrev_i32_e32 v4, 31, v3
	s_ashr_i32 s7, s6, 31
	v_mov_b32_e32 v10, v6
	s_lshl_b64 s[10:11], s[6:7], 3
	s_wait_loadcnt 0x0
	v_mov_b32_e32 v9, v5
	v_lshlrev_b64_e32 v[7:8], 2, v[3:4]
	s_wait_alu 0xfffe
	s_add_nc_u64 s[10:11], s[2:3], s[10:11]
	v_max_num_f32_e64 v4, s0, s0
	s_load_b64 s[10:11], s[10:11], 0x0
	v_add_nc_u32_e32 v3, 0xfffffe00, v3
	v_add_co_u32 v7, vcc_lo, s4, v7
	s_wait_alu 0xfffd
	v_add_co_ci_u32_e64 v8, null, s5, v8, vcc_lo
	v_readfirstlane_b32 s7, v4
	global_load_b32 v0, v[7:8], off
	s_wait_kmcnt 0x0
	v_max_num_f32_e64 v4, s10, s10
	s_delay_alu instid0(VALU_DEP_1) | instskip(SKIP_1) | instid1(SALU_CYCLE_3)
	v_readfirstlane_b32 s9, v4
	s_max_num_f32 s7, s7, s9
	s_sub_f32 s0, s0, s7
	s_sub_f32 s9, s10, s7
	s_wait_alu 0xfffe
	s_delay_alu instid0(SALU_CYCLE_1) | instskip(NEXT) | instid1(SALU_CYCLE_1)
	s_mul_f32 s10, s0, 0x3fb8aa3b
	s_mul_f32 s12, s9, 0x3fb8aa3b
	s_wait_alu 0xfffe
	s_delay_alu instid0(SALU_CYCLE_1)
	s_xor_b32 s13, s10, 0x80000000
	s_rndne_f32 s14, s10
	s_fmamk_f32 s13, s0, 0x3fb8aa3b, s13
	s_cmp_nlt_f32 s0, 0xc2ce8ed0
	s_rndne_f32 s15, s12
	s_wait_alu 0xfffe
	s_sub_f32 s10, s10, s14
	s_fmamk_f32 s13, s0, 0x32a5705f, s13
	s_cvt_i32_f32 s14, s14
	s_cselect_b32 vcc_lo, -1, 0
	s_cmp_ngt_f32 s0, 0x42b17218
	s_wait_alu 0xfffe
	s_add_f32 s10, s10, s13
	s_sub_f32 s13, s12, s15
	s_wait_alu 0xfffe
	s_delay_alu instid0(SALU_CYCLE_1) | instskip(SKIP_1) | instid1(TRANS32_DEP_1)
	v_s_exp_f32 s10, s10
	s_wait_alu 0xf1ff
	v_ldexp_f32 v4, s10, s14
	s_cvt_i32_f32 s10, s15
	s_delay_alu instid0(VALU_DEP_1) | instskip(SKIP_3) | instid1(VALU_DEP_1)
	v_cndmask_b32_e32 v4, 0, v4, vcc_lo
	s_cselect_b32 vcc_lo, -1, 0
	s_cmp_ge_f32 s0, 0xc1a00000
	s_wait_alu 0xfffe
	v_cndmask_b32_e32 v4, 0x7f800000, v4, vcc_lo
	s_cselect_b32 vcc_lo, -1, 0
	s_xor_b32 s0, s12, 0x80000000
	s_cmp_nlt_f32 s9, 0xc2ce8ed0
	s_wait_alu 0xfffe
	s_fmamk_f32 s0, s9, 0x3fb8aa3b, s0
	s_wait_alu 0xfffe
	s_delay_alu instid0(SALU_CYCLE_2) | instskip(SKIP_1) | instid1(SALU_CYCLE_2)
	s_fmamk_f32 s0, s9, 0x32a5705f, s0
	s_wait_alu 0xfffe
	s_add_f32 s0, s13, s0
	s_wait_alu 0xfffe
	s_delay_alu instid0(SALU_CYCLE_2) | instskip(SKIP_1) | instid1(TRANS32_DEP_1)
	v_s_exp_f32 s0, s0
	s_wait_alu 0xf1ff
	v_ldexp_f32 v7, s0, s10
	s_cselect_b32 s0, -1, 0
	s_cmp_ngt_f32 s9, 0x42b17218
	s_wait_alu 0xfffe
	s_delay_alu instid0(VALU_DEP_1) | instskip(SKIP_3) | instid1(VALU_DEP_1)
	v_cndmask_b32_e64 v7, 0, v7, s0
	s_cselect_b32 s0, -1, 0
	s_cmp_ge_f32 s9, 0xc1a00000
	s_wait_alu 0xfffe
	v_cndmask_b32_e64 v7, 0x7f800000, v7, s0
	s_cselect_b32 s0, -1, 0
	s_add_co_i32 s1, s1, -1
	s_add_co_i32 s6, s6, -2
	s_wait_alu 0xfffe
	s_cmp_le_i32 s1, s8
	v_cndmask_b32_e64 v7, 0, v7, s0
	s_mov_b32 s0, s7
	s_wait_loadcnt 0x0
	s_delay_alu instid0(VALU_DEP_1) | instskip(NEXT) | instid1(VALU_DEP_1)
	v_dual_mul_f32 v5, v0, v7 :: v_dual_cndmask_b32 v4, 0, v4
	v_dual_mul_f32 v8, s11, v7 :: v_dual_fmac_f32 v5, v9, v4
	s_delay_alu instid0(VALU_DEP_1) | instskip(NEXT) | instid1(VALU_DEP_1)
	v_mov_b32_e32 v6, v8
	v_fmac_f32_e32 v6, v10, v4
	s_cbranch_scc0 .LBB40_3
	s_branch .LBB40_5
.LBB40_4:
	s_wait_kmcnt 0x0
	v_mov_b32_e32 v6, s11
.LBB40_5:
	s_wait_loadcnt 0x0
	s_delay_alu instid0(VALU_DEP_1) | instskip(NEXT) | instid1(VALU_DEP_1)
	v_div_scale_f32 v0, null, v6, v6, v5
	v_rcp_f32_e32 v3, v0
	s_delay_alu instid0(TRANS32_DEP_1) | instskip(NEXT) | instid1(VALU_DEP_1)
	v_fma_f32 v4, -v0, v3, 1.0
	v_fmac_f32_e32 v3, v4, v3
	v_div_scale_f32 v4, vcc_lo, v5, v6, v5
	s_delay_alu instid0(VALU_DEP_1) | instskip(NEXT) | instid1(VALU_DEP_1)
	v_mul_f32_e32 v7, v4, v3
	v_fma_f32 v8, -v0, v7, v4
	s_delay_alu instid0(VALU_DEP_1) | instskip(NEXT) | instid1(VALU_DEP_1)
	v_fmac_f32_e32 v7, v8, v3
	v_fma_f32 v0, -v0, v7, v4
	s_wait_alu 0xfffd
	s_delay_alu instid0(VALU_DEP_1) | instskip(NEXT) | instid1(VALU_DEP_1)
	v_div_fmas_f32 v0, v0, v3, v7
	v_div_fixup_f32 v0, v0, v6, v5
	global_store_b32 v[1:2], v0, off
.LBB40_6:
	s_endpgm
	.section	.rodata,"a",@progbits
	.p2align	6, 0x0
	.amdhsa_kernel _ZL33flash_attn_stream_k_fixup_uniformILi256ELi1ELi2EEvPfPK15HIP_vector_typeIfLj2EEiiiiiiS1_IjLj3EES5_S5_
		.amdhsa_group_segment_fixed_size 0
		.amdhsa_private_segment_fixed_size 0
		.amdhsa_kernarg_size 76
		.amdhsa_user_sgpr_count 2
		.amdhsa_user_sgpr_dispatch_ptr 0
		.amdhsa_user_sgpr_queue_ptr 0
		.amdhsa_user_sgpr_kernarg_segment_ptr 1
		.amdhsa_user_sgpr_dispatch_id 0
		.amdhsa_user_sgpr_private_segment_size 0
		.amdhsa_wavefront_size32 1
		.amdhsa_uses_dynamic_stack 0
		.amdhsa_enable_private_segment 0
		.amdhsa_system_sgpr_workgroup_id_x 1
		.amdhsa_system_sgpr_workgroup_id_y 1
		.amdhsa_system_sgpr_workgroup_id_z 1
		.amdhsa_system_sgpr_workgroup_info 0
		.amdhsa_system_vgpr_workitem_id 0
		.amdhsa_next_free_vgpr 11
		.amdhsa_next_free_sgpr 20
		.amdhsa_reserve_vcc 1
		.amdhsa_float_round_mode_32 0
		.amdhsa_float_round_mode_16_64 0
		.amdhsa_float_denorm_mode_32 3
		.amdhsa_float_denorm_mode_16_64 3
		.amdhsa_fp16_overflow 0
		.amdhsa_workgroup_processor_mode 1
		.amdhsa_memory_ordered 1
		.amdhsa_forward_progress 1
		.amdhsa_inst_pref_size 9
		.amdhsa_round_robin_scheduling 0
		.amdhsa_exception_fp_ieee_invalid_op 0
		.amdhsa_exception_fp_denorm_src 0
		.amdhsa_exception_fp_ieee_div_zero 0
		.amdhsa_exception_fp_ieee_overflow 0
		.amdhsa_exception_fp_ieee_underflow 0
		.amdhsa_exception_fp_ieee_inexact 0
		.amdhsa_exception_int_div_zero 0
	.end_amdhsa_kernel
	.section	.text._ZL33flash_attn_stream_k_fixup_uniformILi256ELi1ELi2EEvPfPK15HIP_vector_typeIfLj2EEiiiiiiS1_IjLj3EES5_S5_,"axG",@progbits,_ZL33flash_attn_stream_k_fixup_uniformILi256ELi1ELi2EEvPfPK15HIP_vector_typeIfLj2EEiiiiiiS1_IjLj3EES5_S5_,comdat
.Lfunc_end40:
	.size	_ZL33flash_attn_stream_k_fixup_uniformILi256ELi1ELi2EEvPfPK15HIP_vector_typeIfLj2EEiiiiiiS1_IjLj3EES5_S5_, .Lfunc_end40-_ZL33flash_attn_stream_k_fixup_uniformILi256ELi1ELi2EEvPfPK15HIP_vector_typeIfLj2EEiiiiiiS1_IjLj3EES5_S5_
                                        ; -- End function
	.set _ZL33flash_attn_stream_k_fixup_uniformILi256ELi1ELi2EEvPfPK15HIP_vector_typeIfLj2EEiiiiiiS1_IjLj3EES5_S5_.num_vgpr, 11
	.set _ZL33flash_attn_stream_k_fixup_uniformILi256ELi1ELi2EEvPfPK15HIP_vector_typeIfLj2EEiiiiiiS1_IjLj3EES5_S5_.num_agpr, 0
	.set _ZL33flash_attn_stream_k_fixup_uniformILi256ELi1ELi2EEvPfPK15HIP_vector_typeIfLj2EEiiiiiiS1_IjLj3EES5_S5_.numbered_sgpr, 20
	.set _ZL33flash_attn_stream_k_fixup_uniformILi256ELi1ELi2EEvPfPK15HIP_vector_typeIfLj2EEiiiiiiS1_IjLj3EES5_S5_.num_named_barrier, 0
	.set _ZL33flash_attn_stream_k_fixup_uniformILi256ELi1ELi2EEvPfPK15HIP_vector_typeIfLj2EEiiiiiiS1_IjLj3EES5_S5_.private_seg_size, 0
	.set _ZL33flash_attn_stream_k_fixup_uniformILi256ELi1ELi2EEvPfPK15HIP_vector_typeIfLj2EEiiiiiiS1_IjLj3EES5_S5_.uses_vcc, 1
	.set _ZL33flash_attn_stream_k_fixup_uniformILi256ELi1ELi2EEvPfPK15HIP_vector_typeIfLj2EEiiiiiiS1_IjLj3EES5_S5_.uses_flat_scratch, 0
	.set _ZL33flash_attn_stream_k_fixup_uniformILi256ELi1ELi2EEvPfPK15HIP_vector_typeIfLj2EEiiiiiiS1_IjLj3EES5_S5_.has_dyn_sized_stack, 0
	.set _ZL33flash_attn_stream_k_fixup_uniformILi256ELi1ELi2EEvPfPK15HIP_vector_typeIfLj2EEiiiiiiS1_IjLj3EES5_S5_.has_recursion, 0
	.set _ZL33flash_attn_stream_k_fixup_uniformILi256ELi1ELi2EEvPfPK15HIP_vector_typeIfLj2EEiiiiiiS1_IjLj3EES5_S5_.has_indirect_call, 0
	.section	.AMDGPU.csdata,"",@progbits
; Kernel info:
; codeLenInByte = 1120
; TotalNumSgprs: 22
; NumVgprs: 11
; ScratchSize: 0
; MemoryBound: 0
; FloatMode: 240
; IeeeMode: 1
; LDSByteSize: 0 bytes/workgroup (compile time only)
; SGPRBlocks: 0
; VGPRBlocks: 1
; NumSGPRsForWavesPerEU: 22
; NumVGPRsForWavesPerEU: 11
; Occupancy: 16
; WaveLimiterHint : 0
; COMPUTE_PGM_RSRC2:SCRATCH_EN: 0
; COMPUTE_PGM_RSRC2:USER_SGPR: 2
; COMPUTE_PGM_RSRC2:TRAP_HANDLER: 0
; COMPUTE_PGM_RSRC2:TGID_X_EN: 1
; COMPUTE_PGM_RSRC2:TGID_Y_EN: 1
; COMPUTE_PGM_RSRC2:TGID_Z_EN: 1
; COMPUTE_PGM_RSRC2:TIDIG_COMP_CNT: 0
	.section	.text._ZL33flash_attn_stream_k_fixup_generalILi256ELi1ELi2EEvPfPK15HIP_vector_typeIfLj2EEiiiiS1_IjLj3EES5_S5_S5_,"axG",@progbits,_ZL33flash_attn_stream_k_fixup_generalILi256ELi1ELi2EEvPfPK15HIP_vector_typeIfLj2EEiiiiS1_IjLj3EES5_S5_S5_,comdat
	.globl	_ZL33flash_attn_stream_k_fixup_generalILi256ELi1ELi2EEvPfPK15HIP_vector_typeIfLj2EEiiiiS1_IjLj3EES5_S5_S5_ ; -- Begin function _ZL33flash_attn_stream_k_fixup_generalILi256ELi1ELi2EEvPfPK15HIP_vector_typeIfLj2EEiiiiS1_IjLj3EES5_S5_S5_
	.p2align	8
	.type	_ZL33flash_attn_stream_k_fixup_generalILi256ELi1ELi2EEvPfPK15HIP_vector_typeIfLj2EEiiiiS1_IjLj3EES5_S5_S5_,@function
_ZL33flash_attn_stream_k_fixup_generalILi256ELi1ELi2EEvPfPK15HIP_vector_typeIfLj2EEiiiiS1_IjLj3EES5_S5_S5_: ; @_ZL33flash_attn_stream_k_fixup_generalILi256ELi1ELi2EEvPfPK15HIP_vector_typeIfLj2EEiiiiS1_IjLj3EES5_S5_S5_
; %bb.0:
	s_clause 0x1
	s_load_b128 s[4:7], s[0:1], 0x10
	s_load_b32 s16, s[0:1], 0x50
	s_mov_b32 s2, ttmp9
	s_ashr_i32 s3, ttmp9, 31
	s_mov_b32 s17, 0
	s_delay_alu instid0(SALU_CYCLE_1) | instskip(SKIP_3) | instid1(SALU_CYCLE_1)
	s_mov_b32 s8, s17
	s_wait_kmcnt 0x0
	s_ashr_i32 s19, s7, 31
	s_mov_b32 s18, s7
	s_mul_u64 s[2:3], s[18:19], s[2:3]
	s_delay_alu instid0(SALU_CYCLE_1) | instskip(NEXT) | instid1(SALU_CYCLE_1)
	s_mov_b32 s9, s3
	s_cmp_lg_u64 s[8:9], 0
	s_cbranch_scc0 .LBB41_21
; %bb.1:
	s_add_nc_u64 s[8:9], s[16:17], 0
	s_mov_b32 s15, s17
	s_xor_b64 s[8:9], s[8:9], 0
	s_mov_b32 s23, s17
	s_cvt_f32_u32 s7, s8
	s_cvt_f32_u32 s10, s9
	s_sub_nc_u64 s[12:13], 0, s[8:9]
	s_delay_alu instid0(SALU_CYCLE_2) | instskip(NEXT) | instid1(SALU_CYCLE_3)
	s_fmamk_f32 s7, s10, 0x4f800000, s7
	v_s_rcp_f32 s7, s7
	s_delay_alu instid0(TRANS32_DEP_1) | instskip(SKIP_1) | instid1(SALU_CYCLE_2)
	s_mul_f32 s7, s7, 0x5f7ffffc
	s_wait_alu 0xfffe
	s_mul_f32 s10, s7, 0x2f800000
	s_delay_alu instid0(SALU_CYCLE_3) | instskip(NEXT) | instid1(SALU_CYCLE_3)
	s_trunc_f32 s10, s10
	s_fmamk_f32 s7, s10, 0xcf800000, s7
	s_cvt_u32_f32 s11, s10
	s_wait_alu 0xfffe
	s_delay_alu instid0(SALU_CYCLE_1) | instskip(NEXT) | instid1(SALU_CYCLE_3)
	s_cvt_u32_f32 s10, s7
	s_mul_u64 s[20:21], s[12:13], s[10:11]
	s_delay_alu instid0(SALU_CYCLE_1)
	s_mul_hi_u32 s25, s10, s21
	s_mul_i32 s24, s10, s21
	s_mul_hi_u32 s14, s10, s20
	s_mul_i32 s22, s11, s20
	s_add_nc_u64 s[14:15], s[14:15], s[24:25]
	s_mul_hi_u32 s7, s11, s20
	s_mul_hi_u32 s26, s11, s21
	s_add_co_u32 s14, s14, s22
	s_wait_alu 0xfffe
	s_add_co_ci_u32 s22, s15, s7
	s_mul_i32 s20, s11, s21
	s_add_co_ci_u32 s21, s26, 0
	s_delay_alu instid0(SALU_CYCLE_1)
	s_add_nc_u64 s[14:15], s[22:23], s[20:21]
	s_mov_b32 s21, s17
	s_add_co_u32 s10, s10, s14
	s_cselect_b32 s7, -1, 0
	s_wait_alu 0xfffe
	s_cmp_lg_u32 s7, 0
	s_add_co_ci_u32 s11, s11, s15
	s_mov_b32 s15, s17
	s_mul_u64 s[12:13], s[12:13], s[10:11]
	s_delay_alu instid0(SALU_CYCLE_1)
	s_mul_hi_u32 s23, s10, s13
	s_mul_i32 s22, s10, s13
	s_mul_hi_u32 s14, s10, s12
	s_mul_i32 s20, s11, s12
	s_add_nc_u64 s[14:15], s[14:15], s[22:23]
	s_mul_hi_u32 s7, s11, s12
	s_mul_hi_u32 s24, s11, s13
	s_mul_i32 s12, s11, s13
	s_add_co_u32 s13, s14, s20
	s_wait_alu 0xfffe
	s_add_co_ci_u32 s20, s15, s7
	s_add_co_ci_u32 s13, s24, 0
	s_mov_b32 s15, s17
	s_add_nc_u64 s[12:13], s[20:21], s[12:13]
	s_delay_alu instid0(SALU_CYCLE_1) | instskip(SKIP_1) | instid1(SALU_CYCLE_1)
	s_add_co_u32 s7, s10, s12
	s_cselect_b32 s10, -1, 0
	s_cmp_lg_u32 s10, 0
	s_add_co_ci_u32 s20, s11, s13
	s_ashr_i32 s10, s3, 31
	s_delay_alu instid0(SALU_CYCLE_1) | instskip(NEXT) | instid1(SALU_CYCLE_1)
	s_mov_b32 s11, s10
	s_add_nc_u64 s[12:13], s[2:3], s[10:11]
	s_delay_alu instid0(SALU_CYCLE_1) | instskip(NEXT) | instid1(SALU_CYCLE_1)
	s_xor_b64 s[12:13], s[12:13], s[10:11]
	s_mul_hi_u32 s23, s12, s20
	s_mul_i32 s22, s12, s20
	s_wait_alu 0xfffe
	s_mul_hi_u32 s14, s12, s7
	s_mul_hi_u32 s24, s13, s7
	s_mul_i32 s7, s13, s7
	s_add_nc_u64 s[14:15], s[14:15], s[22:23]
	s_mul_hi_u32 s3, s13, s20
	s_wait_alu 0xfffe
	s_add_co_u32 s7, s14, s7
	s_mul_i32 s22, s13, s20
	s_add_co_ci_u32 s20, s15, s24
	s_add_co_ci_u32 s23, s3, 0
	s_delay_alu instid0(SALU_CYCLE_1) | instskip(NEXT) | instid1(SALU_CYCLE_1)
	s_add_nc_u64 s[14:15], s[20:21], s[22:23]
	s_mul_u64 s[20:21], s[8:9], s[14:15]
	s_delay_alu instid0(SALU_CYCLE_1)
	s_sub_co_u32 s3, s12, s20
	s_cselect_b32 s7, -1, 0
	s_sub_co_i32 s12, s13, s21
	s_wait_alu 0xfffe
	s_cmp_lg_u32 s7, 0
	s_sub_co_ci_u32 s12, s12, s9
	s_sub_co_u32 s20, s3, s8
	s_cselect_b32 s22, -1, 0
	s_delay_alu instid0(SALU_CYCLE_1) | instskip(SKIP_2) | instid1(SALU_CYCLE_1)
	s_cmp_lg_u32 s22, 0
	s_add_nc_u64 s[22:23], s[14:15], 1
	s_sub_co_ci_u32 s12, s12, 0
	s_cmp_ge_u32 s12, s9
	s_cselect_b32 s24, -1, 0
	s_cmp_ge_u32 s20, s8
	s_cselect_b32 s20, -1, 0
	s_cmp_eq_u32 s12, s9
	s_cselect_b32 s12, s20, s24
	s_add_nc_u64 s[24:25], s[14:15], 2
	s_cmp_lg_u32 s12, 0
	s_cselect_b32 s12, s24, s22
	s_cselect_b32 s20, s25, s23
	s_cmp_lg_u32 s7, 0
	s_sub_co_ci_u32 s7, s13, s21
	s_wait_alu 0xfffe
	s_cmp_ge_u32 s7, s9
	s_cselect_b32 s13, -1, 0
	s_cmp_ge_u32 s3, s8
	s_cselect_b32 s3, -1, 0
	s_cmp_eq_u32 s7, s9
	s_cselect_b32 s3, s3, s13
	s_delay_alu instid0(SALU_CYCLE_1) | instskip(SKIP_4) | instid1(SALU_CYCLE_1)
	s_cmp_lg_u32 s3, 0
	s_mov_b32 s3, s17
	s_cselect_b32 s9, s20, s15
	s_cselect_b32 s8, s12, s14
	s_xor_b64 s[10:11], s[10:11], 0
	s_xor_b64 s[8:9], s[8:9], s[10:11]
	s_delay_alu instid0(SALU_CYCLE_1)
	s_sub_nc_u64 s[20:21], s[8:9], s[10:11]
	s_and_not1_b32 vcc_lo, exec_lo, s3
	s_cbranch_vccnz .LBB41_3
.LBB41_2:
	v_cvt_f32_u32_e32 v1, s16
	s_sub_co_i32 s7, 0, s16
	s_delay_alu instid0(VALU_DEP_1) | instskip(NEXT) | instid1(TRANS32_DEP_1)
	v_rcp_iflag_f32_e32 v1, v1
	v_mul_f32_e32 v1, 0x4f7ffffe, v1
	s_delay_alu instid0(VALU_DEP_1) | instskip(NEXT) | instid1(VALU_DEP_1)
	v_cvt_u32_f32_e32 v1, v1
	v_readfirstlane_b32 s3, v1
	s_wait_alu 0xfffe
	s_mul_i32 s7, s7, s3
	s_wait_alu 0xfffe
	s_mul_hi_u32 s7, s3, s7
	s_wait_alu 0xfffe
	s_add_co_i32 s3, s3, s7
	s_delay_alu instid0(SALU_CYCLE_1) | instskip(NEXT) | instid1(SALU_CYCLE_1)
	s_mul_hi_u32 s3, s2, s3
	s_mul_i32 s7, s3, s16
	s_wait_alu 0xfffe
	s_sub_co_i32 s2, s2, s7
	s_add_co_i32 s7, s3, 1
	s_sub_co_i32 s8, s2, s16
	s_cmp_ge_u32 s2, s16
	s_wait_alu 0xfffe
	s_cselect_b32 s3, s7, s3
	s_cselect_b32 s2, s8, s2
	s_add_co_i32 s7, s3, 1
	s_cmp_ge_u32 s2, s16
	s_wait_alu 0xfffe
	s_cselect_b32 s20, s7, s3
.LBB41_3:
	s_add_co_i32 s2, ttmp9, 1
	s_mov_b32 s8, 0
	s_ashr_i32 s3, s2, 31
	s_delay_alu instid0(SALU_CYCLE_1) | instskip(NEXT) | instid1(SALU_CYCLE_1)
	s_mul_u64 s[2:3], s[18:19], s[2:3]
	s_mov_b32 s9, s3
	s_delay_alu instid0(SALU_CYCLE_1)
	s_cmp_lg_u64 s[8:9], 0
	s_cbranch_scc0 .LBB41_22
; %bb.4:
	s_add_nc_u64 s[10:11], s[16:17], 0
	s_mov_b32 s23, s8
	s_xor_b64 s[10:11], s[10:11], 0
	s_mov_b32 s27, s8
	s_cvt_f32_u32 s7, s10
	s_cvt_f32_u32 s9, s11
	s_sub_nc_u64 s[14:15], 0, s[10:11]
	s_wait_alu 0xfffe
	s_delay_alu instid0(SALU_CYCLE_1) | instskip(SKIP_1) | instid1(SALU_CYCLE_2)
	s_fmamk_f32 s7, s9, 0x4f800000, s7
	s_wait_alu 0xfffe
	v_s_rcp_f32 s7, s7
	s_delay_alu instid0(TRANS32_DEP_1) | instskip(SKIP_1) | instid1(SALU_CYCLE_2)
	s_mul_f32 s7, s7, 0x5f7ffffc
	s_wait_alu 0xfffe
	s_mul_f32 s9, s7, 0x2f800000
	s_delay_alu instid0(SALU_CYCLE_3) | instskip(NEXT) | instid1(SALU_CYCLE_3)
	s_trunc_f32 s9, s9
	s_fmamk_f32 s7, s9, 0xcf800000, s7
	s_cvt_u32_f32 s13, s9
	s_wait_alu 0xfffe
	s_delay_alu instid0(SALU_CYCLE_1) | instskip(NEXT) | instid1(SALU_CYCLE_3)
	s_cvt_u32_f32 s12, s7
	s_mul_u64 s[24:25], s[14:15], s[12:13]
	s_delay_alu instid0(SALU_CYCLE_1)
	s_mul_hi_u32 s29, s12, s25
	s_mul_i32 s28, s12, s25
	s_mul_hi_u32 s22, s12, s24
	s_mul_i32 s9, s13, s24
	s_add_nc_u64 s[22:23], s[22:23], s[28:29]
	s_mul_hi_u32 s7, s13, s24
	s_mul_hi_u32 s21, s13, s25
	s_add_co_u32 s9, s22, s9
	s_wait_alu 0xfffe
	s_add_co_ci_u32 s26, s23, s7
	s_mul_i32 s24, s13, s25
	s_add_co_ci_u32 s25, s21, 0
	s_delay_alu instid0(SALU_CYCLE_1)
	s_add_nc_u64 s[22:23], s[26:27], s[24:25]
	s_mov_b32 s25, s8
	s_add_co_u32 s12, s12, s22
	s_cselect_b32 s7, -1, 0
	s_wait_alu 0xfffe
	s_cmp_lg_u32 s7, 0
	s_add_co_ci_u32 s13, s13, s23
	s_mov_b32 s23, s8
	s_mul_u64 s[14:15], s[14:15], s[12:13]
	s_delay_alu instid0(SALU_CYCLE_1)
	s_mul_hi_u32 s27, s12, s15
	s_mul_i32 s26, s12, s15
	s_mul_hi_u32 s22, s12, s14
	s_mul_i32 s9, s13, s14
	s_add_nc_u64 s[22:23], s[22:23], s[26:27]
	s_mul_hi_u32 s7, s13, s14
	s_mul_hi_u32 s21, s13, s15
	s_add_co_u32 s9, s22, s9
	s_wait_alu 0xfffe
	s_add_co_ci_u32 s24, s23, s7
	s_mul_i32 s14, s13, s15
	s_add_co_ci_u32 s15, s21, 0
	s_mov_b32 s23, s8
	s_add_nc_u64 s[14:15], s[24:25], s[14:15]
	s_delay_alu instid0(SALU_CYCLE_1) | instskip(SKIP_1) | instid1(SALU_CYCLE_1)
	s_add_co_u32 s7, s12, s14
	s_cselect_b32 s9, -1, 0
	s_cmp_lg_u32 s9, 0
	s_add_co_ci_u32 s9, s13, s15
	s_ashr_i32 s12, s3, 31
	s_delay_alu instid0(SALU_CYCLE_1) | instskip(NEXT) | instid1(SALU_CYCLE_1)
	s_mov_b32 s13, s12
	s_add_nc_u64 s[14:15], s[2:3], s[12:13]
	s_delay_alu instid0(SALU_CYCLE_1) | instskip(NEXT) | instid1(SALU_CYCLE_1)
	s_xor_b64 s[14:15], s[14:15], s[12:13]
	s_mul_hi_u32 s27, s14, s9
	s_mul_i32 s26, s14, s9
	s_wait_alu 0xfffe
	s_mul_hi_u32 s22, s14, s7
	s_mul_hi_u32 s21, s15, s7
	s_mul_i32 s7, s15, s7
	s_add_nc_u64 s[22:23], s[22:23], s[26:27]
	s_mul_hi_u32 s3, s15, s9
	s_wait_alu 0xfffe
	s_add_co_u32 s7, s22, s7
	s_add_co_ci_u32 s24, s23, s21
	s_mul_i32 s26, s15, s9
	s_add_co_ci_u32 s27, s3, 0
	s_delay_alu instid0(SALU_CYCLE_1) | instskip(NEXT) | instid1(SALU_CYCLE_1)
	s_add_nc_u64 s[22:23], s[24:25], s[26:27]
	s_mul_u64 s[24:25], s[10:11], s[22:23]
	s_add_nc_u64 s[26:27], s[22:23], 1
	s_sub_co_u32 s3, s14, s24
	s_cselect_b32 s7, -1, 0
	s_sub_co_i32 s9, s15, s25
	s_wait_alu 0xfffe
	s_cmp_lg_u32 s7, 0
	s_add_nc_u64 s[28:29], s[22:23], 2
	s_sub_co_ci_u32 s9, s9, s11
	s_sub_co_u32 s14, s3, s10
	s_cselect_b32 s21, -1, 0
	s_delay_alu instid0(SALU_CYCLE_1) | instskip(SKIP_1) | instid1(SALU_CYCLE_1)
	s_cmp_lg_u32 s21, 0
	s_sub_co_ci_u32 s9, s9, 0
	s_cmp_ge_u32 s9, s11
	s_cselect_b32 s21, -1, 0
	s_cmp_ge_u32 s14, s10
	s_cselect_b32 s14, -1, 0
	s_cmp_eq_u32 s9, s11
	s_cselect_b32 s9, s14, s21
	s_delay_alu instid0(SALU_CYCLE_1)
	s_cmp_lg_u32 s9, 0
	s_cselect_b32 s9, s28, s26
	s_cselect_b32 s14, s29, s27
	s_cmp_lg_u32 s7, 0
	s_sub_co_ci_u32 s7, s15, s25
	s_wait_alu 0xfffe
	s_cmp_ge_u32 s7, s11
	s_cselect_b32 s15, -1, 0
	s_cmp_ge_u32 s3, s10
	s_cselect_b32 s3, -1, 0
	s_cmp_eq_u32 s7, s11
	s_cselect_b32 s3, s3, s15
	s_delay_alu instid0(SALU_CYCLE_1) | instskip(SKIP_3) | instid1(SALU_CYCLE_1)
	s_cmp_lg_u32 s3, 0
	s_cselect_b32 s11, s14, s23
	s_cselect_b32 s10, s9, s22
	s_xor_b64 s[12:13], s[12:13], 0
	s_xor_b64 s[10:11], s[10:11], s[12:13]
	s_delay_alu instid0(SALU_CYCLE_1)
	s_sub_nc_u64 s[10:11], s[10:11], s[12:13]
	s_load_b96 s[12:14], s[0:1], 0x44
	s_and_not1_b32 vcc_lo, exec_lo, s8
	s_cbranch_vccnz .LBB41_6
.LBB41_5:
	v_cvt_f32_u32_e32 v1, s16
	s_sub_co_i32 s7, 0, s16
	s_delay_alu instid0(VALU_DEP_1) | instskip(NEXT) | instid1(TRANS32_DEP_1)
	v_rcp_iflag_f32_e32 v1, v1
	v_mul_f32_e32 v1, 0x4f7ffffe, v1
	s_delay_alu instid0(VALU_DEP_1) | instskip(NEXT) | instid1(VALU_DEP_1)
	v_cvt_u32_f32_e32 v1, v1
	v_readfirstlane_b32 s3, v1
	s_wait_alu 0xfffe
	s_mul_i32 s7, s7, s3
	s_wait_alu 0xfffe
	s_mul_hi_u32 s7, s3, s7
	s_wait_alu 0xfffe
	s_add_co_i32 s3, s3, s7
	s_delay_alu instid0(SALU_CYCLE_1) | instskip(NEXT) | instid1(SALU_CYCLE_1)
	s_mul_hi_u32 s3, s2, s3
	s_mul_i32 s7, s3, s16
	s_wait_alu 0xfffe
	s_sub_co_i32 s2, s2, s7
	s_add_co_i32 s7, s3, 1
	s_sub_co_i32 s8, s2, s16
	s_cmp_ge_u32 s2, s16
	s_wait_alu 0xfffe
	s_cselect_b32 s3, s7, s3
	s_cselect_b32 s2, s8, s2
	s_add_co_i32 s7, s3, 1
	s_cmp_ge_u32 s2, s16
	s_wait_alu 0xfffe
	s_cselect_b32 s10, s7, s3
.LBB41_6:
	s_mov_b32 s21, 0
	s_wait_kmcnt 0x0
	s_mov_b32 s22, s12
	s_mov_b32 s23, s21
	s_cmp_eq_u32 s20, s10
	s_mul_u64 s[2:3], s[20:21], s[22:23]
	s_cselect_b32 s7, -1, 0
	s_add_co_i32 s2, s3, s20
	s_mov_b32 s11, s21
	s_lshr_b32 s12, s2, s13
	s_mul_u64 s[2:3], s[10:11], s[22:23]
	s_mul_i32 s2, s12, s14
	s_delay_alu instid0(SALU_CYCLE_1) | instskip(SKIP_2) | instid1(SALU_CYCLE_1)
	s_cmp_eq_u32 s2, s20
	s_cselect_b32 s2, -1, 0
	s_add_co_i32 s3, s3, s10
	s_lshr_b32 s3, s3, s13
	s_delay_alu instid0(SALU_CYCLE_1)
	s_cmp_eq_u32 s12, s3
	s_mul_i32 s3, s3, s14
	s_cselect_b32 s8, -1, 0
	s_cmp_lg_u32 s3, s10
	s_cselect_b32 s3, -1, 0
	s_wait_alu 0xfffe
	s_or_b32 s2, s7, s2
	s_and_b32 s3, s8, s3
	s_delay_alu instid0(SALU_CYCLE_1) | instskip(NEXT) | instid1(SALU_CYCLE_1)
	s_or_b32 s2, s2, s3
	s_and_b32 vcc_lo, exec_lo, s2
	s_cbranch_vccnz .LBB41_24
; %bb.7:
	s_load_b256 s[24:31], s[0:1], 0x20
	s_mov_b32 s3, s21
	s_load_b32 s7, s[0:1], 0x40
	s_and_b32 s15, ttmp7, 0xffff
	s_wait_kmcnt 0x0
	s_mov_b32 s2, s24
	s_delay_alu instid0(SALU_CYCLE_1) | instskip(NEXT) | instid1(SALU_CYCLE_1)
	s_mul_u64 s[2:3], s[20:21], s[2:3]
	s_add_co_i32 s2, s3, s20
	s_delay_alu instid0(SALU_CYCLE_1) | instskip(NEXT) | instid1(SALU_CYCLE_1)
	s_lshr_b32 s2, s2, s25
	s_mul_i32 s3, s2, s26
	s_delay_alu instid0(SALU_CYCLE_1) | instskip(NEXT) | instid1(SALU_CYCLE_1)
	s_sub_co_i32 s8, s20, s3
	s_mul_hi_u32 s3, s8, s27
	s_delay_alu instid0(SALU_CYCLE_1) | instskip(NEXT) | instid1(SALU_CYCLE_1)
	s_add_co_i32 s3, s8, s3
	s_lshr_b32 s3, s3, s28
	s_delay_alu instid0(SALU_CYCLE_1) | instskip(NEXT) | instid1(SALU_CYCLE_1)
	s_mul_i32 s9, s3, s29
	s_sub_co_i32 s8, s8, s9
	s_delay_alu instid0(SALU_CYCLE_1) | instskip(NEXT) | instid1(SALU_CYCLE_1)
	s_mul_hi_u32 s9, s8, s30
	s_add_co_i32 s9, s8, s9
	s_delay_alu instid0(SALU_CYCLE_1)
	s_lshr_b32 s24, s9, s31
	s_mov_b32 s9, s21
	s_mul_i32 s7, s24, s7
	s_lshr_b32 s21, ttmp7, 16
	s_wait_alu 0xfffe
	s_sub_co_i32 s8, s8, s7
	s_lshl_b32 s24, s24, 1
	s_mul_u64 s[10:11], s[8:9], s[22:23]
	s_delay_alu instid0(SALU_CYCLE_1)
	s_add_co_i32 s7, s8, s11
	s_wait_alu 0xfffe
	s_lshr_b32 s7, s7, s13
	s_wait_alu 0xfffe
	s_add_co_i32 s7, s7, s15
	s_wait_alu 0xfffe
	s_cmp_lt_i32 s7, s4
	s_cselect_b32 s8, -1, 0
	s_add_co_i32 s24, s24, s21
	s_delay_alu instid0(SALU_CYCLE_1) | instskip(SKIP_1) | instid1(SALU_CYCLE_1)
	s_cmp_lt_i32 s24, s6
	s_cselect_b32 s9, -1, 0
	s_and_b32 s8, s8, s9
	s_delay_alu instid0(SALU_CYCLE_1)
	s_and_not1_b32 vcc_lo, exec_lo, s8
	s_cbranch_vccnz .LBB41_24
; %bb.8:
	s_mul_i32 s2, s2, s4
	s_load_b128 s[8:11], s[0:1], 0x0
	s_mul_i32 s3, s3, s6
	s_add_co_i32 s0, s7, s2
	s_add_co_i32 s1, s24, s3
	s_mul_i32 s0, s0, s5
	v_cvt_f32_u32_e32 v4, s16
	s_add_co_i32 s1, s1, s0
	s_add_co_i32 s34, ttmp9, -1
	v_lshl_or_b32 v1, s1, 8, v0
	s_add_nc_u64 s[0:1], s[16:17], 0
	v_rcp_iflag_f32_e32 v4, v4
	s_wait_alu 0xfffe
	s_xor_b64 s[6:7], s[0:1], 0
	s_add_co_i32 s0, s15, ttmp9
	v_ashrrev_i32_e32 v2, 31, v1
	s_wait_alu 0xfffe
	s_cvt_f32_u32 s1, s6
	s_cvt_f32_u32 s2, s7
	s_lshl_b32 s0, s0, 1
	v_lshl_or_b32 v0, s21, 8, v0
	v_lshlrev_b64_e32 v[1:2], 2, v[1:2]
	s_wait_alu 0xfffe
	s_add_co_i32 s0, s0, s21
	s_fmamk_f32 s2, s2, 0x4f800000, s1
	s_wait_alu 0xfffe
	s_ashr_i32 s1, s0, 31
	s_sub_nc_u64 s[30:31], 0, s[6:7]
	s_wait_alu 0xfffe
	s_lshl_b64 s[0:1], s[0:1], 3
	s_wait_kmcnt 0x0
	v_add_co_u32 v1, vcc_lo, s8, v1
	s_delay_alu instid0(VALU_DEP_1)
	v_add_co_ci_u32_e64 v2, null, s9, v2, vcc_lo
	v_s_rcp_f32 s2, s2
	s_wait_alu 0xfffe
	s_add_nc_u64 s[0:1], s[10:11], s[0:1]
	s_mov_b32 s8, 0
	global_load_b32 v3, v[1:2], off
	s_load_b64 s[26:27], s[0:1], 0x0
	v_mul_f32_e32 v4, 0x4f7ffffe, v4
	s_lshl_b32 s0, s16, 3
	s_mul_f32 s2, s2, 0x5f7ffffc
	s_wait_alu 0xfffe
	s_delay_alu instid0(SALU_CYCLE_2) | instskip(SKIP_1) | instid1(SALU_CYCLE_2)
	s_mul_f32 s1, s2, 0x2f800000
	s_wait_alu 0xfffe
	s_trunc_f32 s3, s1
	s_mov_b32 s1, s8
	s_wait_alu 0xfffe
	s_lshl_b64 s[0:1], s[0:1], 2
	s_fmamk_f32 s2, s3, 0xcf800000, s2
	s_cvt_u32_f32 s29, s3
	s_wait_alu 0xfffe
	s_add_nc_u64 s[24:25], s[10:11], s[0:1]
	s_cvt_u32_f32 s28, s2
	s_wait_kmcnt 0x0
	v_mov_b32_e32 v5, s27
	v_cvt_u32_f32_e32 v4, v4
.LBB41_9:                               ; =>This Inner Loop Header: Depth=1
	s_wait_alu 0xfffe
	s_ashr_i32 s35, s34, 31
	s_mov_b32 s2, -1
	s_wait_alu 0xfffe
	s_mul_u64 s[0:1], s[34:35], s[18:19]
                                        ; implicit-def: $sgpr38_sgpr39
	s_wait_alu 0xfffe
	s_mov_b32 s9, s1
	s_wait_alu 0xfffe
	s_cmp_lg_u64 s[8:9], 0
	s_cbranch_scc0 .LBB41_11
; %bb.10:                               ;   in Loop: Header=BB41_9 Depth=1
	s_mul_u64 s[2:3], s[30:31], s[28:29]
	s_mov_b32 s37, s8
	s_wait_alu 0xfffe
	s_mul_hi_u32 s5, s28, s3
	s_mul_i32 s4, s28, s3
	s_mul_hi_u32 s36, s28, s2
	s_mul_hi_u32 s9, s29, s2
	s_wait_alu 0xfffe
	s_add_nc_u64 s[4:5], s[36:37], s[4:5]
	s_mul_i32 s2, s29, s2
	s_mul_hi_u32 s17, s29, s3
	s_wait_alu 0xfffe
	s_add_co_u32 s2, s4, s2
	s_add_co_ci_u32 s2, s5, s9
	s_add_co_ci_u32 s5, s17, 0
	s_mul_i32 s4, s29, s3
	s_mov_b32 s3, s8
	s_mov_b32 s39, s8
	s_wait_alu 0xfffe
	s_add_nc_u64 s[2:3], s[2:3], s[4:5]
	s_wait_alu 0xfffe
	s_add_co_u32 s2, s28, s2
	s_cselect_b32 s4, -1, 0
	s_wait_alu 0xfffe
	s_cmp_lg_u32 s4, 0
	s_add_co_ci_u32 s3, s29, s3
	s_wait_alu 0xfffe
	s_mul_u64 s[4:5], s[30:31], s[2:3]
	s_wait_alu 0xfffe
	s_mul_hi_u32 s37, s2, s5
	s_mul_i32 s36, s2, s5
	s_mul_hi_u32 s38, s2, s4
	s_mul_hi_u32 s9, s3, s4
	s_mul_i32 s4, s3, s4
	s_wait_alu 0xfffe
	s_add_nc_u64 s[36:37], s[38:39], s[36:37]
	s_mul_hi_u32 s17, s3, s5
	s_wait_alu 0xfffe
	s_add_co_u32 s4, s36, s4
	s_add_co_ci_u32 s4, s37, s9
	s_add_co_ci_u32 s37, s17, 0
	s_mul_i32 s36, s3, s5
	s_mov_b32 s5, s8
	s_wait_alu 0xfffe
	s_add_nc_u64 s[4:5], s[4:5], s[36:37]
	s_mov_b32 s37, s8
	s_wait_alu 0xfffe
	s_add_co_u32 s9, s2, s4
	s_cselect_b32 s2, -1, 0
	s_wait_alu 0xfffe
	s_cmp_lg_u32 s2, 0
	s_add_co_ci_u32 s17, s3, s5
	s_ashr_i32 s2, s1, 31
	s_wait_alu 0xfffe
	s_mov_b32 s3, s2
	s_wait_alu 0xfffe
	s_add_nc_u64 s[4:5], s[0:1], s[2:3]
	s_wait_alu 0xfffe
	s_xor_b64 s[4:5], s[4:5], s[2:3]
	s_wait_alu 0xfffe
	s_mul_hi_u32 s39, s4, s17
	s_mul_i32 s38, s4, s17
	s_mul_hi_u32 s36, s4, s9
	s_mul_i32 s27, s5, s9
	s_wait_alu 0xfffe
	s_add_nc_u64 s[36:37], s[36:37], s[38:39]
	s_mul_hi_u32 s9, s5, s9
	s_mul_hi_u32 s1, s5, s17
	s_wait_alu 0xfffe
	s_add_co_u32 s27, s36, s27
	s_add_co_ci_u32 s36, s37, s9
	s_add_co_ci_u32 s39, s1, 0
	s_mul_i32 s38, s5, s17
	s_mov_b32 s37, s8
	s_wait_alu 0xfffe
	s_add_nc_u64 s[36:37], s[36:37], s[38:39]
	s_wait_alu 0xfffe
	s_mul_u64 s[38:39], s[6:7], s[36:37]
	s_add_nc_u64 s[40:41], s[36:37], 1
	s_wait_alu 0xfffe
	s_sub_co_u32 s1, s4, s38
	s_cselect_b32 s4, -1, 0
	s_sub_co_i32 s9, s5, s39
	s_wait_alu 0xfffe
	s_cmp_lg_u32 s4, 0
	s_add_nc_u64 s[42:43], s[36:37], 2
	s_sub_co_ci_u32 s9, s9, s7
	s_sub_co_u32 s17, s1, s6
	s_cselect_b32 s27, -1, 0
	s_wait_alu 0xfffe
	s_cmp_lg_u32 s27, 0
	s_sub_co_ci_u32 s9, s9, 0
	s_wait_alu 0xfffe
	s_cmp_ge_u32 s9, s7
	s_cselect_b32 s27, -1, 0
	s_cmp_ge_u32 s17, s6
	s_cselect_b32 s17, -1, 0
	s_cmp_eq_u32 s9, s7
	s_wait_alu 0xfffe
	s_cselect_b32 s9, s17, s27
	s_wait_alu 0xfffe
	s_cmp_lg_u32 s9, 0
	s_cselect_b32 s9, s42, s40
	s_cselect_b32 s17, s43, s41
	s_cmp_lg_u32 s4, 0
	s_sub_co_ci_u32 s4, s5, s39
	s_wait_alu 0xfffe
	s_cmp_ge_u32 s4, s7
	s_cselect_b32 s5, -1, 0
	s_cmp_ge_u32 s1, s6
	s_cselect_b32 s1, -1, 0
	s_cmp_eq_u32 s4, s7
	s_wait_alu 0xfffe
	s_cselect_b32 s1, s1, s5
	s_wait_alu 0xfffe
	s_cmp_lg_u32 s1, 0
	s_cselect_b32 s5, s17, s37
	s_cselect_b32 s4, s9, s36
	s_xor_b64 s[2:3], s[2:3], 0
	s_wait_alu 0xfffe
	s_xor_b64 s[4:5], s[4:5], s[2:3]
	s_wait_alu 0xfffe
	s_sub_nc_u64 s[38:39], s[4:5], s[2:3]
	s_mov_b32 s2, 0
.LBB41_11:                              ;   in Loop: Header=BB41_9 Depth=1
	s_wait_alu 0xfffe
	s_and_not1_b32 vcc_lo, exec_lo, s2
	s_wait_alu 0xfffe
	s_cbranch_vccnz .LBB41_13
; %bb.12:                               ;   in Loop: Header=BB41_9 Depth=1
	v_readfirstlane_b32 s1, v4
	s_sub_co_i32 s2, 0, s16
	s_wait_alu 0xfffe
	s_mul_i32 s2, s2, s1
	s_wait_alu 0xfffe
	s_mul_hi_u32 s2, s1, s2
	s_wait_alu 0xfffe
	s_add_co_i32 s1, s1, s2
	s_wait_alu 0xfffe
	s_mul_hi_u32 s1, s0, s1
	s_wait_alu 0xfffe
	s_mul_i32 s2, s1, s16
	s_wait_alu 0xfffe
	s_sub_co_i32 s0, s0, s2
	s_add_co_i32 s2, s1, 1
	s_wait_alu 0xfffe
	s_sub_co_i32 s3, s0, s16
	s_cmp_ge_u32 s0, s16
	s_cselect_b32 s1, s2, s1
	s_wait_alu 0xfffe
	s_cselect_b32 s0, s3, s0
	s_add_co_i32 s2, s1, 1
	s_wait_alu 0xfffe
	s_cmp_ge_u32 s0, s16
	s_cselect_b32 s38, s2, s1
.LBB41_13:                              ;   in Loop: Header=BB41_9 Depth=1
	v_readfirstlane_b32 s9, v0
	s_wait_alu 0xfffe
	s_cmp_lg_u32 s20, s38
	s_mov_b32 s0, -1
                                        ; implicit-def: $sgpr27
                                        ; implicit-def: $vgpr6
                                        ; implicit-def: $vgpr7
                                        ; implicit-def: $sgpr17
                                        ; implicit-def: $sgpr33
	s_cbranch_scc1 .LBB41_16
; %bb.14:                               ;   in Loop: Header=BB41_9 Depth=1
	s_wait_alu 0xfffe
	s_and_not1_b32 vcc_lo, exec_lo, s0
	s_wait_alu 0xfffe
	s_cbranch_vccz .LBB41_19
.LBB41_15:                              ;   in Loop: Header=BB41_9 Depth=1
	s_and_not1_b32 vcc_lo, exec_lo, s27
	s_wait_alu 0xfffe
	s_cbranch_vccnz .LBB41_20
	s_branch .LBB41_23
.LBB41_16:                              ;   in Loop: Header=BB41_9 Depth=1
	s_add_co_i32 s40, s34, s15
	s_mov_b32 s1, s8
	s_wait_alu 0xfffe
	s_add_co_i32 s0, s40, s16
	v_max_num_f32_e64 v6, s26, s26
	s_wait_alu 0xfffe
	s_lshl_b32 s0, s0, 1
	s_mov_b32 s39, s8
	s_wait_alu 0xfffe
	s_add_co_i32 s0, s0, s21
	s_mul_u64 s[42:43], s[38:39], s[22:23]
	s_wait_alu 0xfffe
	s_lshl_b64 s[0:1], s[0:1], 3
	s_mov_b32 s33, s20
	s_wait_alu 0xfffe
	s_add_nc_u64 s[0:1], s[10:11], s[0:1]
	s_load_b64 s[36:37], s[0:1], 0x0
	v_readfirstlane_b32 s0, v6
	s_wait_kmcnt 0x0
	v_max_num_f32_e64 v7, s36, s36
	s_delay_alu instid0(VALU_DEP_1) | instskip(SKIP_2) | instid1(SALU_CYCLE_2)
	v_readfirstlane_b32 s1, v7
	s_max_num_f32 s9, s0, s1
	s_wait_alu 0xfffe
	s_sub_f32 s35, s26, s9
	s_sub_f32 s36, s36, s9
	s_wait_alu 0xfffe
	s_delay_alu instid0(SALU_CYCLE_1)
	s_cmp_nlt_f32 s35, 0xc2ce8ed0
	s_cselect_b32 s0, -1, 0
	s_cmp_ngt_f32 s35, 0x42b17218
	s_cselect_b32 s1, -1, 0
	s_cmp_ge_f32 s35, 0xc1a00000
	s_cselect_b32 s2, -1, 0
	s_cmp_nlt_f32 s36, 0xc2ce8ed0
	s_cselect_b32 s3, -1, 0
	s_cmp_ngt_f32 s36, 0x42b17218
	s_cselect_b32 s4, -1, 0
	s_cmp_ge_f32 s36, 0xc1a00000
	s_cselect_b32 s5, -1, 0
	s_add_co_i32 s17, s43, s38
	s_wait_alu 0xfffe
	s_lshr_b32 s17, s17, s13
	s_wait_alu 0xfffe
	s_mul_i32 s27, s17, s14
	s_wait_alu 0xfffe
	s_cmp_eq_u32 s27, s38
	s_cselect_b32 s27, -1, 0
	s_cmp_lt_u32 s17, s12
	s_cselect_b32 s17, -1, 0
	s_wait_alu 0xfffe
	s_or_b32 s17, s17, s27
	s_mov_b32 s27, -1
	s_wait_alu 0xfffe
	s_and_b32 vcc_lo, exec_lo, s17
	s_mov_b32 s17, s34
	s_wait_alu 0xfffe
	s_cbranch_vccnz .LBB41_18
; %bb.17:                               ;   in Loop: Header=BB41_9 Depth=1
	s_add_co_i32 s17, s34, -1
	s_mov_b32 s27, 0
	s_mov_b32 s33, s38
.LBB41_18:                              ;   in Loop: Header=BB41_9 Depth=1
	v_lshl_add_u32 v6, s40, 9, v0
	s_mul_f32 s38, s36, 0x3fb8aa3b
	s_mul_f32 s39, s35, 0x3fb8aa3b
	s_wait_alu 0xfffe
	s_delay_alu instid0(SALU_CYCLE_1)
	s_xor_b32 s40, s38, 0x80000000
	v_ashrrev_i32_e32 v7, 31, v6
	s_rndne_f32 s41, s38
	s_wait_alu 0xfffe
	s_fmamk_f32 s40, s36, 0x3fb8aa3b, s40
	s_xor_b32 s42, s39, 0x80000000
	s_rndne_f32 s43, s39
	v_lshlrev_b64_e32 v[6:7], 2, v[6:7]
	s_sub_f32 s38, s38, s41
	s_wait_alu 0xfffe
	s_fmamk_f32 s36, s36, 0x32a5705f, s40
	s_fmamk_f32 s40, s35, 0x3fb8aa3b, s42
	s_sub_f32 s39, s39, s43
	v_add_co_u32 v6, vcc_lo, s24, v6
	s_wait_alu 0xfffd
	v_add_co_ci_u32_e64 v7, null, s25, v7, vcc_lo
	s_wait_alu 0xfffe
	s_add_f32 s36, s38, s36
	s_fmamk_f32 s35, s35, 0x32a5705f, s40
	s_cvt_i32_f32 s38, s41
	global_load_b32 v6, v[6:7], off
	s_wait_alu 0xfffe
	v_s_exp_f32 s36, s36
	s_add_f32 s35, s39, s35
	s_wait_alu 0xfffe
	s_delay_alu instid0(SALU_CYCLE_2) | instskip(NEXT) | instid1(TRANS32_DEP_2)
	v_s_exp_f32 s35, s35
	v_ldexp_f32 v7, s36, s38
	s_cvt_i32_f32 s36, s43
	s_wait_alu 0xf1fe
	s_delay_alu instid0(TRANS32_DEP_1) | instid1(SALU_CYCLE_2)
	v_ldexp_f32 v8, s35, s36
	s_delay_alu instid0(VALU_DEP_2) | instskip(NEXT) | instid1(VALU_DEP_2)
	v_cndmask_b32_e64 v7, 0, v7, s3
	v_cndmask_b32_e64 v8, 0, v8, s0
	s_delay_alu instid0(VALU_DEP_2) | instskip(NEXT) | instid1(VALU_DEP_2)
	v_cndmask_b32_e64 v7, 0x7f800000, v7, s4
	v_cndmask_b32_e64 v8, 0x7f800000, v8, s1
	;; [unrolled: 3-line block ×3, first 2 shown]
	s_wait_loadcnt 0x0
	s_delay_alu instid0(VALU_DEP_2) | instskip(SKIP_1) | instid1(VALU_DEP_1)
	v_mul_f32_e32 v6, v6, v7
	v_mul_f32_e32 v7, s37, v7
	v_fmac_f32_e32 v7, v5, v8
	s_delay_alu instid0(VALU_DEP_3)
	v_fmac_f32_e32 v6, v3, v8
	s_cbranch_execnz .LBB41_15
.LBB41_19:                              ;   in Loop: Header=BB41_9 Depth=1
	s_wait_loadcnt 0x0
	v_dual_mov_b32 v7, v5 :: v_dual_mov_b32 v6, v3
	s_add_co_i32 s17, s34, -1
	s_mov_b32 s33, s20
	s_mov_b32 s9, s26
	s_cbranch_execz .LBB41_23
.LBB41_20:                              ;   in Loop: Header=BB41_9 Depth=1
	v_mov_b32_e32 v5, v7
	s_wait_loadcnt 0x0
	v_mov_b32_e32 v3, v6
	s_mov_b32 s20, s33
	s_wait_alu 0xfffe
	s_mov_b32 s34, s17
	s_mov_b32 s26, s9
	s_branch .LBB41_9
.LBB41_21:
                                        ; implicit-def: $sgpr20_sgpr21
	s_branch .LBB41_2
.LBB41_22:
                                        ; implicit-def: $sgpr10_sgpr11
	s_load_b96 s[12:14], s[0:1], 0x44
	s_branch .LBB41_5
.LBB41_23:
	v_div_scale_f32 v0, null, v7, v7, v6
	s_wait_loadcnt 0x0
	s_delay_alu instid0(VALU_DEP_1) | instskip(NEXT) | instid1(TRANS32_DEP_1)
	v_rcp_f32_e32 v3, v0
	v_fma_f32 v4, -v0, v3, 1.0
	s_delay_alu instid0(VALU_DEP_1) | instskip(SKIP_1) | instid1(VALU_DEP_1)
	v_fmac_f32_e32 v3, v4, v3
	v_div_scale_f32 v4, vcc_lo, v6, v7, v6
	v_mul_f32_e32 v5, v4, v3
	s_delay_alu instid0(VALU_DEP_1) | instskip(NEXT) | instid1(VALU_DEP_1)
	v_fma_f32 v8, -v0, v5, v4
	v_fmac_f32_e32 v5, v8, v3
	s_delay_alu instid0(VALU_DEP_1) | instskip(SKIP_1) | instid1(VALU_DEP_1)
	v_fma_f32 v0, -v0, v5, v4
	s_wait_alu 0xfffd
	v_div_fmas_f32 v0, v0, v3, v5
	s_delay_alu instid0(VALU_DEP_1)
	v_div_fixup_f32 v0, v0, v7, v6
	global_store_b32 v[1:2], v0, off
.LBB41_24:
	s_endpgm
	.section	.rodata,"a",@progbits
	.p2align	6, 0x0
	.amdhsa_kernel _ZL33flash_attn_stream_k_fixup_generalILi256ELi1ELi2EEvPfPK15HIP_vector_typeIfLj2EEiiiiS1_IjLj3EES5_S5_S5_
		.amdhsa_group_segment_fixed_size 0
		.amdhsa_private_segment_fixed_size 0
		.amdhsa_kernarg_size 336
		.amdhsa_user_sgpr_count 2
		.amdhsa_user_sgpr_dispatch_ptr 0
		.amdhsa_user_sgpr_queue_ptr 0
		.amdhsa_user_sgpr_kernarg_segment_ptr 1
		.amdhsa_user_sgpr_dispatch_id 0
		.amdhsa_user_sgpr_private_segment_size 0
		.amdhsa_wavefront_size32 1
		.amdhsa_uses_dynamic_stack 0
		.amdhsa_enable_private_segment 0
		.amdhsa_system_sgpr_workgroup_id_x 1
		.amdhsa_system_sgpr_workgroup_id_y 1
		.amdhsa_system_sgpr_workgroup_id_z 1
		.amdhsa_system_sgpr_workgroup_info 0
		.amdhsa_system_vgpr_workitem_id 0
		.amdhsa_next_free_vgpr 9
		.amdhsa_next_free_sgpr 44
		.amdhsa_reserve_vcc 1
		.amdhsa_float_round_mode_32 0
		.amdhsa_float_round_mode_16_64 0
		.amdhsa_float_denorm_mode_32 3
		.amdhsa_float_denorm_mode_16_64 3
		.amdhsa_fp16_overflow 0
		.amdhsa_workgroup_processor_mode 1
		.amdhsa_memory_ordered 1
		.amdhsa_forward_progress 1
		.amdhsa_inst_pref_size 28
		.amdhsa_round_robin_scheduling 0
		.amdhsa_exception_fp_ieee_invalid_op 0
		.amdhsa_exception_fp_denorm_src 0
		.amdhsa_exception_fp_ieee_div_zero 0
		.amdhsa_exception_fp_ieee_overflow 0
		.amdhsa_exception_fp_ieee_underflow 0
		.amdhsa_exception_fp_ieee_inexact 0
		.amdhsa_exception_int_div_zero 0
	.end_amdhsa_kernel
	.section	.text._ZL33flash_attn_stream_k_fixup_generalILi256ELi1ELi2EEvPfPK15HIP_vector_typeIfLj2EEiiiiS1_IjLj3EES5_S5_S5_,"axG",@progbits,_ZL33flash_attn_stream_k_fixup_generalILi256ELi1ELi2EEvPfPK15HIP_vector_typeIfLj2EEiiiiS1_IjLj3EES5_S5_S5_,comdat
.Lfunc_end41:
	.size	_ZL33flash_attn_stream_k_fixup_generalILi256ELi1ELi2EEvPfPK15HIP_vector_typeIfLj2EEiiiiS1_IjLj3EES5_S5_S5_, .Lfunc_end41-_ZL33flash_attn_stream_k_fixup_generalILi256ELi1ELi2EEvPfPK15HIP_vector_typeIfLj2EEiiiiS1_IjLj3EES5_S5_S5_
                                        ; -- End function
	.set _ZL33flash_attn_stream_k_fixup_generalILi256ELi1ELi2EEvPfPK15HIP_vector_typeIfLj2EEiiiiS1_IjLj3EES5_S5_S5_.num_vgpr, 9
	.set _ZL33flash_attn_stream_k_fixup_generalILi256ELi1ELi2EEvPfPK15HIP_vector_typeIfLj2EEiiiiS1_IjLj3EES5_S5_S5_.num_agpr, 0
	.set _ZL33flash_attn_stream_k_fixup_generalILi256ELi1ELi2EEvPfPK15HIP_vector_typeIfLj2EEiiiiS1_IjLj3EES5_S5_S5_.numbered_sgpr, 44
	.set _ZL33flash_attn_stream_k_fixup_generalILi256ELi1ELi2EEvPfPK15HIP_vector_typeIfLj2EEiiiiS1_IjLj3EES5_S5_S5_.num_named_barrier, 0
	.set _ZL33flash_attn_stream_k_fixup_generalILi256ELi1ELi2EEvPfPK15HIP_vector_typeIfLj2EEiiiiS1_IjLj3EES5_S5_S5_.private_seg_size, 0
	.set _ZL33flash_attn_stream_k_fixup_generalILi256ELi1ELi2EEvPfPK15HIP_vector_typeIfLj2EEiiiiS1_IjLj3EES5_S5_S5_.uses_vcc, 1
	.set _ZL33flash_attn_stream_k_fixup_generalILi256ELi1ELi2EEvPfPK15HIP_vector_typeIfLj2EEiiiiS1_IjLj3EES5_S5_S5_.uses_flat_scratch, 0
	.set _ZL33flash_attn_stream_k_fixup_generalILi256ELi1ELi2EEvPfPK15HIP_vector_typeIfLj2EEiiiiS1_IjLj3EES5_S5_S5_.has_dyn_sized_stack, 0
	.set _ZL33flash_attn_stream_k_fixup_generalILi256ELi1ELi2EEvPfPK15HIP_vector_typeIfLj2EEiiiiS1_IjLj3EES5_S5_S5_.has_recursion, 0
	.set _ZL33flash_attn_stream_k_fixup_generalILi256ELi1ELi2EEvPfPK15HIP_vector_typeIfLj2EEiiiiS1_IjLj3EES5_S5_S5_.has_indirect_call, 0
	.section	.AMDGPU.csdata,"",@progbits
; Kernel info:
; codeLenInByte = 3556
; TotalNumSgprs: 46
; NumVgprs: 9
; ScratchSize: 0
; MemoryBound: 0
; FloatMode: 240
; IeeeMode: 1
; LDSByteSize: 0 bytes/workgroup (compile time only)
; SGPRBlocks: 0
; VGPRBlocks: 1
; NumSGPRsForWavesPerEU: 46
; NumVGPRsForWavesPerEU: 9
; Occupancy: 16
; WaveLimiterHint : 0
; COMPUTE_PGM_RSRC2:SCRATCH_EN: 0
; COMPUTE_PGM_RSRC2:USER_SGPR: 2
; COMPUTE_PGM_RSRC2:TRAP_HANDLER: 0
; COMPUTE_PGM_RSRC2:TGID_X_EN: 1
; COMPUTE_PGM_RSRC2:TGID_Y_EN: 1
; COMPUTE_PGM_RSRC2:TGID_Z_EN: 1
; COMPUTE_PGM_RSRC2:TIDIG_COMP_CNT: 0
	.section	.text._ZL15flash_attn_tileILi256ELi256ELi32ELi1ELb0EEvPKcS1_S1_S1_S1_PKiPfP15HIP_vector_typeIfLj2EEffffjfiS5_IjLj3EEiiiiiiiiiiiliiliiiiil,"axG",@progbits,_ZL15flash_attn_tileILi256ELi256ELi32ELi1ELb0EEvPKcS1_S1_S1_S1_PKiPfP15HIP_vector_typeIfLj2EEffffjfiS5_IjLj3EEiiiiiiiiiiiliiliiiiil,comdat
	.globl	_ZL15flash_attn_tileILi256ELi256ELi32ELi1ELb0EEvPKcS1_S1_S1_S1_PKiPfP15HIP_vector_typeIfLj2EEffffjfiS5_IjLj3EEiiiiiiiiiiiliiliiiiil ; -- Begin function _ZL15flash_attn_tileILi256ELi256ELi32ELi1ELb0EEvPKcS1_S1_S1_S1_PKiPfP15HIP_vector_typeIfLj2EEffffjfiS5_IjLj3EEiiiiiiiiiiiliiliiiiil
	.p2align	8
	.type	_ZL15flash_attn_tileILi256ELi256ELi32ELi1ELb0EEvPKcS1_S1_S1_S1_PKiPfP15HIP_vector_typeIfLj2EEffffjfiS5_IjLj3EEiiiiiiiiiiiliiliiiiil,@function
_ZL15flash_attn_tileILi256ELi256ELi32ELi1ELb0EEvPKcS1_S1_S1_S1_PKiPfP15HIP_vector_typeIfLj2EEffffjfiS5_IjLj3EEiiiiiiiiiiiliiliiiiil: ; @_ZL15flash_attn_tileILi256ELi256ELi32ELi1ELb0EEvPKcS1_S1_S1_S1_PKiPfP15HIP_vector_typeIfLj2EEffffjfiS5_IjLj3EEiiiiiiiiiiiliiliiiiil
; %bb.0:
	s_clause 0x1
	s_load_b128 s[20:23], s[0:1], 0x5c
	s_load_b64 s[2:3], s[0:1], 0x80
	s_lshr_b32 s6, ttmp7, 16
	s_load_b64 s[30:31], s[0:1], 0xb8
	s_mov_b32 s41, 0
	s_mov_b64 s[38:39], 0
	s_wait_kmcnt 0x0
	s_cvt_f32_u32 s4, s23
	s_sub_co_i32 s5, 0, s23
	s_delay_alu instid0(SALU_CYCLE_2) | instskip(NEXT) | instid1(TRANS32_DEP_1)
	v_rcp_iflag_f32_e32 v1, s4
	v_readfirstlane_b32 s4, v1
	s_mul_f32 s4, s4, 0x4f7ffffe
	s_wait_alu 0xfffe
	s_delay_alu instid0(SALU_CYCLE_2) | instskip(SKIP_1) | instid1(SALU_CYCLE_2)
	s_cvt_u32_f32 s4, s4
	s_wait_alu 0xfffe
	s_mul_i32 s5, s5, s4
	s_wait_alu 0xfffe
	s_mul_hi_u32 s5, s4, s5
	s_wait_alu 0xfffe
	s_add_co_i32 s4, s4, s5
	s_wait_alu 0xfffe
	s_mul_hi_u32 s4, s6, s4
	s_wait_alu 0xfffe
	s_mul_i32 s5, s4, s23
	s_add_co_i32 s7, s4, 1
	s_wait_alu 0xfffe
	s_sub_co_i32 s5, s6, s5
	s_wait_alu 0xfffe
	s_sub_co_i32 s8, s5, s23
	s_cmp_ge_u32 s5, s23
	s_cselect_b32 s4, s7, s4
	s_cselect_b32 s5, s8, s5
	s_wait_alu 0xfffe
	s_add_co_i32 s7, s4, 1
	s_cmp_ge_u32 s5, s23
	s_cselect_b32 s36, s7, s4
	s_abs_i32 s4, s3
	s_abs_i32 s9, s23
	s_wait_alu 0xfffe
	s_cvt_f32_u32 s5, s4
	s_sub_co_i32 s7, 0, s4
	s_mul_i32 s8, s36, s23
	s_xor_b32 s3, s23, s3
	s_wait_alu 0xfffe
	v_rcp_iflag_f32_e32 v1, s5
	s_sub_co_i32 s34, s6, s8
	s_ashr_i32 s3, s3, 31
	s_delay_alu instid0(TRANS32_DEP_1) | instskip(SKIP_2) | instid1(SALU_CYCLE_2)
	v_readfirstlane_b32 s5, v1
	s_mul_f32 s5, s5, 0x4f7ffffe
	s_wait_alu 0xfffe
	s_cvt_u32_f32 s5, s5
	s_wait_alu 0xfffe
	s_delay_alu instid0(SALU_CYCLE_2) | instskip(NEXT) | instid1(SALU_CYCLE_1)
	s_mul_i32 s7, s7, s5
	s_mul_hi_u32 s7, s5, s7
	s_delay_alu instid0(SALU_CYCLE_1)
	s_add_co_i32 s5, s5, s7
	s_wait_alu 0xfffe
	s_mul_hi_u32 s5, s9, s5
	s_wait_alu 0xfffe
	s_mul_i32 s6, s5, s4
	s_add_co_i32 s7, s5, 1
	s_sub_co_i32 s6, s9, s6
	s_delay_alu instid0(SALU_CYCLE_1)
	s_sub_co_i32 s8, s6, s4
	s_cmp_ge_u32 s6, s4
	s_cselect_b32 s5, s7, s5
	s_cselect_b32 s6, s8, s6
	s_wait_alu 0xfffe
	s_add_co_i32 s7, s5, 1
	s_cmp_ge_u32 s6, s4
	s_cselect_b32 s4, s7, s5
	s_abs_i32 s40, s34
	s_wait_alu 0xfffe
	s_xor_b32 s4, s4, s3
	s_wait_alu 0xfffe
	s_sub_co_i32 s33, s4, s3
	s_delay_alu instid0(SALU_CYCLE_1) | instskip(NEXT) | instid1(SALU_CYCLE_1)
	s_abs_i32 s3, s33
	s_cvt_f32_u32 s4, s3
	s_sub_co_i32 s25, 0, s3
	s_wait_alu 0xfffe
	s_delay_alu instid0(SALU_CYCLE_1) | instskip(SKIP_1) | instid1(TRANS32_DEP_1)
	v_rcp_iflag_f32_e32 v1, s4
	s_load_b512 s[4:19], s[0:1], 0x0
	v_readfirstlane_b32 s24, v1
	s_mul_f32 s24, s24, 0x4f7ffffe
	s_delay_alu instid0(SALU_CYCLE_3) | instskip(NEXT) | instid1(SALU_CYCLE_3)
	s_cvt_u32_f32 s24, s24
	s_mul_i32 s25, s25, s24
	s_delay_alu instid0(SALU_CYCLE_1) | instskip(NEXT) | instid1(SALU_CYCLE_1)
	s_mul_hi_u32 s25, s24, s25
	s_add_co_i32 s42, s24, s25
	s_wait_kmcnt 0x0
	s_cmp_eq_u64 s[10:11], 0
	s_cbranch_scc1 .LBB42_2
; %bb.1:
	s_abs_i32 s26, s30
	s_delay_alu instid0(SALU_CYCLE_1) | instskip(NEXT) | instid1(SALU_CYCLE_3)
	s_cvt_f32_u32 s24, s26
	v_rcp_iflag_f32_e32 v1, s24
	s_delay_alu instid0(TRANS32_DEP_1) | instskip(SKIP_2) | instid1(SALU_CYCLE_2)
	v_readfirstlane_b32 s24, v1
	s_mul_f32 s24, s24, 0x4f7ffffe
	s_wait_alu 0xfffe
	s_cvt_u32_f32 s27, s24
	s_sub_co_i32 s24, 0, s26
	s_wait_alu 0xfffe
	s_delay_alu instid0(SALU_CYCLE_1) | instskip(SKIP_4) | instid1(SALU_CYCLE_1)
	s_mul_i32 s24, s24, s27
	s_wait_alu 0xfffe
	s_mul_hi_u32 s28, s27, s24
	s_load_b64 s[24:25], s[0:1], 0xc8
	s_add_co_i32 s27, s27, s28
	s_mul_hi_u32 s27, s36, s27
	s_delay_alu instid0(SALU_CYCLE_1) | instskip(NEXT) | instid1(SALU_CYCLE_1)
	s_mul_i32 s27, s27, s26
	s_sub_co_i32 s27, s36, s27
	s_delay_alu instid0(SALU_CYCLE_1) | instskip(SKIP_2) | instid1(SALU_CYCLE_1)
	s_sub_co_i32 s28, s27, s26
	s_cmp_ge_u32 s27, s26
	s_cselect_b32 s27, s28, s27
	s_sub_co_i32 s28, s27, s26
	s_cmp_ge_u32 s27, s26
	s_cselect_b32 s26, s28, s27
	s_delay_alu instid0(SALU_CYCLE_1)
	s_ashr_i32 s27, s26, 31
	s_wait_kmcnt 0x0
	s_mul_u64 s[24:25], s[24:25], s[26:27]
	s_wait_alu 0xfffe
	s_add_nc_u64 s[38:39], s[10:11], s[24:25]
.LBB42_2:
	s_clause 0x1
	s_load_b128 s[24:27], s[0:1], 0x40
	s_load_b32 s10, s[0:1], 0x50
	v_mov_b32_e32 v40, 1.0
	s_mov_b32 s43, s41
	s_wait_kmcnt 0x0
	s_cmp_le_f32 s25, 0
	s_cbranch_scc1 .LBB42_4
; %bb.3:
	v_sub_co_u32 v1, s10, s34, s10
	s_and_b32 s25, s10, exec_lo
	s_cselect_b32 s25, s26, s27
	s_add_co_i32 s26, s34, 1
	v_readfirstlane_b32 s11, v1
	s_lshl_b32 s11, s11, 1
	s_wait_alu 0xfffe
	s_or_b32 s11, s11, 1
	s_and_b32 s10, s10, exec_lo
	s_wait_alu 0xfffe
	s_cselect_b32 s10, s26, s11
	s_cmp_neq_f32 s25, 1.0
	s_wait_alu 0xfffe
	s_cvt_f32_i32 s10, s10
	s_wait_alu 0xfffe
	s_delay_alu instid0(SALU_CYCLE_2)
	s_cselect_b32 s11, s10, 1.0
	s_wait_alu 0xfffe
	s_cmp_neq_f32 s11, 0
	s_cselect_b32 s10, s25, 1.0
	s_wait_alu 0xfffe
	v_frexp_mant_f32_e64 v1, |s10|
	s_delay_alu instid0(VALU_DEP_1) | instskip(SKIP_3) | instid1(SALU_CYCLE_1)
	v_readfirstlane_b32 s25, v1
	v_cvt_f64_f32_e64 v[1:2], |s10|
	s_cmp_lt_f32 s25, 0x3f2aaaab
	s_cselect_b32 s26, -1, 0
	s_and_b32 s27, s26, exec_lo
	s_cselect_b32 s27, 2.0, 1.0
	s_delay_alu instid0(SALU_CYCLE_1) | instskip(SKIP_1) | instid1(SALU_CYCLE_2)
	s_mul_f32 s25, s25, s27
	s_wait_alu 0xfffe
	s_add_f32 s27, s25, 1.0
	s_add_f32 s29, s25, -1.0
	s_delay_alu instid0(SALU_CYCLE_2) | instskip(SKIP_1) | instid1(SALU_CYCLE_3)
	v_s_rcp_f32 s28, s27
	s_add_f32 s37, s27, -1.0
	s_sub_f32 s25, s25, s37
	s_delay_alu instid0(TRANS32_DEP_1) | instskip(NEXT) | instid1(SALU_CYCLE_3)
	s_mul_f32 s30, s29, s28
	s_mul_f32 s35, s27, s30
	s_wait_alu 0xfffe
	s_delay_alu instid0(SALU_CYCLE_2) | instskip(NEXT) | instid1(VALU_DEP_1)
	s_xor_b32 s44, s35, 0x80000000
	v_frexp_exp_i32_f64_e32 v1, v[1:2]
	s_fmac_f32 s44, s30, s27
	s_delay_alu instid0(SALU_CYCLE_3) | instskip(NEXT) | instid1(SALU_CYCLE_3)
	s_fmac_f32 s44, s30, s25
	s_add_f32 s25, s35, s44
	s_wait_alu 0xfffe
	s_delay_alu instid0(SALU_CYCLE_2) | instskip(SKIP_2) | instid1(SALU_CYCLE_1)
	s_sub_f32 s27, s29, s25
	s_sub_f32 s35, s25, s35
	s_wait_alu 0xfffe
	s_sub_f32 s29, s29, s27
	s_delay_alu instid0(SALU_CYCLE_1) | instskip(NEXT) | instid1(SALU_CYCLE_2)
	s_sub_f32 s35, s35, s44
	s_sub_f32 s25, s29, s25
	s_wait_alu 0xfffe
	s_delay_alu instid0(SALU_CYCLE_2) | instskip(SKIP_2) | instid1(SALU_CYCLE_1)
	s_add_f32 s25, s35, s25
	s_mov_b32 s35, 0x3e76c4e1
	s_wait_alu 0xfffe
	s_add_f32 s25, s27, s25
	s_wait_alu 0xfffe
	s_delay_alu instid0(SALU_CYCLE_2) | instskip(SKIP_1) | instid1(SALU_CYCLE_2)
	s_mul_f32 s25, s28, s25
	s_wait_alu 0xfffe
	s_add_f32 s27, s30, s25
	s_wait_alu 0xfffe
	s_delay_alu instid0(SALU_CYCLE_2) | instskip(SKIP_1) | instid1(SALU_CYCLE_2)
	s_sub_f32 s28, s27, s30
	s_mul_f32 s29, s27, s27
	s_sub_f32 s25, s25, s28
	s_delay_alu instid0(SALU_CYCLE_2) | instskip(NEXT) | instid1(SALU_CYCLE_1)
	s_xor_b32 s28, s29, 0x80000000
	s_fmac_f32 s28, s27, s27
	s_wait_alu 0xfffe
	s_add_f32 s30, s25, s25
	s_delay_alu instid0(SALU_CYCLE_3) | instskip(NEXT) | instid1(SALU_CYCLE_3)
	s_fmac_f32 s28, s27, s30
	s_add_f32 s30, s29, s28
	s_delay_alu instid0(SALU_CYCLE_3) | instskip(SKIP_2) | instid1(SALU_CYCLE_1)
	s_fmaak_f32 s35, s30, s35, 0x3e91f4c4
	s_sub_f32 s29, s30, s29
	s_wait_alu 0xfffe
	s_fmaak_f32 s35, s30, s35, 0x3ecccdef
	s_delay_alu instid0(SALU_CYCLE_1) | instskip(SKIP_3) | instid1(SALU_CYCLE_1)
	s_sub_f32 s28, s28, s29
	s_mul_f32 s29, s27, s30
	s_wait_alu 0xfffe
	s_mul_f32 s37, s30, s35
	s_xor_b32 s45, s29, 0x80000000
	s_delay_alu instid0(SALU_CYCLE_2) | instskip(SKIP_2) | instid1(SALU_CYCLE_2)
	s_xor_b32 s44, s37, 0x80000000
	s_fmac_f32 s45, s30, s27
	s_fmac_f32 s44, s30, s35
	;; [unrolled: 1-line block ×3, first 2 shown]
	s_delay_alu instid0(SALU_CYCLE_2) | instskip(NEXT) | instid1(SALU_CYCLE_2)
	s_fmac_f32 s44, s28, s35
	s_fmac_f32 s45, s28, s27
	s_delay_alu instid0(SALU_CYCLE_2) | instskip(SKIP_1) | instid1(SALU_CYCLE_2)
	s_add_f32 s35, s37, s44
	s_wait_alu 0xfffe
	s_sub_f32 s37, s35, s37
	s_add_f32 s46, s35, 0x3f2aaaaa
	s_delay_alu instid0(SALU_CYCLE_2) | instskip(NEXT) | instid1(SALU_CYCLE_2)
	s_sub_f32 s37, s44, s37
	s_add_f32 s44, s46, 0xbf2aaaaa
	s_delay_alu instid0(SALU_CYCLE_2) | instskip(NEXT) | instid1(SALU_CYCLE_2)
	s_add_f32 s30, s37, 0x31739010
	s_sub_f32 s35, s35, s44
	s_wait_alu 0xfffe
	s_delay_alu instid0(SALU_CYCLE_2) | instskip(SKIP_1) | instid1(SALU_CYCLE_2)
	s_add_f32 s28, s30, s35
	s_add_f32 s30, s29, s45
	;; [unrolled: 1-line block ×3, first 2 shown]
	s_delay_alu instid0(SALU_CYCLE_2) | instskip(SKIP_1) | instid1(SALU_CYCLE_1)
	s_sub_f32 s29, s30, s29
	s_wait_alu 0xfffe
	s_mul_f32 s37, s30, s35
	s_sub_f32 s44, s46, s35
	s_sub_f32 s29, s45, s29
	s_delay_alu instid0(SALU_CYCLE_1) | instskip(NEXT) | instid1(SALU_CYCLE_1)
	s_xor_b32 s46, s37, 0x80000000
	s_add_f32 s28, s28, s44
	s_fmac_f32 s46, s30, s35
	v_readfirstlane_b32 s44, v1
	v_ldexp_f32 v1, s27, 1
	s_cmp_lg_u32 s26, 0
	s_fmac_f32 s46, s30, s28
	s_sub_co_ci_u32 s26, s44, 0
	s_delay_alu instid0(VALU_DEP_1) | instskip(NEXT) | instid1(SALU_CYCLE_1)
	v_readfirstlane_b32 s27, v1
	s_fmac_f32 s46, s29, s35
	s_wait_alu 0xfffe
	s_cvt_f32_i32 s26, s26
	v_ldexp_f32 v1, s25, 1
	s_add_f32 s28, s37, s46
	s_wait_alu 0xfffe
	s_mul_f32 s25, s26, 0x3f317218
	s_delay_alu instid0(VALU_DEP_1)
	v_readfirstlane_b32 s35, v1
	s_add_f32 s29, s27, s28
	s_sub_f32 s30, s28, s37
	s_wait_alu 0xfffe
	s_xor_b32 s37, s25, 0x80000000
	s_sub_f32 s27, s29, s27
	s_sub_f32 s30, s46, s30
	s_fmamk_f32 s37, s26, 0x3f317218, s37
	s_wait_alu 0xfffe
	s_sub_f32 s27, s28, s27
	s_add_f32 s28, s35, s30
	s_fmamk_f32 s26, s26, 0xb102e308, s37
	s_wait_alu 0xfffe
	s_delay_alu instid0(SALU_CYCLE_1) | instskip(NEXT) | instid1(SALU_CYCLE_1)
	s_add_f32 s27, s28, s27
	s_add_f32 s28, s25, s26
	s_wait_alu 0xfffe
	s_delay_alu instid0(SALU_CYCLE_1) | instskip(NEXT) | instid1(SALU_CYCLE_1)
	s_add_f32 s30, s29, s27
	s_sub_f32 s25, s28, s25
	s_delay_alu instid0(SALU_CYCLE_2)
	s_add_f32 s35, s28, s30
	s_sub_f32 s29, s30, s29
	s_wait_alu 0xfffe
	s_sub_f32 s25, s26, s25
	s_sub_f32 s37, s35, s28
	;; [unrolled: 1-line block ×3, first 2 shown]
	s_delay_alu instid0(SALU_CYCLE_2) | instskip(SKIP_4) | instid1(SALU_CYCLE_3)
	s_sub_f32 s44, s35, s37
	s_sub_f32 s27, s30, s37
	s_wait_alu 0xfffe
	s_add_f32 s29, s25, s26
	s_sub_f32 s28, s28, s44
	s_add_f32 s27, s27, s28
	s_delay_alu instid0(SALU_CYCLE_1) | instskip(SKIP_1) | instid1(SALU_CYCLE_1)
	s_sub_f32 s28, s29, s25
	s_wait_alu 0xfffe
	s_add_f32 s27, s29, s27
	s_delay_alu instid0(SALU_CYCLE_1) | instskip(SKIP_4) | instid1(SALU_CYCLE_2)
	s_sub_f32 s29, s29, s28
	s_sub_f32 s26, s26, s28
	s_wait_alu 0xfffe
	s_add_f32 s30, s35, s27
	s_sub_f32 s25, s25, s29
	s_sub_f32 s28, s30, s35
	s_wait_alu 0xfffe
	s_delay_alu instid0(SALU_CYCLE_1) | instskip(NEXT) | instid1(SALU_CYCLE_1)
	s_add_f32 s25, s26, s25
	s_sub_f32 s26, s27, s28
	s_wait_alu 0xfffe
	s_delay_alu instid0(SALU_CYCLE_2) | instskip(SKIP_1) | instid1(SALU_CYCLE_2)
	s_add_f32 s25, s25, s26
	s_wait_alu 0xfffe
	s_add_f32 s26, s30, s25
	s_wait_alu 0xfffe
	s_delay_alu instid0(SALU_CYCLE_2) | instskip(SKIP_2) | instid1(SALU_CYCLE_1)
	s_mul_f32 s27, s11, s26
	s_sub_f32 s28, s26, s30
	s_wait_alu 0xfffe
	s_xor_b32 s29, s27, 0x80000000
	s_delay_alu instid0(SALU_CYCLE_1) | instskip(SKIP_2) | instid1(SALU_CYCLE_2)
	s_sub_f32 s25, s25, s28
	s_fmac_f32 s29, s11, s26
	s_wait_alu 0xfffe
	s_fmac_f32 s29, s11, s25
	v_cmp_class_f32_e64 s25, s27, 0x204
	s_delay_alu instid0(SALU_CYCLE_2) | instskip(SKIP_2) | instid1(SALU_CYCLE_1)
	s_add_f32 s26, s27, s29
	s_and_b32 s25, s25, exec_lo
	s_wait_alu 0xfffe
	s_sub_f32 s25, s26, s27
	s_cselect_b32 s26, s27, s26
	s_wait_alu 0xfffe
	s_and_b32 s27, s26, 0x7fffffff
	s_sub_f32 s25, s29, s25
	s_wait_alu 0xfffe
	s_cmp_neq_f32 s27, 0x7f800000
	s_delay_alu instid0(SALU_CYCLE_1)
	s_cselect_b32 s25, s25, 0
	s_cmp_eq_f32 s26, 0x42b17218
	s_cselect_b32 s27, 0x37000000, 0
	s_wait_alu 0xfffe
	s_sub_f32 s26, s26, s27
	s_add_f32 s25, s27, s25
	s_wait_alu 0xfffe
	s_delay_alu instid0(SALU_CYCLE_1) | instskip(NEXT) | instid1(SALU_CYCLE_3)
	s_mul_f32 s28, s26, 0x3fb8aa3b
	s_xor_b32 s29, s28, 0x80000000
	s_rndne_f32 s30, s28
	s_fmamk_f32 s29, s26, 0x3fb8aa3b, s29
	s_cmp_nlt_f32 s26, 0xc2ce8ed0
	s_delay_alu instid0(SALU_CYCLE_1) | instskip(NEXT) | instid1(SALU_CYCLE_1)
	s_sub_f32 s28, s28, s30
	s_fmamk_f32 s29, s26, 0x32a5705f, s29
	s_cselect_b32 vcc_lo, -1, 0
	s_cmp_ngt_f32 s26, 0x42b17218
	s_trunc_f32 s26, s11
	s_add_f32 s28, s28, s29
	s_cvt_i32_f32 s29, s30
	s_delay_alu instid0(SALU_CYCLE_2)
	v_s_exp_f32 s28, s28
	s_wait_alu 0xf1ff
	s_delay_alu instid0(TRANS32_DEP_1) | instid1(SALU_CYCLE_1)
	v_ldexp_f32 v1, s28, s29
	s_mul_f32 s28, s11, 0.5
	s_delay_alu instid0(VALU_DEP_1)
	v_cndmask_b32_e32 v1, 0, v1, vcc_lo
	s_cselect_b32 vcc_lo, -1, 0
	s_wait_alu 0xfffe
	s_cmp_eq_f32 s26, s11
	s_trunc_f32 s29, s28
	v_cndmask_b32_e32 v1, 0x7f800000, v1, vcc_lo
	s_cselect_b32 s30, -1, 0
	s_wait_alu 0xfffe
	s_cmp_neq_f32 s29, s28
	s_delay_alu instid0(VALU_DEP_1)
	v_fma_f32 v2, s25, v1, v1
	v_cmp_class_f32_e64 vcc_lo, v1, 0x204
	s_cselect_b32 s27, -1, 0
	s_wait_alu 0xfffe
	s_and_b32 s25, s30, s27
	s_wait_alu 0xfffd
	v_cndmask_b32_e32 v1, v2, v1, vcc_lo
	s_wait_alu 0xfffe
	s_and_b32 s27, s25, exec_lo
	s_cselect_b32 s27, s10, 1.0
	s_cmp_eq_f32 s26, s11
	v_cmp_class_f32_e64 s26, s10, 0x204
	s_wait_alu 0xfffe
	v_bfi_b32 v1, 0x7fffffff, v1, s27
	s_cselect_b32 vcc_lo, -1, 0
	s_cmp_lt_f32 s10, 0
	s_wait_alu 0xfffe
	s_delay_alu instid0(VALU_DEP_1) | instskip(SKIP_3) | instid1(VALU_DEP_1)
	v_cndmask_b32_e32 v2, 0x7fc00000, v1, vcc_lo
	s_cselect_b32 vcc_lo, -1, 0
	s_cmp_eq_f32 s10, 0
	s_wait_alu 0xfffe
	v_cndmask_b32_e32 v1, v1, v2, vcc_lo
	s_cselect_b32 s27, -1, 0
	s_wait_alu 0xfffe
	s_or_b32 vcc_lo, s27, s26
	s_cmp_lt_f32 s11, 0
	s_cselect_b32 s11, -1, 0
	s_wait_alu 0xfffe
	s_xor_b32 s11, s11, s27
	s_wait_alu 0xfffe
	s_and_b32 s11, s11, exec_lo
	s_cselect_b32 s11, 0, 0x7f800000
	s_and_b32 s25, s25, exec_lo
	s_cselect_b32 s25, s10, 0
	s_cmp_o_f32 s10, s10
	s_wait_alu 0xfffe
	v_mov_b32_e32 v2, s25
	s_delay_alu instid0(VALU_DEP_1) | instskip(NEXT) | instid1(VALU_DEP_1)
	v_bfi_b32 v2, 0x7fffffff, s11, v2
	v_cndmask_b32_e32 v1, v1, v2, vcc_lo
	s_cselect_b32 vcc_lo, -1, 0
	s_wait_alu 0xfffe
	s_delay_alu instid0(VALU_DEP_1)
	v_cndmask_b32_e32 v40, 0x7fc00000, v1, vcc_lo
.LBB42_4:
	v_bfe_u32 v39, v0, 10, 10
	s_lshl_b32 s11, ttmp9, 5
	s_load_b96 s[28:30], s[0:1], 0x70
	v_and_b32_e32 v35, 0x3ff, v0
	s_ashr_i32 s35, s34, 31
	v_lshlrev_b32_e32 v33, 2, v39
	v_mov_b32_e32 v41, 0
	v_lshlrev_b32_e32 v49, 11, v39
	v_lshlrev_b32_e32 v6, 4, v35
	;; [unrolled: 1-line block ×3, first 2 shown]
	v_or_b32_e32 v30, 1, v33
	v_add_nc_u32_e32 v34, s11, v33
	v_or_b32_e32 v29, 2, v33
	v_lshlrev_b32_e32 v28, 2, v35
	s_mov_b32 s37, 0
	v_add_nc_u32_e32 v32, s11, v30
	v_mul_hi_u32 v1, v34, s20
	v_add_nc_u32_e32 v31, s11, v29
	s_delay_alu instid0(VALU_DEP_3) | instskip(SKIP_3) | instid1(VALU_DEP_3)
	v_mul_hi_u32 v2, v32, s20
	s_wait_kmcnt 0x0
	s_mul_i32 s44, s34, s29
	s_ashr_i32 s29, s28, 31
	v_add_nc_u32_e32 v1, v34, v1
	s_wait_alu 0xfffe
	s_lshr_b64 s[46:47], s[28:29], 2
	s_lshr_b32 s10, s29, 2
	s_mul_i32 s26, s36, s30
	v_add_nc_u32_e32 v2, v32, v2
	v_lshrrev_b32_e32 v0, s21, v1
	v_mul_hi_u32 v1, v31, s20
	s_wait_alu 0xfffe
	s_ashr_i32 s27, s26, 31
	s_ashr_i32 s45, s44, 31
	v_lshrrev_b32_e32 v2, s21, v2
	v_mul_lo_u32 v0, v0, s22
	s_wait_alu 0xfffe
	s_add_nc_u64 s[4:5], s[4:5], s[26:27]
	s_wait_alu 0xfffe
	s_add_nc_u64 s[4:5], s[4:5], s[44:45]
	v_mul_lo_u32 v2, v2, s22
	v_add_nc_u32_e32 v1, v31, v1
	s_wait_alu 0xfffe
	v_add_co_u32 v24, s4, s4, v6
	v_sub_nc_u32_e32 v47, v34, v0
	s_wait_alu 0xf1ff
	v_add_co_ci_u32_e64 v25, null, s5, 0, s4
	v_lshrrev_b32_e32 v4, s21, v1
	v_sub_nc_u32_e32 v7, v32, v2
	v_mad_co_u64_u32 v[0:1], null, s46, v47, 0
	s_mul_u64 s[4:5], s[40:41], s[42:43]
	v_mul_lo_u32 v2, v4, s22
	v_mad_co_u64_u32 v[4:5], null, s46, v7, 0
	s_delay_alu instid0(VALU_DEP_2) | instskip(SKIP_1) | instid1(VALU_DEP_3)
	v_sub_nc_u32_e32 v10, v31, v2
	v_mad_co_u64_u32 v[1:2], null, s10, v47, v[1:2]
	v_mov_b32_e32 v2, v5
	v_or_b32_e32 v26, 3, v33
	s_delay_alu instid0(VALU_DEP_4) | instskip(NEXT) | instid1(VALU_DEP_2)
	v_mad_co_u64_u32 v[8:9], null, s46, v10, 0
	v_add_nc_u32_e32 v27, s11, v26
	v_lshlrev_b64_e32 v[0:1], 2, v[0:1]
	s_delay_alu instid0(VALU_DEP_2) | instskip(NEXT) | instid1(VALU_DEP_2)
	v_mul_hi_u32 v3, v27, s20
	v_add_co_u32 v6, vcc_lo, v24, v0
	s_delay_alu instid0(VALU_DEP_2) | instskip(NEXT) | instid1(VALU_DEP_1)
	v_add_nc_u32_e32 v3, v27, v3
	v_lshrrev_b32_e32 v3, s21, v3
	s_delay_alu instid0(VALU_DEP_1) | instskip(NEXT) | instid1(VALU_DEP_1)
	v_mul_lo_u32 v3, v3, s22
	v_sub_nc_u32_e32 v11, v27, v3
	v_mad_co_u64_u32 v[2:3], null, s10, v7, v[2:3]
	v_mov_b32_e32 v3, v9
	s_wait_alu 0xfffd
	v_add_co_ci_u32_e64 v7, null, v25, v1, vcc_lo
	v_mad_co_u64_u32 v[12:13], null, s46, v11, 0
	s_delay_alu instid0(VALU_DEP_3)
	v_mad_co_u64_u32 v[9:10], null, s10, v10, v[3:4]
	v_mov_b32_e32 v5, v2
	global_load_b128 v[0:3], v[6:7], off
	v_mov_b32_e32 v10, v13
	v_lshlrev_b64_e32 v[13:14], 2, v[4:5]
	v_lshlrev_b64_e32 v[17:18], 2, v[8:9]
	s_delay_alu instid0(VALU_DEP_3) | instskip(NEXT) | instid1(VALU_DEP_3)
	v_mad_co_u64_u32 v[10:11], null, s10, v11, v[10:11]
	v_add_co_u32 v15, vcc_lo, v24, v13
	s_wait_alu 0xfffd
	s_delay_alu instid0(VALU_DEP_4) | instskip(NEXT) | instid1(VALU_DEP_4)
	v_add_co_ci_u32_e64 v16, null, v25, v14, vcc_lo
	v_add_co_u32 v20, vcc_lo, v24, v17
	s_delay_alu instid0(VALU_DEP_4)
	v_mov_b32_e32 v13, v10
	s_clause 0x1
	global_load_b128 v[8:11], v[15:16], off
	global_load_b128 v[4:7], v[6:7], off offset:512
	s_wait_alu 0xfffd
	v_add_co_ci_u32_e64 v21, null, v25, v18, vcc_lo
	v_lshlrev_b64_e32 v[22:23], 2, v[12:13]
	s_clause 0x1
	global_load_b128 v[12:15], v[15:16], off offset:512
	global_load_b128 v[16:19], v[20:21], off
	s_ashr_i32 s10, s33, 31
	s_cmp_eq_u64 s[14:15], 0
	v_add_co_u32 v24, vcc_lo, v24, v22
	s_wait_alu 0xfffd
	v_add_co_ci_u32_e64 v25, null, v25, v23, vcc_lo
	s_clause 0x2
	global_load_b128 v[20:23], v[20:21], off offset:512
	global_load_b128 v[42:45], v[24:25], off
	global_load_b128 v[50:53], v[24:25], off offset:512
	v_add_nc_u32_e32 v24, 0x4400, v38
	s_delay_alu instid0(VALU_DEP_1)
	v_add_nc_u32_e32 v25, v24, v49
	v_lshl_add_u32 v36, v30, 9, v24
	v_lshl_add_u32 v37, v29, 9, v24
	;; [unrolled: 1-line block ×3, first 2 shown]
	s_wait_loadcnt 0x7
	v_fma_mixlo_f16 v0, s24, v0, 0
	v_fma_mixlo_f16 v1, s24, v1, 0
	;; [unrolled: 1-line block ×4, first 2 shown]
	s_delay_alu instid0(VALU_DEP_4) | instskip(NEXT) | instid1(VALU_DEP_4)
	v_and_b32_e32 v0, 0xffff, v0
	v_lshlrev_b32_e32 v1, 16, v1
	s_delay_alu instid0(VALU_DEP_4) | instskip(NEXT) | instid1(VALU_DEP_4)
	v_and_b32_e32 v2, 0xffff, v2
	v_lshlrev_b32_e32 v3, 16, v3
	s_delay_alu instid0(VALU_DEP_3) | instskip(NEXT) | instid1(VALU_DEP_2)
	v_or_b32_e32 v0, v1, v0
	v_or3_b32 v1, v3, v2, 0
	s_delay_alu instid0(VALU_DEP_2)
	v_or3_b32 v0, 0, 0, v0
	s_wait_loadcnt 0x6
	v_fma_mixlo_f16 v8, s24, v8, 0
	s_wait_loadcnt 0x5
	v_fma_mixlo_f16 v4, s24, v4, 0
	v_fma_mixlo_f16 v5, s24, v5, 0
	;; [unrolled: 1-line block ×5, first 2 shown]
	v_and_b32_e32 v4, 0xffff, v4
	v_lshlrev_b32_e32 v5, 16, v5
	v_and_b32_e32 v6, 0xffff, v6
	v_lshlrev_b32_e32 v7, 16, v7
	v_fma_mixlo_f16 v10, s24, v10, 0
	v_fma_mixlo_f16 v11, s24, v11, 0
	s_wait_loadcnt 0x4
	v_fma_mixlo_f16 v12, s24, v12, 0
	v_fma_mixlo_f16 v13, s24, v13, 0
	;; [unrolled: 1-line block ×4, first 2 shown]
	s_wait_loadcnt 0x3
	v_fma_mixlo_f16 v16, s24, v16, 0
	v_fma_mixlo_f16 v17, s24, v17, 0
	s_wait_loadcnt 0x2
	v_fma_mixlo_f16 v20, s24, v20, 0
	v_fma_mixlo_f16 v21, s24, v21, 0
	;; [unrolled: 1-line block ×4, first 2 shown]
	s_wait_loadcnt 0x1
	v_fma_mixlo_f16 v42, s24, v42, 0
	v_fma_mixlo_f16 v43, s24, v43, 0
	s_wait_loadcnt 0x0
	v_fma_mixlo_f16 v46, s24, v50, 0
	v_fma_mixlo_f16 v48, s24, v51, 0
	v_or_b32_e32 v2, v5, v4
	v_or3_b32 v3, v7, v6, 0
	v_lshlrev_b32_e32 v4, 16, v9
	v_and_b32_e32 v5, 0xffff, v8
	v_lshlrev_b32_e32 v6, 16, v11
	v_and_b32_e32 v7, 0xffff, v10
	v_lshlrev_b32_e32 v8, 16, v13
	v_and_b32_e32 v9, 0xffff, v12
	v_fma_mixlo_f16 v22, s24, v22, 0
	v_fma_mixlo_f16 v23, s24, v23, 0
	v_lshlrev_b32_e32 v10, 16, v15
	v_and_b32_e32 v11, 0xffff, v14
	v_lshlrev_b32_e32 v12, 16, v17
	v_and_b32_e32 v13, 0xffff, v16
	;; [unrolled: 2-line block ×3, first 2 shown]
	v_fma_mixlo_f16 v44, s24, v44, 0
	v_fma_mixlo_f16 v45, s24, v45, 0
	;; [unrolled: 1-line block ×4, first 2 shown]
	v_lshlrev_b32_e32 v14, 16, v19
	v_and_b32_e32 v15, 0xffff, v18
	v_lshlrev_b32_e32 v20, 16, v43
	v_and_b32_e32 v21, 0xffff, v42
	;; [unrolled: 2-line block ×3, first 2 shown]
	v_or_b32_e32 v4, v4, v5
	v_or3_b32 v5, v6, v7, 0
	v_or_b32_e32 v6, v8, v9
	v_lshlrev_b32_e32 v18, 16, v23
	v_and_b32_e32 v19, 0xffff, v22
	v_or3_b32 v7, v10, v11, 0
	v_or_b32_e32 v8, v12, v13
	v_or_b32_e32 v10, v16, v17
	v_lshlrev_b32_e32 v22, 16, v45
	v_and_b32_e32 v23, 0xffff, v44
	v_lshlrev_b32_e32 v44, 16, v51
	v_and_b32_e32 v45, 0xffff, v50
	v_or3_b32 v9, v14, v15, 0
	v_or_b32_e32 v12, v20, v21
	v_or_b32_e32 v14, v42, v43
	v_or3_b32 v2, 0, 0, v2
	v_or3_b32 v4, 0, 0, v4
	;; [unrolled: 1-line block ×10, first 2 shown]
	ds_store_2addr_b64 v25, v[0:1], v[2:3] offset1:32
	ds_store_2addr_b64 v36, v[4:5], v[6:7] offset1:32
	;; [unrolled: 1-line block ×4, first 2 shown]
	s_wait_dscnt 0x0
	s_barrier_signal -1
	s_barrier_wait -1
	global_inv scope:SCOPE_SE
	s_cbranch_scc1 .LBB42_6
; %bb.5:
	s_load_b32 s2, s[0:1], 0xd0
	s_mov_b32 s25, s37
	s_wait_kmcnt 0x0
	s_mul_i32 s2, s2, s36
	s_delay_alu instid0(SALU_CYCLE_1)
	s_add_co_i32 s24, s2, ttmp9
	s_wait_alu 0xfffe
	s_lshl_b64 s[24:25], s[24:25], 2
	s_wait_alu 0xfffe
	s_add_nc_u64 s[14:15], s[14:15], s[24:25]
	s_load_b32 s2, s[14:15], 0x0
.LBB42_6:
	s_clause 0x2
	s_load_b64 s[14:15], s[0:1], 0x8c
	s_load_b128 s[24:27], s[0:1], 0x98
	s_load_b64 s[42:43], s[0:1], 0xa8
	s_xor_b32 s4, s35, s10
	s_mul_i32 s10, s5, s3
	s_ashr_i32 s30, s31, 1
	s_wait_alu 0xfffe
	s_sub_co_i32 s10, s40, s10
	s_add_co_i32 s29, s5, 1
	s_wait_alu 0xfffe
	s_sub_co_i32 s31, s10, s3
	v_lshrrev_b32_e32 v68, 4, v35
	v_and_b32_e32 v67, 60, v28
	v_mul_u32_u24_e32 v59, 0x110, v35
	v_or_b32_e32 v48, 1, v34
	v_or_b32_e32 v46, 2, v34
	;; [unrolled: 1-line block ×3, first 2 shown]
	v_lshlrev_b32_e32 v37, 9, v39
	v_mbcnt_lo_u32_b32 v36, -1, 0
	s_wait_kmcnt 0x0
	s_ashr_i32 s28, s14, 2
	s_ashr_i32 s14, s26, 2
	s_cmp_ge_u32 s10, s3
	s_mul_u64 s[24:25], s[24:25], s[36:37]
	s_cselect_b32 s5, s29, s5
	s_cselect_b32 s10, s31, s10
	s_wait_alu 0xfffe
	s_add_nc_u64 s[6:7], s[6:7], s[24:25]
	s_add_co_i32 s24, s5, 1
	s_cmp_ge_u32 s10, s3
	v_mul_lo_u32 v8, s14, v39
	s_wait_alu 0xfffe
	s_cselect_b32 s3, s24, s5
	s_mul_u64 s[40:41], s[42:43], s[36:37]
	s_xor_b32 s3, s3, s4
	s_and_b32 s10, ttmp7, 0xffff
	s_sub_co_i32 s25, s3, s4
	s_add_nc_u64 s[8:9], s[8:9], s[40:41]
	s_wait_alu 0xfffe
	s_mul_i32 s4, s25, s15
	s_mul_i32 s26, s25, s27
	s_sub_co_i32 s3, s2, 64
	s_lshl_b32 s24, s10, 6
	s_wait_alu 0xfffe
	s_ashr_i32 s5, s4, 31
	s_ashr_i32 s27, s26, 31
	s_wait_alu 0xfffe
	s_add_nc_u64 s[4:5], s[6:7], s[4:5]
	s_cmp_ge_i32 s24, s3
	s_add_nc_u64 s[26:27], s[8:9], s[26:27]
	s_cbranch_scc1 .LBB42_27
; %bb.7:
	v_lshl_add_u32 v1, v39, 1, v68
	v_dual_mov_b32 v51, 0 :: v_dual_lshlrev_b32 v2, 2, v67
	v_mul_hi_u32 v5, s20, v45
	v_mul_hi_u32 v3, s20, v48
	s_delay_alu instid0(VALU_DEP_4)
	v_mul_lo_u32 v0, s28, v1
	v_mul_hi_u32 v4, s20, v46
	s_lshl_b32 s6, s28, 4
	v_mad_u32_u24 v69, 0x110, v1, v2
	s_ashr_i32 s29, s28, 31
	s_cmp_lg_u64 s[38:39], 0
	v_dual_mov_b32 v54, 0 :: v_dual_add_nc_u32 v5, v45, v5
	s_delay_alu instid0(VALU_DEP_4) | instskip(SKIP_2) | instid1(VALU_DEP_3)
	v_dual_mov_b32 v89, 0xfeffffff :: v_dual_add_nc_u32 v2, s6, v0
	v_dual_mov_b32 v52, 0 :: v_dual_add_nc_u32 v1, v48, v3
	;; [unrolled: 1-line block ×4, first 2 shown]
	v_lshrrev_b32_e32 v9, s21, v5
	s_cselect_b32 s8, -1, 0
	v_lshrrev_b32_e32 v7, s21, v1
	s_delay_alu instid0(VALU_DEP_3)
	v_dual_mov_b32 v61, 0 :: v_dual_add_nc_u32 v6, s6, v4
	s_lshl_b32 s6, s14, 3
	v_lshrrev_b32_e32 v3, s21, v3
	s_wait_alu 0xfffe
	v_dual_mov_b32 v63, 0 :: v_dual_add_nc_u32 v20, s6, v8
	v_mul_lo_u32 v9, v9, s22
	v_mul_lo_u32 v10, v7, s22
	;; [unrolled: 1-line block ×3, first 2 shown]
	s_delay_alu instid0(VALU_DEP_4)
	v_dual_mov_b32 v65, 0 :: v_dual_add_nc_u32 v22, s6, v20
	v_ashrrev_i32_e32 v1, 31, v0
	v_ashrrev_i32_e32 v3, 31, v2
	;; [unrolled: 1-line block ×3, first 2 shown]
	v_sub_nc_u32_e32 v9, v45, v9
	v_dual_mov_b32 v91, 0xfeffffff :: v_dual_add_nc_u32 v24, s6, v22
	v_sub_nc_u32_e32 v10, v48, v10
	v_sub_nc_u32_e32 v11, v46, v11
	v_ashrrev_i32_e32 v7, 31, v6
	v_mul_lo_u32 v78, v9, s30
	v_ashrrev_i32_e32 v9, 31, v8
	v_ashrrev_i32_e32 v21, 31, v20
	;; [unrolled: 1-line block ×4, first 2 shown]
	v_lshl_add_u32 v77, v28, 2, v37
	v_mul_lo_u32 v74, v47, s30
	v_mul_lo_u32 v75, v10, s30
	;; [unrolled: 1-line block ×3, first 2 shown]
	v_lshlrev_b64_e32 v[10:11], 2, v[0:1]
	v_lshlrev_b64_e32 v[12:13], 2, v[2:3]
	;; [unrolled: 1-line block ×8, first 2 shown]
	v_dual_mov_b32 v55, 0 :: v_dual_add_nc_u32 v70, 0x1100, v69
	v_dual_mov_b32 v50, 0 :: v_dual_add_nc_u32 v71, 0x2200, v69
	;; [unrolled: 1-line block ×8, first 2 shown]
	v_dual_mov_b32 v66, 0 :: v_dual_lshlrev_b32 v83, 2, v67
	v_mbcnt_lo_u32_b32 v9, -1, 0
	v_mov_b32_e32 v62, 0
	v_mov_b32_e32 v90, 0xfeffffff
	;; [unrolled: 1-line block ×5, first 2 shown]
	s_ashr_i32 s15, s14, 31
	s_add_nc_u64 s[6:7], s[0:1], 0xd0
.LBB42_8:                               ; =>This Inner Loop Header: Depth=1
	s_ashr_i32 s25, s24, 31
	s_wait_alu 0xfffe
	s_mul_u64 s[40:41], s[24:25], s[28:29]
	s_wait_alu 0xfffe
	s_lshl_b64 s[40:41], s[40:41], 2
	s_wait_alu 0xfffe
	s_add_nc_u64 s[40:41], s[4:5], s[40:41]
	s_wait_alu 0xfffe
	v_add_co_u32 v0, vcc_lo, s40, v10
	s_wait_alu 0xfffd
	v_add_co_ci_u32_e64 v1, null, s41, v11, vcc_lo
	v_add_co_u32 v2, vcc_lo, s40, v12
	s_wait_alu 0xfffd
	v_add_co_ci_u32_e64 v3, null, s41, v13, vcc_lo
	;; [unrolled: 3-line block ×8, first 2 shown]
	s_clause 0x3
	global_load_b128 v[41:44], v[0:1], off
	global_load_b128 v[92:95], v[2:3], off
	;; [unrolled: 1-line block ×4, first 2 shown]
	s_and_not1_b32 vcc_lo, exec_lo, s8
	s_wait_loadcnt 0x3
	ds_store_b128 v69, v[41:44]
	s_wait_loadcnt 0x2
	ds_store_b128 v70, v[92:95]
	;; [unrolled: 2-line block ×4, first 2 shown]
	s_wait_dscnt 0x0
	s_barrier_signal -1
	s_barrier_wait -1
	global_inv scope:SCOPE_SE
	ds_load_b128 v[96:99], v59
	ds_load_b128 v[100:103], v73
	ds_load_b128 v[104:107], v73 offset:512
	ds_load_b128 v[108:111], v73 offset:1024
	v_dual_mov_b32 v94, 0 :: v_dual_mov_b32 v43, 0
	ds_load_b128 v[112:115], v73 offset:1536
	ds_load_b128 v[116:119], v59 offset:8704
	s_wait_dscnt 0x4
	;;#ASMSTART
	v_dot2_f32_f16 v94, v96, v100, v94
	;;#ASMEND
	;;#ASMSTART
	v_dot2_f32_f16 v94, v97, v101, v94
	;;#ASMEND
	v_dual_mov_b32 v44, 0 :: v_dual_mov_b32 v41, 0
	;;#ASMSTART
	v_dot2_f32_f16 v94, v98, v102, v94
	;;#ASMEND
	;;#ASMSTART
	v_dot2_f32_f16 v94, v99, v103, v94
	;;#ASMEND
	s_wait_dscnt 0x3
	;;#ASMSTART
	v_dot2_f32_f16 v44, v96, v104, v44
	;;#ASMEND
	;;#ASMSTART
	v_dot2_f32_f16 v44, v97, v105, v44
	;;#ASMEND
	;;#ASMSTART
	v_dot2_f32_f16 v44, v98, v106, v44
	;;#ASMEND
	;;#ASMSTART
	v_dot2_f32_f16 v44, v99, v107, v44
	;;#ASMEND
	s_wait_dscnt 0x2
	;;#ASMSTART
	v_dot2_f32_f16 v43, v96, v108, v43
	;;#ASMEND
	;;#ASMSTART
	v_dot2_f32_f16 v43, v97, v109, v43
	;;#ASMEND
	;; [unrolled: 13-line block ×3, first 2 shown]
	v_dual_mov_b32 v95, 0 :: v_dual_mov_b32 v92, 0
	;;#ASMSTART
	v_dot2_f32_f16 v41, v98, v114, v41
	;;#ASMEND
	;;#ASMSTART
	v_dot2_f32_f16 v41, v99, v115, v41
	;;#ASMEND
	s_wait_dscnt 0x0
	;;#ASMSTART
	v_dot2_f32_f16 v95, v116, v100, v95
	;;#ASMEND
	;;#ASMSTART
	v_dot2_f32_f16 v95, v117, v101, v95
	;;#ASMEND
	v_dual_mov_b32 v93, 0 :: v_dual_mov_b32 v42, 0
	;;#ASMSTART
	v_dot2_f32_f16 v95, v118, v102, v95
	;;#ASMEND
	;;#ASMSTART
	v_dot2_f32_f16 v95, v119, v103, v95
	;;#ASMEND
	;; [unrolled: 3-line block ×14, first 2 shown]
	ds_load_b128 v[96:99], v59 offset:16
	ds_load_b128 v[100:103], v73 offset:16
	;; [unrolled: 1-line block ×6, first 2 shown]
	s_wait_dscnt 0x4
	;;#ASMSTART
	v_dot2_f32_f16 v94, v96, v100, v94
	;;#ASMEND
	;;#ASMSTART
	v_dot2_f32_f16 v94, v97, v101, v94
	;;#ASMEND
	;;#ASMSTART
	v_dot2_f32_f16 v94, v98, v102, v94
	;;#ASMEND
	;;#ASMSTART
	v_dot2_f32_f16 v94, v99, v103, v94
	;;#ASMEND
	s_wait_dscnt 0x3
	;;#ASMSTART
	v_dot2_f32_f16 v44, v96, v104, v44
	;;#ASMEND
	;;#ASMSTART
	v_dot2_f32_f16 v44, v97, v105, v44
	;;#ASMEND
	;;#ASMSTART
	v_dot2_f32_f16 v44, v98, v106, v44
	;;#ASMEND
	;;#ASMSTART
	v_dot2_f32_f16 v44, v99, v107, v44
	;;#ASMEND
	;; [unrolled: 13-line block ×5, first 2 shown]
	;;#ASMSTART
	v_dot2_f32_f16 v93, v116, v104, v93
	;;#ASMEND
	;;#ASMSTART
	v_dot2_f32_f16 v93, v117, v105, v93
	;;#ASMEND
	;; [unrolled: 3-line block ×12, first 2 shown]
	ds_load_b128 v[96:99], v59 offset:32
	ds_load_b128 v[100:103], v73 offset:32
	;; [unrolled: 1-line block ×6, first 2 shown]
	s_wait_dscnt 0x4
	;;#ASMSTART
	v_dot2_f32_f16 v94, v96, v100, v94
	;;#ASMEND
	;;#ASMSTART
	v_dot2_f32_f16 v94, v97, v101, v94
	;;#ASMEND
	;;#ASMSTART
	v_dot2_f32_f16 v94, v98, v102, v94
	;;#ASMEND
	;;#ASMSTART
	v_dot2_f32_f16 v94, v99, v103, v94
	;;#ASMEND
	s_wait_dscnt 0x3
	;;#ASMSTART
	v_dot2_f32_f16 v44, v96, v104, v44
	;;#ASMEND
	;;#ASMSTART
	v_dot2_f32_f16 v44, v97, v105, v44
	;;#ASMEND
	;;#ASMSTART
	v_dot2_f32_f16 v44, v98, v106, v44
	;;#ASMEND
	;;#ASMSTART
	v_dot2_f32_f16 v44, v99, v107, v44
	;;#ASMEND
	;; [unrolled: 13-line block ×5, first 2 shown]
	;;#ASMSTART
	v_dot2_f32_f16 v93, v116, v104, v93
	;;#ASMEND
	;;#ASMSTART
	v_dot2_f32_f16 v93, v117, v105, v93
	;;#ASMEND
	;; [unrolled: 3-line block ×12, first 2 shown]
	ds_load_b128 v[96:99], v59 offset:48
	ds_load_b128 v[100:103], v73 offset:48
	;; [unrolled: 1-line block ×6, first 2 shown]
	s_wait_dscnt 0x4
	;;#ASMSTART
	v_dot2_f32_f16 v94, v96, v100, v94
	;;#ASMEND
	;;#ASMSTART
	v_dot2_f32_f16 v94, v97, v101, v94
	;;#ASMEND
	;;#ASMSTART
	v_dot2_f32_f16 v94, v98, v102, v94
	;;#ASMEND
	;;#ASMSTART
	v_dot2_f32_f16 v94, v99, v103, v94
	;;#ASMEND
	s_wait_dscnt 0x3
	;;#ASMSTART
	v_dot2_f32_f16 v44, v96, v104, v44
	;;#ASMEND
	;;#ASMSTART
	v_dot2_f32_f16 v44, v97, v105, v44
	;;#ASMEND
	;;#ASMSTART
	v_dot2_f32_f16 v44, v98, v106, v44
	;;#ASMEND
	;;#ASMSTART
	v_dot2_f32_f16 v44, v99, v107, v44
	;;#ASMEND
	;; [unrolled: 13-line block ×5, first 2 shown]
	;;#ASMSTART
	v_dot2_f32_f16 v93, v116, v104, v93
	;;#ASMEND
	;;#ASMSTART
	v_dot2_f32_f16 v93, v117, v105, v93
	;;#ASMEND
	;; [unrolled: 3-line block ×12, first 2 shown]
	ds_load_b128 v[96:99], v59 offset:64
	ds_load_b128 v[100:103], v73 offset:64
	;; [unrolled: 1-line block ×6, first 2 shown]
	s_wait_dscnt 0x4
	;;#ASMSTART
	v_dot2_f32_f16 v94, v96, v100, v94
	;;#ASMEND
	;;#ASMSTART
	v_dot2_f32_f16 v94, v97, v101, v94
	;;#ASMEND
	;;#ASMSTART
	v_dot2_f32_f16 v94, v98, v102, v94
	;;#ASMEND
	;;#ASMSTART
	v_dot2_f32_f16 v94, v99, v103, v94
	;;#ASMEND
	s_wait_dscnt 0x3
	;;#ASMSTART
	v_dot2_f32_f16 v44, v96, v104, v44
	;;#ASMEND
	;;#ASMSTART
	v_dot2_f32_f16 v44, v97, v105, v44
	;;#ASMEND
	;;#ASMSTART
	v_dot2_f32_f16 v44, v98, v106, v44
	;;#ASMEND
	;;#ASMSTART
	v_dot2_f32_f16 v44, v99, v107, v44
	;;#ASMEND
	;; [unrolled: 13-line block ×5, first 2 shown]
	;;#ASMSTART
	v_dot2_f32_f16 v93, v116, v104, v93
	;;#ASMEND
	;;#ASMSTART
	v_dot2_f32_f16 v93, v117, v105, v93
	;;#ASMEND
	;; [unrolled: 3-line block ×12, first 2 shown]
	ds_load_b128 v[96:99], v59 offset:80
	ds_load_b128 v[100:103], v73 offset:80
	;; [unrolled: 1-line block ×6, first 2 shown]
	s_wait_dscnt 0x4
	;;#ASMSTART
	v_dot2_f32_f16 v94, v96, v100, v94
	;;#ASMEND
	;;#ASMSTART
	v_dot2_f32_f16 v94, v97, v101, v94
	;;#ASMEND
	;;#ASMSTART
	v_dot2_f32_f16 v94, v98, v102, v94
	;;#ASMEND
	;;#ASMSTART
	v_dot2_f32_f16 v94, v99, v103, v94
	;;#ASMEND
	s_wait_dscnt 0x3
	;;#ASMSTART
	v_dot2_f32_f16 v44, v96, v104, v44
	;;#ASMEND
	;;#ASMSTART
	v_dot2_f32_f16 v44, v97, v105, v44
	;;#ASMEND
	;;#ASMSTART
	v_dot2_f32_f16 v44, v98, v106, v44
	;;#ASMEND
	;;#ASMSTART
	v_dot2_f32_f16 v44, v99, v107, v44
	;;#ASMEND
	;; [unrolled: 13-line block ×5, first 2 shown]
	;;#ASMSTART
	v_dot2_f32_f16 v93, v116, v104, v93
	;;#ASMEND
	;;#ASMSTART
	v_dot2_f32_f16 v93, v117, v105, v93
	;;#ASMEND
	;; [unrolled: 3-line block ×12, first 2 shown]
	ds_load_b128 v[96:99], v59 offset:96
	ds_load_b128 v[100:103], v73 offset:96
	ds_load_b128 v[104:107], v73 offset:608
	ds_load_b128 v[108:111], v73 offset:1120
	ds_load_b128 v[112:115], v73 offset:1632
	ds_load_b128 v[116:119], v59 offset:8800
	s_wait_dscnt 0x4
	;;#ASMSTART
	v_dot2_f32_f16 v94, v96, v100, v94
	;;#ASMEND
	;;#ASMSTART
	v_dot2_f32_f16 v94, v97, v101, v94
	;;#ASMEND
	;;#ASMSTART
	v_dot2_f32_f16 v94, v98, v102, v94
	;;#ASMEND
	;;#ASMSTART
	v_dot2_f32_f16 v94, v99, v103, v94
	;;#ASMEND
	s_wait_dscnt 0x3
	;;#ASMSTART
	v_dot2_f32_f16 v44, v96, v104, v44
	;;#ASMEND
	;;#ASMSTART
	v_dot2_f32_f16 v44, v97, v105, v44
	;;#ASMEND
	;;#ASMSTART
	v_dot2_f32_f16 v44, v98, v106, v44
	;;#ASMEND
	;;#ASMSTART
	v_dot2_f32_f16 v44, v99, v107, v44
	;;#ASMEND
	;; [unrolled: 13-line block ×5, first 2 shown]
	;;#ASMSTART
	v_dot2_f32_f16 v93, v116, v104, v93
	;;#ASMEND
	;;#ASMSTART
	v_dot2_f32_f16 v93, v117, v105, v93
	;;#ASMEND
	;; [unrolled: 3-line block ×12, first 2 shown]
	ds_load_b128 v[96:99], v59 offset:112
	ds_load_b128 v[100:103], v73 offset:112
	;; [unrolled: 1-line block ×6, first 2 shown]
	s_wait_dscnt 0x4
	;;#ASMSTART
	v_dot2_f32_f16 v94, v96, v100, v94
	;;#ASMEND
	;;#ASMSTART
	v_dot2_f32_f16 v94, v97, v101, v94
	;;#ASMEND
	;;#ASMSTART
	v_dot2_f32_f16 v94, v98, v102, v94
	;;#ASMEND
	;;#ASMSTART
	v_dot2_f32_f16 v94, v99, v103, v94
	;;#ASMEND
	s_wait_dscnt 0x3
	;;#ASMSTART
	v_dot2_f32_f16 v44, v96, v104, v44
	;;#ASMEND
	;;#ASMSTART
	v_dot2_f32_f16 v44, v97, v105, v44
	;;#ASMEND
	;;#ASMSTART
	v_dot2_f32_f16 v44, v98, v106, v44
	;;#ASMEND
	;;#ASMSTART
	v_dot2_f32_f16 v44, v99, v107, v44
	;;#ASMEND
	;; [unrolled: 13-line block ×5, first 2 shown]
	;;#ASMSTART
	v_dot2_f32_f16 v93, v116, v104, v93
	;;#ASMEND
	;;#ASMSTART
	v_dot2_f32_f16 v93, v117, v105, v93
	;;#ASMEND
	;; [unrolled: 3-line block ×12, first 2 shown]
	ds_load_b128 v[96:99], v59 offset:128
	ds_load_b128 v[100:103], v73 offset:128
	;; [unrolled: 1-line block ×6, first 2 shown]
	s_wait_dscnt 0x4
	;;#ASMSTART
	v_dot2_f32_f16 v94, v96, v100, v94
	;;#ASMEND
	;;#ASMSTART
	v_dot2_f32_f16 v94, v97, v101, v94
	;;#ASMEND
	;;#ASMSTART
	v_dot2_f32_f16 v94, v98, v102, v94
	;;#ASMEND
	;;#ASMSTART
	v_dot2_f32_f16 v94, v99, v103, v94
	;;#ASMEND
	s_wait_dscnt 0x3
	;;#ASMSTART
	v_dot2_f32_f16 v44, v96, v104, v44
	;;#ASMEND
	;;#ASMSTART
	v_dot2_f32_f16 v44, v97, v105, v44
	;;#ASMEND
	;;#ASMSTART
	v_dot2_f32_f16 v44, v98, v106, v44
	;;#ASMEND
	;;#ASMSTART
	v_dot2_f32_f16 v44, v99, v107, v44
	;;#ASMEND
	;; [unrolled: 13-line block ×5, first 2 shown]
	;;#ASMSTART
	v_dot2_f32_f16 v93, v116, v104, v93
	;;#ASMEND
	;;#ASMSTART
	v_dot2_f32_f16 v93, v117, v105, v93
	;;#ASMEND
	;;#ASMSTART
	v_dot2_f32_f16 v93, v118, v106, v93
	;;#ASMEND
	;;#ASMSTART
	v_dot2_f32_f16 v93, v119, v107, v93
	;;#ASMEND
	;;#ASMSTART
	v_dot2_f32_f16 v92, v116, v108, v92
	;;#ASMEND
	;;#ASMSTART
	v_dot2_f32_f16 v92, v117, v109, v92
	;;#ASMEND
	;;#ASMSTART
	v_dot2_f32_f16 v92, v118, v110, v92
	;;#ASMEND
	;;#ASMSTART
	v_dot2_f32_f16 v92, v119, v111, v92
	;;#ASMEND
	;;#ASMSTART
	v_dot2_f32_f16 v42, v116, v112, v42
	;;#ASMEND
	;;#ASMSTART
	v_dot2_f32_f16 v42, v117, v113, v42
	;;#ASMEND
	;;#ASMSTART
	v_dot2_f32_f16 v42, v118, v114, v42
	;;#ASMEND
	;;#ASMSTART
	v_dot2_f32_f16 v42, v119, v115, v42
	;;#ASMEND
	ds_load_b128 v[96:99], v59 offset:144
	ds_load_b128 v[100:103], v73 offset:144
	;; [unrolled: 1-line block ×6, first 2 shown]
	s_wait_dscnt 0x4
	;;#ASMSTART
	v_dot2_f32_f16 v94, v96, v100, v94
	;;#ASMEND
	;;#ASMSTART
	v_dot2_f32_f16 v94, v97, v101, v94
	;;#ASMEND
	;;#ASMSTART
	v_dot2_f32_f16 v94, v98, v102, v94
	;;#ASMEND
	;;#ASMSTART
	v_dot2_f32_f16 v94, v99, v103, v94
	;;#ASMEND
	s_wait_dscnt 0x3
	;;#ASMSTART
	v_dot2_f32_f16 v44, v96, v104, v44
	;;#ASMEND
	;;#ASMSTART
	v_dot2_f32_f16 v44, v97, v105, v44
	;;#ASMEND
	;;#ASMSTART
	v_dot2_f32_f16 v44, v98, v106, v44
	;;#ASMEND
	;;#ASMSTART
	v_dot2_f32_f16 v44, v99, v107, v44
	;;#ASMEND
	;; [unrolled: 13-line block ×5, first 2 shown]
	;;#ASMSTART
	v_dot2_f32_f16 v93, v116, v104, v93
	;;#ASMEND
	;;#ASMSTART
	v_dot2_f32_f16 v93, v117, v105, v93
	;;#ASMEND
	;; [unrolled: 3-line block ×12, first 2 shown]
	ds_load_b128 v[96:99], v59 offset:160
	ds_load_b128 v[100:103], v73 offset:160
	ds_load_b128 v[104:107], v73 offset:672
	ds_load_b128 v[108:111], v73 offset:1184
	ds_load_b128 v[112:115], v73 offset:1696
	ds_load_b128 v[116:119], v59 offset:8864
	s_wait_dscnt 0x4
	;;#ASMSTART
	v_dot2_f32_f16 v94, v96, v100, v94
	;;#ASMEND
	;;#ASMSTART
	v_dot2_f32_f16 v94, v97, v101, v94
	;;#ASMEND
	;;#ASMSTART
	v_dot2_f32_f16 v94, v98, v102, v94
	;;#ASMEND
	;;#ASMSTART
	v_dot2_f32_f16 v94, v99, v103, v94
	;;#ASMEND
	s_wait_dscnt 0x3
	;;#ASMSTART
	v_dot2_f32_f16 v44, v96, v104, v44
	;;#ASMEND
	;;#ASMSTART
	v_dot2_f32_f16 v44, v97, v105, v44
	;;#ASMEND
	;;#ASMSTART
	v_dot2_f32_f16 v44, v98, v106, v44
	;;#ASMEND
	;;#ASMSTART
	v_dot2_f32_f16 v44, v99, v107, v44
	;;#ASMEND
	;; [unrolled: 13-line block ×5, first 2 shown]
	;;#ASMSTART
	v_dot2_f32_f16 v93, v116, v104, v93
	;;#ASMEND
	;;#ASMSTART
	v_dot2_f32_f16 v93, v117, v105, v93
	;;#ASMEND
	;; [unrolled: 3-line block ×12, first 2 shown]
	ds_load_b128 v[96:99], v59 offset:176
	ds_load_b128 v[100:103], v73 offset:176
	;; [unrolled: 1-line block ×6, first 2 shown]
	s_wait_dscnt 0x4
	;;#ASMSTART
	v_dot2_f32_f16 v94, v96, v100, v94
	;;#ASMEND
	;;#ASMSTART
	v_dot2_f32_f16 v94, v97, v101, v94
	;;#ASMEND
	;;#ASMSTART
	v_dot2_f32_f16 v94, v98, v102, v94
	;;#ASMEND
	;;#ASMSTART
	v_dot2_f32_f16 v94, v99, v103, v94
	;;#ASMEND
	s_wait_dscnt 0x3
	;;#ASMSTART
	v_dot2_f32_f16 v44, v96, v104, v44
	;;#ASMEND
	;;#ASMSTART
	v_dot2_f32_f16 v44, v97, v105, v44
	;;#ASMEND
	;;#ASMSTART
	v_dot2_f32_f16 v44, v98, v106, v44
	;;#ASMEND
	;;#ASMSTART
	v_dot2_f32_f16 v44, v99, v107, v44
	;;#ASMEND
	;; [unrolled: 13-line block ×5, first 2 shown]
	;;#ASMSTART
	v_dot2_f32_f16 v93, v116, v104, v93
	;;#ASMEND
	;;#ASMSTART
	v_dot2_f32_f16 v93, v117, v105, v93
	;;#ASMEND
	;;#ASMSTART
	v_dot2_f32_f16 v93, v118, v106, v93
	;;#ASMEND
	;;#ASMSTART
	v_dot2_f32_f16 v93, v119, v107, v93
	;;#ASMEND
	;;#ASMSTART
	v_dot2_f32_f16 v92, v116, v108, v92
	;;#ASMEND
	;;#ASMSTART
	v_dot2_f32_f16 v92, v117, v109, v92
	;;#ASMEND
	;;#ASMSTART
	v_dot2_f32_f16 v92, v118, v110, v92
	;;#ASMEND
	;;#ASMSTART
	v_dot2_f32_f16 v92, v119, v111, v92
	;;#ASMEND
	;;#ASMSTART
	v_dot2_f32_f16 v42, v116, v112, v42
	;;#ASMEND
	;;#ASMSTART
	v_dot2_f32_f16 v42, v117, v113, v42
	;;#ASMEND
	;;#ASMSTART
	v_dot2_f32_f16 v42, v118, v114, v42
	;;#ASMEND
	;;#ASMSTART
	v_dot2_f32_f16 v42, v119, v115, v42
	;;#ASMEND
	ds_load_b128 v[96:99], v59 offset:192
	ds_load_b128 v[100:103], v73 offset:192
	ds_load_b128 v[104:107], v73 offset:704
	ds_load_b128 v[108:111], v73 offset:1216
	ds_load_b128 v[112:115], v73 offset:1728
	ds_load_b128 v[116:119], v59 offset:8896
	s_wait_dscnt 0x4
	;;#ASMSTART
	v_dot2_f32_f16 v94, v96, v100, v94
	;;#ASMEND
	;;#ASMSTART
	v_dot2_f32_f16 v94, v97, v101, v94
	;;#ASMEND
	;;#ASMSTART
	v_dot2_f32_f16 v94, v98, v102, v94
	;;#ASMEND
	;;#ASMSTART
	v_dot2_f32_f16 v94, v99, v103, v94
	;;#ASMEND
	s_wait_dscnt 0x3
	;;#ASMSTART
	v_dot2_f32_f16 v44, v96, v104, v44
	;;#ASMEND
	;;#ASMSTART
	v_dot2_f32_f16 v44, v97, v105, v44
	;;#ASMEND
	;;#ASMSTART
	v_dot2_f32_f16 v44, v98, v106, v44
	;;#ASMEND
	;;#ASMSTART
	v_dot2_f32_f16 v44, v99, v107, v44
	;;#ASMEND
	;; [unrolled: 13-line block ×5, first 2 shown]
	;;#ASMSTART
	v_dot2_f32_f16 v93, v116, v104, v93
	;;#ASMEND
	;;#ASMSTART
	v_dot2_f32_f16 v93, v117, v105, v93
	;;#ASMEND
	;; [unrolled: 3-line block ×12, first 2 shown]
	ds_load_b128 v[96:99], v59 offset:208
	ds_load_b128 v[100:103], v73 offset:208
	;; [unrolled: 1-line block ×6, first 2 shown]
	s_wait_dscnt 0x4
	;;#ASMSTART
	v_dot2_f32_f16 v94, v96, v100, v94
	;;#ASMEND
	;;#ASMSTART
	v_dot2_f32_f16 v94, v97, v101, v94
	;;#ASMEND
	;;#ASMSTART
	v_dot2_f32_f16 v94, v98, v102, v94
	;;#ASMEND
	;;#ASMSTART
	v_dot2_f32_f16 v94, v99, v103, v94
	;;#ASMEND
	s_wait_dscnt 0x3
	;;#ASMSTART
	v_dot2_f32_f16 v44, v96, v104, v44
	;;#ASMEND
	;;#ASMSTART
	v_dot2_f32_f16 v44, v97, v105, v44
	;;#ASMEND
	;;#ASMSTART
	v_dot2_f32_f16 v44, v98, v106, v44
	;;#ASMEND
	;;#ASMSTART
	v_dot2_f32_f16 v44, v99, v107, v44
	;;#ASMEND
	;; [unrolled: 13-line block ×5, first 2 shown]
	;;#ASMSTART
	v_dot2_f32_f16 v93, v116, v104, v93
	;;#ASMEND
	;;#ASMSTART
	v_dot2_f32_f16 v93, v117, v105, v93
	;;#ASMEND
	;; [unrolled: 3-line block ×12, first 2 shown]
	ds_load_b128 v[96:99], v59 offset:224
	ds_load_b128 v[100:103], v73 offset:224
	;; [unrolled: 1-line block ×6, first 2 shown]
	s_wait_dscnt 0x4
	;;#ASMSTART
	v_dot2_f32_f16 v94, v96, v100, v94
	;;#ASMEND
	;;#ASMSTART
	v_dot2_f32_f16 v94, v97, v101, v94
	;;#ASMEND
	;;#ASMSTART
	v_dot2_f32_f16 v94, v98, v102, v94
	;;#ASMEND
	;;#ASMSTART
	v_dot2_f32_f16 v94, v99, v103, v94
	;;#ASMEND
	s_wait_dscnt 0x3
	;;#ASMSTART
	v_dot2_f32_f16 v44, v96, v104, v44
	;;#ASMEND
	;;#ASMSTART
	v_dot2_f32_f16 v44, v97, v105, v44
	;;#ASMEND
	;;#ASMSTART
	v_dot2_f32_f16 v44, v98, v106, v44
	;;#ASMEND
	;;#ASMSTART
	v_dot2_f32_f16 v44, v99, v107, v44
	;;#ASMEND
	;; [unrolled: 13-line block ×5, first 2 shown]
	;;#ASMSTART
	v_dot2_f32_f16 v93, v116, v104, v93
	;;#ASMEND
	;;#ASMSTART
	v_dot2_f32_f16 v93, v117, v105, v93
	;;#ASMEND
	;;#ASMSTART
	v_dot2_f32_f16 v93, v118, v106, v93
	;;#ASMEND
	;;#ASMSTART
	v_dot2_f32_f16 v93, v119, v107, v93
	;;#ASMEND
	;;#ASMSTART
	v_dot2_f32_f16 v92, v116, v108, v92
	;;#ASMEND
	;;#ASMSTART
	v_dot2_f32_f16 v92, v117, v109, v92
	;;#ASMEND
	;;#ASMSTART
	v_dot2_f32_f16 v92, v118, v110, v92
	;;#ASMEND
	;;#ASMSTART
	v_dot2_f32_f16 v92, v119, v111, v92
	;;#ASMEND
	;;#ASMSTART
	v_dot2_f32_f16 v42, v116, v112, v42
	;;#ASMEND
	;;#ASMSTART
	v_dot2_f32_f16 v42, v117, v113, v42
	;;#ASMEND
	;;#ASMSTART
	v_dot2_f32_f16 v42, v118, v114, v42
	;;#ASMEND
	;;#ASMSTART
	v_dot2_f32_f16 v42, v119, v115, v42
	;;#ASMEND
	ds_load_b128 v[96:99], v59 offset:240
	ds_load_b128 v[100:103], v73 offset:240
	;; [unrolled: 1-line block ×6, first 2 shown]
	s_wait_dscnt 0x4
	;;#ASMSTART
	v_dot2_f32_f16 v94, v96, v100, v94
	;;#ASMEND
	;;#ASMSTART
	v_dot2_f32_f16 v94, v97, v101, v94
	;;#ASMEND
	;;#ASMSTART
	v_dot2_f32_f16 v94, v98, v102, v94
	;;#ASMEND
	;;#ASMSTART
	v_dot2_f32_f16 v94, v99, v103, v94
	;;#ASMEND
	s_wait_dscnt 0x3
	;;#ASMSTART
	v_dot2_f32_f16 v44, v96, v104, v44
	;;#ASMEND
	;;#ASMSTART
	v_dot2_f32_f16 v44, v97, v105, v44
	;;#ASMEND
	;;#ASMSTART
	v_dot2_f32_f16 v44, v98, v106, v44
	;;#ASMEND
	;;#ASMSTART
	v_dot2_f32_f16 v44, v99, v107, v44
	;;#ASMEND
	;; [unrolled: 13-line block ×5, first 2 shown]
	;;#ASMSTART
	v_dot2_f32_f16 v93, v116, v104, v93
	;;#ASMEND
	;;#ASMSTART
	v_dot2_f32_f16 v93, v117, v105, v93
	;;#ASMEND
	;;#ASMSTART
	v_dot2_f32_f16 v93, v118, v106, v93
	;;#ASMEND
	;;#ASMSTART
	v_dot2_f32_f16 v93, v119, v107, v93
	;;#ASMEND
	;;#ASMSTART
	v_dot2_f32_f16 v92, v116, v108, v92
	;;#ASMEND
	;;#ASMSTART
	v_dot2_f32_f16 v92, v117, v109, v92
	;;#ASMEND
	;;#ASMSTART
	v_dot2_f32_f16 v92, v118, v110, v92
	;;#ASMEND
	;;#ASMSTART
	v_dot2_f32_f16 v92, v119, v111, v92
	;;#ASMEND
	;;#ASMSTART
	v_dot2_f32_f16 v42, v116, v112, v42
	;;#ASMEND
	;;#ASMSTART
	v_dot2_f32_f16 v42, v117, v113, v42
	;;#ASMEND
	;;#ASMSTART
	v_dot2_f32_f16 v42, v118, v114, v42
	;;#ASMEND
	;;#ASMSTART
	v_dot2_f32_f16 v42, v119, v115, v42
	;;#ASMEND
	s_wait_loadcnt 0x0
	s_barrier_signal -1
	s_barrier_wait -1
	global_inv scope:SCOPE_SE
	s_clause 0x3
	global_load_b128 v[96:99], v[0:1], off offset:256
	global_load_b128 v[0:3], v[2:3], off offset:256
	;; [unrolled: 1-line block ×4, first 2 shown]
	s_wait_loadcnt 0x3
	ds_store_b128 v69, v[96:99]
	s_wait_loadcnt 0x2
	ds_store_b128 v70, v[0:3]
	;; [unrolled: 2-line block ×4, first 2 shown]
	s_wait_dscnt 0x0
	s_barrier_signal -1
	s_barrier_wait -1
	global_inv scope:SCOPE_SE
	ds_load_b128 v[0:3], v59
	ds_load_b128 v[4:7], v73 offset:256
	ds_load_b128 v[96:99], v73 offset:768
	;; [unrolled: 1-line block ×5, first 2 shown]
	s_wait_dscnt 0x4
	;;#ASMSTART
	v_dot2_f32_f16 v94, v0, v4, v94
	;;#ASMEND
	;;#ASMSTART
	v_dot2_f32_f16 v94, v1, v5, v94
	;;#ASMEND
	;;#ASMSTART
	v_dot2_f32_f16 v94, v2, v6, v94
	;;#ASMEND
	;;#ASMSTART
	v_dot2_f32_f16 v94, v3, v7, v94
	;;#ASMEND
	s_wait_dscnt 0x3
	;;#ASMSTART
	v_dot2_f32_f16 v44, v0, v96, v44
	;;#ASMEND
	;;#ASMSTART
	v_dot2_f32_f16 v44, v1, v97, v44
	;;#ASMEND
	;;#ASMSTART
	v_dot2_f32_f16 v44, v2, v98, v44
	;;#ASMEND
	;;#ASMSTART
	v_dot2_f32_f16 v44, v3, v99, v44
	;;#ASMEND
	;; [unrolled: 13-line block ×5, first 2 shown]
	;;#ASMSTART
	v_dot2_f32_f16 v93, v108, v96, v93
	;;#ASMEND
	;;#ASMSTART
	v_dot2_f32_f16 v93, v109, v97, v93
	;;#ASMEND
	;; [unrolled: 3-line block ×12, first 2 shown]
	ds_load_b128 v[0:3], v59 offset:16
	ds_load_b128 v[4:7], v73 offset:272
	;; [unrolled: 1-line block ×6, first 2 shown]
	s_wait_dscnt 0x4
	;;#ASMSTART
	v_dot2_f32_f16 v94, v0, v4, v94
	;;#ASMEND
	;;#ASMSTART
	v_dot2_f32_f16 v94, v1, v5, v94
	;;#ASMEND
	;;#ASMSTART
	v_dot2_f32_f16 v94, v2, v6, v94
	;;#ASMEND
	;;#ASMSTART
	v_dot2_f32_f16 v94, v3, v7, v94
	;;#ASMEND
	s_wait_dscnt 0x3
	;;#ASMSTART
	v_dot2_f32_f16 v44, v0, v96, v44
	;;#ASMEND
	;;#ASMSTART
	v_dot2_f32_f16 v44, v1, v97, v44
	;;#ASMEND
	;;#ASMSTART
	v_dot2_f32_f16 v44, v2, v98, v44
	;;#ASMEND
	;;#ASMSTART
	v_dot2_f32_f16 v44, v3, v99, v44
	;;#ASMEND
	;; [unrolled: 13-line block ×5, first 2 shown]
	;;#ASMSTART
	v_dot2_f32_f16 v93, v108, v96, v93
	;;#ASMEND
	;;#ASMSTART
	v_dot2_f32_f16 v93, v109, v97, v93
	;;#ASMEND
	;; [unrolled: 3-line block ×12, first 2 shown]
	ds_load_b128 v[0:3], v59 offset:32
	ds_load_b128 v[4:7], v73 offset:288
	;; [unrolled: 1-line block ×6, first 2 shown]
	s_wait_dscnt 0x4
	;;#ASMSTART
	v_dot2_f32_f16 v94, v0, v4, v94
	;;#ASMEND
	;;#ASMSTART
	v_dot2_f32_f16 v94, v1, v5, v94
	;;#ASMEND
	;;#ASMSTART
	v_dot2_f32_f16 v94, v2, v6, v94
	;;#ASMEND
	;;#ASMSTART
	v_dot2_f32_f16 v94, v3, v7, v94
	;;#ASMEND
	s_wait_dscnt 0x3
	;;#ASMSTART
	v_dot2_f32_f16 v44, v0, v96, v44
	;;#ASMEND
	;;#ASMSTART
	v_dot2_f32_f16 v44, v1, v97, v44
	;;#ASMEND
	;;#ASMSTART
	v_dot2_f32_f16 v44, v2, v98, v44
	;;#ASMEND
	;;#ASMSTART
	v_dot2_f32_f16 v44, v3, v99, v44
	;;#ASMEND
	s_wait_dscnt 0x2
	;;#ASMSTART
	v_dot2_f32_f16 v43, v0, v100, v43
	;;#ASMEND
	;;#ASMSTART
	v_dot2_f32_f16 v43, v1, v101, v43
	;;#ASMEND
	;;#ASMSTART
	v_dot2_f32_f16 v43, v2, v102, v43
	;;#ASMEND
	;;#ASMSTART
	v_dot2_f32_f16 v43, v3, v103, v43
	;;#ASMEND
	s_wait_dscnt 0x1
	;;#ASMSTART
	v_dot2_f32_f16 v41, v0, v104, v41
	;;#ASMEND
	;;#ASMSTART
	v_dot2_f32_f16 v41, v1, v105, v41
	;;#ASMEND
	;;#ASMSTART
	v_dot2_f32_f16 v41, v2, v106, v41
	;;#ASMEND
	;;#ASMSTART
	v_dot2_f32_f16 v41, v3, v107, v41
	;;#ASMEND
	s_wait_dscnt 0x0
	;;#ASMSTART
	v_dot2_f32_f16 v95, v108, v4, v95
	;;#ASMEND
	;;#ASMSTART
	v_dot2_f32_f16 v95, v109, v5, v95
	;;#ASMEND
	;;#ASMSTART
	v_dot2_f32_f16 v95, v110, v6, v95
	;;#ASMEND
	;;#ASMSTART
	v_dot2_f32_f16 v95, v111, v7, v95
	;;#ASMEND
	;;#ASMSTART
	v_dot2_f32_f16 v93, v108, v96, v93
	;;#ASMEND
	;;#ASMSTART
	v_dot2_f32_f16 v93, v109, v97, v93
	;;#ASMEND
	;; [unrolled: 3-line block ×12, first 2 shown]
	ds_load_b128 v[0:3], v59 offset:48
	ds_load_b128 v[4:7], v73 offset:304
	;; [unrolled: 1-line block ×6, first 2 shown]
	s_wait_dscnt 0x4
	;;#ASMSTART
	v_dot2_f32_f16 v94, v0, v4, v94
	;;#ASMEND
	;;#ASMSTART
	v_dot2_f32_f16 v94, v1, v5, v94
	;;#ASMEND
	;;#ASMSTART
	v_dot2_f32_f16 v94, v2, v6, v94
	;;#ASMEND
	;;#ASMSTART
	v_dot2_f32_f16 v94, v3, v7, v94
	;;#ASMEND
	s_wait_dscnt 0x3
	;;#ASMSTART
	v_dot2_f32_f16 v44, v0, v96, v44
	;;#ASMEND
	;;#ASMSTART
	v_dot2_f32_f16 v44, v1, v97, v44
	;;#ASMEND
	;;#ASMSTART
	v_dot2_f32_f16 v44, v2, v98, v44
	;;#ASMEND
	;;#ASMSTART
	v_dot2_f32_f16 v44, v3, v99, v44
	;;#ASMEND
	;; [unrolled: 13-line block ×5, first 2 shown]
	;;#ASMSTART
	v_dot2_f32_f16 v93, v108, v96, v93
	;;#ASMEND
	;;#ASMSTART
	v_dot2_f32_f16 v93, v109, v97, v93
	;;#ASMEND
	;; [unrolled: 3-line block ×12, first 2 shown]
	ds_load_b128 v[0:3], v59 offset:64
	ds_load_b128 v[4:7], v73 offset:320
	ds_load_b128 v[96:99], v73 offset:832
	ds_load_b128 v[100:103], v73 offset:1344
	ds_load_b128 v[104:107], v73 offset:1856
	ds_load_b128 v[108:111], v59 offset:8768
	s_wait_dscnt 0x4
	;;#ASMSTART
	v_dot2_f32_f16 v94, v0, v4, v94
	;;#ASMEND
	;;#ASMSTART
	v_dot2_f32_f16 v94, v1, v5, v94
	;;#ASMEND
	;;#ASMSTART
	v_dot2_f32_f16 v94, v2, v6, v94
	;;#ASMEND
	;;#ASMSTART
	v_dot2_f32_f16 v94, v3, v7, v94
	;;#ASMEND
	s_wait_dscnt 0x3
	;;#ASMSTART
	v_dot2_f32_f16 v44, v0, v96, v44
	;;#ASMEND
	;;#ASMSTART
	v_dot2_f32_f16 v44, v1, v97, v44
	;;#ASMEND
	;;#ASMSTART
	v_dot2_f32_f16 v44, v2, v98, v44
	;;#ASMEND
	;;#ASMSTART
	v_dot2_f32_f16 v44, v3, v99, v44
	;;#ASMEND
	;; [unrolled: 13-line block ×5, first 2 shown]
	;;#ASMSTART
	v_dot2_f32_f16 v93, v108, v96, v93
	;;#ASMEND
	;;#ASMSTART
	v_dot2_f32_f16 v93, v109, v97, v93
	;;#ASMEND
	;; [unrolled: 3-line block ×12, first 2 shown]
	ds_load_b128 v[0:3], v59 offset:80
	ds_load_b128 v[4:7], v73 offset:336
	;; [unrolled: 1-line block ×6, first 2 shown]
	s_wait_dscnt 0x4
	;;#ASMSTART
	v_dot2_f32_f16 v94, v0, v4, v94
	;;#ASMEND
	;;#ASMSTART
	v_dot2_f32_f16 v94, v1, v5, v94
	;;#ASMEND
	;;#ASMSTART
	v_dot2_f32_f16 v94, v2, v6, v94
	;;#ASMEND
	;;#ASMSTART
	v_dot2_f32_f16 v94, v3, v7, v94
	;;#ASMEND
	s_wait_dscnt 0x3
	;;#ASMSTART
	v_dot2_f32_f16 v44, v0, v96, v44
	;;#ASMEND
	;;#ASMSTART
	v_dot2_f32_f16 v44, v1, v97, v44
	;;#ASMEND
	;;#ASMSTART
	v_dot2_f32_f16 v44, v2, v98, v44
	;;#ASMEND
	;;#ASMSTART
	v_dot2_f32_f16 v44, v3, v99, v44
	;;#ASMEND
	;; [unrolled: 13-line block ×5, first 2 shown]
	;;#ASMSTART
	v_dot2_f32_f16 v93, v108, v96, v93
	;;#ASMEND
	;;#ASMSTART
	v_dot2_f32_f16 v93, v109, v97, v93
	;;#ASMEND
	;;#ASMSTART
	v_dot2_f32_f16 v93, v110, v98, v93
	;;#ASMEND
	;;#ASMSTART
	v_dot2_f32_f16 v93, v111, v99, v93
	;;#ASMEND
	;;#ASMSTART
	v_dot2_f32_f16 v92, v108, v100, v92
	;;#ASMEND
	;;#ASMSTART
	v_dot2_f32_f16 v92, v109, v101, v92
	;;#ASMEND
	;;#ASMSTART
	v_dot2_f32_f16 v92, v110, v102, v92
	;;#ASMEND
	;;#ASMSTART
	v_dot2_f32_f16 v92, v111, v103, v92
	;;#ASMEND
	;;#ASMSTART
	v_dot2_f32_f16 v42, v108, v104, v42
	;;#ASMEND
	;;#ASMSTART
	v_dot2_f32_f16 v42, v109, v105, v42
	;;#ASMEND
	;;#ASMSTART
	v_dot2_f32_f16 v42, v110, v106, v42
	;;#ASMEND
	;;#ASMSTART
	v_dot2_f32_f16 v42, v111, v107, v42
	;;#ASMEND
	ds_load_b128 v[0:3], v59 offset:96
	ds_load_b128 v[4:7], v73 offset:352
	;; [unrolled: 1-line block ×6, first 2 shown]
	s_wait_dscnt 0x4
	;;#ASMSTART
	v_dot2_f32_f16 v94, v0, v4, v94
	;;#ASMEND
	;;#ASMSTART
	v_dot2_f32_f16 v94, v1, v5, v94
	;;#ASMEND
	;;#ASMSTART
	v_dot2_f32_f16 v94, v2, v6, v94
	;;#ASMEND
	;;#ASMSTART
	v_dot2_f32_f16 v94, v3, v7, v94
	;;#ASMEND
	s_wait_dscnt 0x3
	;;#ASMSTART
	v_dot2_f32_f16 v44, v0, v96, v44
	;;#ASMEND
	;;#ASMSTART
	v_dot2_f32_f16 v44, v1, v97, v44
	;;#ASMEND
	;;#ASMSTART
	v_dot2_f32_f16 v44, v2, v98, v44
	;;#ASMEND
	;;#ASMSTART
	v_dot2_f32_f16 v44, v3, v99, v44
	;;#ASMEND
	;; [unrolled: 13-line block ×5, first 2 shown]
	;;#ASMSTART
	v_dot2_f32_f16 v93, v108, v96, v93
	;;#ASMEND
	;;#ASMSTART
	v_dot2_f32_f16 v93, v109, v97, v93
	;;#ASMEND
	;; [unrolled: 3-line block ×12, first 2 shown]
	ds_load_b128 v[0:3], v59 offset:112
	ds_load_b128 v[4:7], v73 offset:368
	;; [unrolled: 1-line block ×6, first 2 shown]
	s_wait_dscnt 0x4
	;;#ASMSTART
	v_dot2_f32_f16 v94, v0, v4, v94
	;;#ASMEND
	;;#ASMSTART
	v_dot2_f32_f16 v94, v1, v5, v94
	;;#ASMEND
	;;#ASMSTART
	v_dot2_f32_f16 v94, v2, v6, v94
	;;#ASMEND
	;;#ASMSTART
	v_dot2_f32_f16 v94, v3, v7, v94
	;;#ASMEND
	s_wait_dscnt 0x3
	;;#ASMSTART
	v_dot2_f32_f16 v44, v0, v96, v44
	;;#ASMEND
	;;#ASMSTART
	v_dot2_f32_f16 v44, v1, v97, v44
	;;#ASMEND
	;;#ASMSTART
	v_dot2_f32_f16 v44, v2, v98, v44
	;;#ASMEND
	;;#ASMSTART
	v_dot2_f32_f16 v44, v3, v99, v44
	;;#ASMEND
	;; [unrolled: 13-line block ×5, first 2 shown]
	;;#ASMSTART
	v_dot2_f32_f16 v93, v108, v96, v93
	;;#ASMEND
	;;#ASMSTART
	v_dot2_f32_f16 v93, v109, v97, v93
	;;#ASMEND
	;; [unrolled: 3-line block ×12, first 2 shown]
	ds_load_b128 v[0:3], v59 offset:128
	ds_load_b128 v[4:7], v73 offset:384
	;; [unrolled: 1-line block ×6, first 2 shown]
	s_wait_dscnt 0x4
	;;#ASMSTART
	v_dot2_f32_f16 v94, v0, v4, v94
	;;#ASMEND
	;;#ASMSTART
	v_dot2_f32_f16 v94, v1, v5, v94
	;;#ASMEND
	;;#ASMSTART
	v_dot2_f32_f16 v94, v2, v6, v94
	;;#ASMEND
	;;#ASMSTART
	v_dot2_f32_f16 v94, v3, v7, v94
	;;#ASMEND
	s_wait_dscnt 0x3
	;;#ASMSTART
	v_dot2_f32_f16 v44, v0, v96, v44
	;;#ASMEND
	;;#ASMSTART
	v_dot2_f32_f16 v44, v1, v97, v44
	;;#ASMEND
	;;#ASMSTART
	v_dot2_f32_f16 v44, v2, v98, v44
	;;#ASMEND
	;;#ASMSTART
	v_dot2_f32_f16 v44, v3, v99, v44
	;;#ASMEND
	;; [unrolled: 13-line block ×5, first 2 shown]
	;;#ASMSTART
	v_dot2_f32_f16 v93, v108, v96, v93
	;;#ASMEND
	;;#ASMSTART
	v_dot2_f32_f16 v93, v109, v97, v93
	;;#ASMEND
	;;#ASMSTART
	v_dot2_f32_f16 v93, v110, v98, v93
	;;#ASMEND
	;;#ASMSTART
	v_dot2_f32_f16 v93, v111, v99, v93
	;;#ASMEND
	;;#ASMSTART
	v_dot2_f32_f16 v92, v108, v100, v92
	;;#ASMEND
	;;#ASMSTART
	v_dot2_f32_f16 v92, v109, v101, v92
	;;#ASMEND
	;;#ASMSTART
	v_dot2_f32_f16 v92, v110, v102, v92
	;;#ASMEND
	;;#ASMSTART
	v_dot2_f32_f16 v92, v111, v103, v92
	;;#ASMEND
	;;#ASMSTART
	v_dot2_f32_f16 v42, v108, v104, v42
	;;#ASMEND
	;;#ASMSTART
	v_dot2_f32_f16 v42, v109, v105, v42
	;;#ASMEND
	;;#ASMSTART
	v_dot2_f32_f16 v42, v110, v106, v42
	;;#ASMEND
	;;#ASMSTART
	v_dot2_f32_f16 v42, v111, v107, v42
	;;#ASMEND
	ds_load_b128 v[0:3], v59 offset:144
	ds_load_b128 v[4:7], v73 offset:400
	;; [unrolled: 1-line block ×6, first 2 shown]
	s_wait_dscnt 0x4
	;;#ASMSTART
	v_dot2_f32_f16 v94, v0, v4, v94
	;;#ASMEND
	;;#ASMSTART
	v_dot2_f32_f16 v94, v1, v5, v94
	;;#ASMEND
	;;#ASMSTART
	v_dot2_f32_f16 v94, v2, v6, v94
	;;#ASMEND
	;;#ASMSTART
	v_dot2_f32_f16 v94, v3, v7, v94
	;;#ASMEND
	s_wait_dscnt 0x3
	;;#ASMSTART
	v_dot2_f32_f16 v44, v0, v96, v44
	;;#ASMEND
	;;#ASMSTART
	v_dot2_f32_f16 v44, v1, v97, v44
	;;#ASMEND
	;;#ASMSTART
	v_dot2_f32_f16 v44, v2, v98, v44
	;;#ASMEND
	;;#ASMSTART
	v_dot2_f32_f16 v44, v3, v99, v44
	;;#ASMEND
	;; [unrolled: 13-line block ×5, first 2 shown]
	;;#ASMSTART
	v_dot2_f32_f16 v93, v108, v96, v93
	;;#ASMEND
	;;#ASMSTART
	v_dot2_f32_f16 v93, v109, v97, v93
	;;#ASMEND
	;; [unrolled: 3-line block ×12, first 2 shown]
	ds_load_b128 v[0:3], v59 offset:160
	ds_load_b128 v[4:7], v73 offset:416
	;; [unrolled: 1-line block ×6, first 2 shown]
	s_wait_dscnt 0x4
	;;#ASMSTART
	v_dot2_f32_f16 v94, v0, v4, v94
	;;#ASMEND
	;;#ASMSTART
	v_dot2_f32_f16 v94, v1, v5, v94
	;;#ASMEND
	;;#ASMSTART
	v_dot2_f32_f16 v94, v2, v6, v94
	;;#ASMEND
	;;#ASMSTART
	v_dot2_f32_f16 v94, v3, v7, v94
	;;#ASMEND
	s_wait_dscnt 0x3
	;;#ASMSTART
	v_dot2_f32_f16 v44, v0, v96, v44
	;;#ASMEND
	;;#ASMSTART
	v_dot2_f32_f16 v44, v1, v97, v44
	;;#ASMEND
	;;#ASMSTART
	v_dot2_f32_f16 v44, v2, v98, v44
	;;#ASMEND
	;;#ASMSTART
	v_dot2_f32_f16 v44, v3, v99, v44
	;;#ASMEND
	;; [unrolled: 13-line block ×5, first 2 shown]
	;;#ASMSTART
	v_dot2_f32_f16 v93, v108, v96, v93
	;;#ASMEND
	;;#ASMSTART
	v_dot2_f32_f16 v93, v109, v97, v93
	;;#ASMEND
	;; [unrolled: 3-line block ×12, first 2 shown]
	ds_load_b128 v[0:3], v59 offset:176
	ds_load_b128 v[4:7], v73 offset:432
	;; [unrolled: 1-line block ×6, first 2 shown]
	s_wait_dscnt 0x4
	;;#ASMSTART
	v_dot2_f32_f16 v94, v0, v4, v94
	;;#ASMEND
	;;#ASMSTART
	v_dot2_f32_f16 v94, v1, v5, v94
	;;#ASMEND
	;;#ASMSTART
	v_dot2_f32_f16 v94, v2, v6, v94
	;;#ASMEND
	;;#ASMSTART
	v_dot2_f32_f16 v94, v3, v7, v94
	;;#ASMEND
	s_wait_dscnt 0x3
	;;#ASMSTART
	v_dot2_f32_f16 v44, v0, v96, v44
	;;#ASMEND
	;;#ASMSTART
	v_dot2_f32_f16 v44, v1, v97, v44
	;;#ASMEND
	;;#ASMSTART
	v_dot2_f32_f16 v44, v2, v98, v44
	;;#ASMEND
	;;#ASMSTART
	v_dot2_f32_f16 v44, v3, v99, v44
	;;#ASMEND
	;; [unrolled: 13-line block ×5, first 2 shown]
	;;#ASMSTART
	v_dot2_f32_f16 v93, v108, v96, v93
	;;#ASMEND
	;;#ASMSTART
	v_dot2_f32_f16 v93, v109, v97, v93
	;;#ASMEND
	;; [unrolled: 3-line block ×12, first 2 shown]
	ds_load_b128 v[0:3], v59 offset:192
	ds_load_b128 v[4:7], v73 offset:448
	;; [unrolled: 1-line block ×6, first 2 shown]
	s_wait_dscnt 0x4
	;;#ASMSTART
	v_dot2_f32_f16 v94, v0, v4, v94
	;;#ASMEND
	;;#ASMSTART
	v_dot2_f32_f16 v94, v1, v5, v94
	;;#ASMEND
	;;#ASMSTART
	v_dot2_f32_f16 v94, v2, v6, v94
	;;#ASMEND
	;;#ASMSTART
	v_dot2_f32_f16 v94, v3, v7, v94
	;;#ASMEND
	s_wait_dscnt 0x3
	;;#ASMSTART
	v_dot2_f32_f16 v44, v0, v96, v44
	;;#ASMEND
	;;#ASMSTART
	v_dot2_f32_f16 v44, v1, v97, v44
	;;#ASMEND
	;;#ASMSTART
	v_dot2_f32_f16 v44, v2, v98, v44
	;;#ASMEND
	;;#ASMSTART
	v_dot2_f32_f16 v44, v3, v99, v44
	;;#ASMEND
	;; [unrolled: 13-line block ×5, first 2 shown]
	;;#ASMSTART
	v_dot2_f32_f16 v93, v108, v96, v93
	;;#ASMEND
	;;#ASMSTART
	v_dot2_f32_f16 v93, v109, v97, v93
	;;#ASMEND
	;; [unrolled: 3-line block ×12, first 2 shown]
	ds_load_b128 v[0:3], v59 offset:208
	ds_load_b128 v[4:7], v73 offset:464
	;; [unrolled: 1-line block ×6, first 2 shown]
	s_wait_dscnt 0x4
	;;#ASMSTART
	v_dot2_f32_f16 v94, v0, v4, v94
	;;#ASMEND
	;;#ASMSTART
	v_dot2_f32_f16 v94, v1, v5, v94
	;;#ASMEND
	;;#ASMSTART
	v_dot2_f32_f16 v94, v2, v6, v94
	;;#ASMEND
	;;#ASMSTART
	v_dot2_f32_f16 v94, v3, v7, v94
	;;#ASMEND
	s_wait_dscnt 0x3
	;;#ASMSTART
	v_dot2_f32_f16 v44, v0, v96, v44
	;;#ASMEND
	;;#ASMSTART
	v_dot2_f32_f16 v44, v1, v97, v44
	;;#ASMEND
	;;#ASMSTART
	v_dot2_f32_f16 v44, v2, v98, v44
	;;#ASMEND
	;;#ASMSTART
	v_dot2_f32_f16 v44, v3, v99, v44
	;;#ASMEND
	;; [unrolled: 13-line block ×5, first 2 shown]
	;;#ASMSTART
	v_dot2_f32_f16 v93, v108, v96, v93
	;;#ASMEND
	;;#ASMSTART
	v_dot2_f32_f16 v93, v109, v97, v93
	;;#ASMEND
	;; [unrolled: 3-line block ×12, first 2 shown]
	ds_load_b128 v[0:3], v59 offset:224
	ds_load_b128 v[4:7], v73 offset:480
	;; [unrolled: 1-line block ×6, first 2 shown]
	s_wait_dscnt 0x4
	;;#ASMSTART
	v_dot2_f32_f16 v94, v0, v4, v94
	;;#ASMEND
	;;#ASMSTART
	v_dot2_f32_f16 v94, v1, v5, v94
	;;#ASMEND
	;;#ASMSTART
	v_dot2_f32_f16 v94, v2, v6, v94
	;;#ASMEND
	;;#ASMSTART
	v_dot2_f32_f16 v94, v3, v7, v94
	;;#ASMEND
	s_wait_dscnt 0x3
	;;#ASMSTART
	v_dot2_f32_f16 v44, v0, v96, v44
	;;#ASMEND
	;;#ASMSTART
	v_dot2_f32_f16 v44, v1, v97, v44
	;;#ASMEND
	;;#ASMSTART
	v_dot2_f32_f16 v44, v2, v98, v44
	;;#ASMEND
	;;#ASMSTART
	v_dot2_f32_f16 v44, v3, v99, v44
	;;#ASMEND
	;; [unrolled: 13-line block ×5, first 2 shown]
	;;#ASMSTART
	v_dot2_f32_f16 v93, v108, v96, v93
	;;#ASMEND
	;;#ASMSTART
	v_dot2_f32_f16 v93, v109, v97, v93
	;;#ASMEND
	;; [unrolled: 3-line block ×12, first 2 shown]
	ds_load_b128 v[3:6], v59 offset:240
	ds_load_b128 v[96:99], v73 offset:496
	;; [unrolled: 1-line block ×6, first 2 shown]
	s_wait_dscnt 0x4
	;;#ASMSTART
	v_dot2_f32_f16 v94, v3, v96, v94
	;;#ASMEND
	;;#ASMSTART
	v_dot2_f32_f16 v94, v4, v97, v94
	;;#ASMEND
	;; [unrolled: 3-line block ×4, first 2 shown]
	s_wait_dscnt 0x3
	;;#ASMSTART
	v_dot2_f32_f16 v44, v3, v104, v44
	;;#ASMEND
	;;#ASMSTART
	v_dot2_f32_f16 v44, v4, v105, v44
	;;#ASMEND
	;; [unrolled: 3-line block ×4, first 2 shown]
	s_wait_dscnt 0x2
	;;#ASMSTART
	v_dot2_f32_f16 v43, v3, v108, v43
	;;#ASMEND
	;;#ASMSTART
	v_dot2_f32_f16 v43, v4, v109, v43
	;;#ASMEND
	;; [unrolled: 3-line block ×3, first 2 shown]
	v_dual_mov_b32 v2, 0 :: v_dual_add_nc_u32 v103, s24, v35
	;;#ASMSTART
	v_dot2_f32_f16 v43, v6, v111, v43
	;;#ASMEND
	s_wait_dscnt 0x1
	;;#ASMSTART
	v_dot2_f32_f16 v41, v3, v112, v41
	;;#ASMEND
	;;#ASMSTART
	v_dot2_f32_f16 v41, v4, v113, v41
	;;#ASMEND
	;;#ASMSTART
	v_dot2_f32_f16 v41, v5, v114, v41
	;;#ASMEND
	;;#ASMSTART
	v_dot2_f32_f16 v41, v6, v115, v41
	;;#ASMEND
	s_wait_dscnt 0x0
	;;#ASMSTART
	v_dot2_f32_f16 v95, v116, v96, v95
	;;#ASMEND
	;;#ASMSTART
	v_dot2_f32_f16 v95, v117, v97, v95
	;;#ASMEND
	v_add_nc_u32_e32 v0, v103, v74
	;;#ASMSTART
	v_dot2_f32_f16 v95, v118, v98, v95
	;;#ASMEND
	;;#ASMSTART
	v_dot2_f32_f16 v95, v119, v99, v95
	;;#ASMEND
	;; [unrolled: 3-line block ×7, first 2 shown]
	v_ashrrev_i32_e32 v1, 31, v0
	;;#ASMSTART
	v_dot2_f32_f16 v92, v117, v109, v92
	;;#ASMEND
	;;#ASMSTART
	v_dot2_f32_f16 v92, v118, v110, v92
	;;#ASMEND
	;; [unrolled: 3-line block ×7, first 2 shown]
	s_wait_alu 0xfffe
	s_cbranch_vccnz .LBB42_10
; %bb.9:                                ;   in Loop: Header=BB42_8 Depth=1
	v_lshlrev_b64_e32 v[2:3], 1, v[0:1]
	s_delay_alu instid0(VALU_DEP_1) | instskip(SKIP_1) | instid1(VALU_DEP_2)
	v_add_co_u32 v2, vcc_lo, s38, v2
	s_wait_alu 0xfffd
	v_add_co_ci_u32_e64 v3, null, s39, v3, vcc_lo
	global_load_u16 v2, v[2:3], off
	s_wait_loadcnt 0x0
	v_cvt_f32_f16_e32 v2, v2
	s_delay_alu instid0(VALU_DEP_1)
	v_mul_f32_e32 v2, v40, v2
.LBB42_10:                              ;   in Loop: Header=BB42_8 Depth=1
	v_dual_mov_b32 v96, 0 :: v_dual_mov_b32 v3, 0
	s_and_not1_b32 vcc_lo, exec_lo, s8
	s_wait_alu 0xfffe
	s_cbranch_vccnz .LBB42_12
; %bb.11:                               ;   in Loop: Header=BB42_8 Depth=1
	v_lshlrev_b64_e32 v[0:1], 1, v[0:1]
	s_delay_alu instid0(VALU_DEP_1) | instskip(SKIP_1) | instid1(VALU_DEP_2)
	v_add_co_u32 v0, vcc_lo, s38, v0
	s_wait_alu 0xfffd
	v_add_co_ci_u32_e64 v1, null, s39, v1, vcc_lo
	global_load_u16 v0, v[0:1], off offset:64
	s_wait_loadcnt 0x0
	v_cvt_f32_f16_e32 v0, v0
	s_delay_alu instid0(VALU_DEP_1)
	v_mul_f32_e32 v3, v40, v0
.LBB42_12:                              ;   in Loop: Header=BB42_8 Depth=1
	v_xor_b32_e32 v0, 16, v9
	s_delay_alu instid0(VALU_DEP_1) | instskip(SKIP_3) | instid1(VALU_DEP_2)
	v_cmp_gt_i32_e32 vcc_lo, 32, v0
	s_wait_alu 0xfffd
	v_cndmask_b32_e32 v0, v9, v0, vcc_lo
	v_add_f32_e32 v6, v94, v2
	v_dual_add_f32 v94, v95, v3 :: v_dual_lshlrev_b32 v95, 2, v0
	s_delay_alu instid0(VALU_DEP_2) | instskip(NEXT) | instid1(VALU_DEP_2)
	v_add_f32_e32 v1, 0x40051340, v6
	v_add_f32_e32 v2, 0x40051340, v94
	s_delay_alu instid0(VALU_DEP_1)
	v_max3_num_f32 v0, v89, v1, v2
	v_xor_b32_e32 v2, 8, v9
	ds_bpermute_b32 v1, v95, v0
	v_cmp_gt_i32_e32 vcc_lo, 32, v2
	s_wait_alu 0xfffd
	v_cndmask_b32_e32 v2, v9, v2, vcc_lo
	s_delay_alu instid0(VALU_DEP_1) | instskip(SKIP_1) | instid1(VALU_DEP_1)
	v_lshlrev_b32_e32 v7, 2, v2
	v_xor_b32_e32 v2, 4, v9
	v_cmp_gt_i32_e32 vcc_lo, 32, v2
	s_wait_dscnt 0x0
	v_max_num_f32_e32 v1, v1, v1
	s_wait_alu 0xfffd
	v_cndmask_b32_e32 v2, v9, v2, vcc_lo
	s_delay_alu instid0(VALU_DEP_1)
	v_dual_max_num_f32 v0, v0, v1 :: v_dual_lshlrev_b32 v5, 2, v2
	v_xor_b32_e32 v2, 2, v9
	ds_bpermute_b32 v1, v7, v0
	v_cmp_gt_i32_e32 vcc_lo, 32, v2
	s_wait_alu 0xfffd
	v_cndmask_b32_e32 v2, v9, v2, vcc_lo
	s_delay_alu instid0(VALU_DEP_1) | instskip(SKIP_1) | instid1(VALU_DEP_1)
	v_lshlrev_b32_e32 v4, 2, v2
	v_xor_b32_e32 v2, 1, v9
	v_cmp_gt_i32_e32 vcc_lo, 32, v2
	s_wait_dscnt 0x0
	v_max_num_f32_e32 v1, v1, v1
	s_wait_alu 0xfffd
	v_cndmask_b32_e32 v2, v9, v2, vcc_lo
	s_delay_alu instid0(VALU_DEP_2) | instskip(SKIP_1) | instid1(VALU_DEP_2)
	v_max_num_f32_e32 v0, v0, v1
	s_and_not1_b32 vcc_lo, exec_lo, s8
	v_lshlrev_b32_e32 v3, 2, v2
	ds_bpermute_b32 v1, v5, v0
	s_wait_dscnt 0x0
	v_max_num_f32_e32 v1, v1, v1
	s_delay_alu instid0(VALU_DEP_1) | instskip(SKIP_3) | instid1(VALU_DEP_1)
	v_max_num_f32_e32 v0, v0, v1
	ds_bpermute_b32 v1, v4, v0
	s_wait_dscnt 0x0
	v_max_num_f32_e32 v1, v1, v1
	v_max_num_f32_e32 v2, v0, v1
	v_add_nc_u32_e32 v0, v103, v75
	ds_bpermute_b32 v98, v3, v2
	v_ashrrev_i32_e32 v1, 31, v0
	s_wait_alu 0xfffe
	s_cbranch_vccnz .LBB42_14
; %bb.13:                               ;   in Loop: Header=BB42_8 Depth=1
	s_delay_alu instid0(VALU_DEP_1) | instskip(NEXT) | instid1(VALU_DEP_1)
	v_lshlrev_b64_e32 v[96:97], 1, v[0:1]
	v_add_co_u32 v96, vcc_lo, s38, v96
	s_wait_alu 0xfffd
	s_delay_alu instid0(VALU_DEP_2) | instskip(SKIP_3) | instid1(VALU_DEP_1)
	v_add_co_ci_u32_e64 v97, null, s39, v97, vcc_lo
	global_load_u16 v96, v[96:97], off
	s_wait_loadcnt 0x0
	v_cvt_f32_f16_e32 v96, v96
	v_mul_f32_e32 v96, v40, v96
.LBB42_14:                              ;   in Loop: Header=BB42_8 Depth=1
	v_mov_b32_e32 v97, 0
	v_mov_b32_e32 v99, 0
	s_and_not1_b32 vcc_lo, exec_lo, s8
	s_wait_alu 0xfffe
	s_cbranch_vccnz .LBB42_16
; %bb.15:                               ;   in Loop: Header=BB42_8 Depth=1
	v_lshlrev_b64_e32 v[0:1], 1, v[0:1]
	s_delay_alu instid0(VALU_DEP_1) | instskip(SKIP_1) | instid1(VALU_DEP_2)
	v_add_co_u32 v0, vcc_lo, s38, v0
	s_wait_alu 0xfffd
	v_add_co_ci_u32_e64 v1, null, s39, v1, vcc_lo
	global_load_u16 v0, v[0:1], off offset:64
	s_wait_loadcnt 0x0
	v_cvt_f32_f16_e32 v0, v0
	s_delay_alu instid0(VALU_DEP_1)
	v_mul_f32_e32 v99, v40, v0
.LBB42_16:                              ;   in Loop: Header=BB42_8 Depth=1
	v_add_f32_e32 v44, v44, v96
	s_delay_alu instid0(VALU_DEP_2) | instskip(SKIP_1) | instid1(VALU_DEP_2)
	v_add_f32_e32 v96, v93, v99
	s_and_not1_b32 vcc_lo, exec_lo, s8
	v_add_f32_e32 v0, 0x40051340, v44
	s_delay_alu instid0(VALU_DEP_2) | instskip(NEXT) | instid1(VALU_DEP_1)
	v_add_f32_e32 v1, 0x40051340, v96
	v_max3_num_f32 v0, v91, v0, v1
	ds_bpermute_b32 v1, v95, v0
	s_wait_dscnt 0x0
	v_max_num_f32_e32 v1, v1, v1
	s_delay_alu instid0(VALU_DEP_1) | instskip(SKIP_3) | instid1(VALU_DEP_1)
	v_max_num_f32_e32 v0, v0, v1
	ds_bpermute_b32 v1, v7, v0
	s_wait_dscnt 0x0
	v_max_num_f32_e32 v1, v1, v1
	v_max_num_f32_e32 v0, v0, v1
	ds_bpermute_b32 v1, v5, v0
	s_wait_dscnt 0x0
	v_max_num_f32_e32 v1, v1, v1
	s_delay_alu instid0(VALU_DEP_1) | instskip(SKIP_3) | instid1(VALU_DEP_1)
	v_max_num_f32_e32 v0, v0, v1
	ds_bpermute_b32 v1, v4, v0
	s_wait_dscnt 0x0
	v_max_num_f32_e32 v1, v1, v1
	v_dual_max_num_f32 v99, v0, v1 :: v_dual_add_nc_u32 v0, v103, v76
	ds_bpermute_b32 v100, v3, v99
	v_ashrrev_i32_e32 v1, 31, v0
	s_wait_alu 0xfffe
	s_cbranch_vccnz .LBB42_18
; %bb.17:                               ;   in Loop: Header=BB42_8 Depth=1
	s_delay_alu instid0(VALU_DEP_1) | instskip(NEXT) | instid1(VALU_DEP_1)
	v_lshlrev_b64_e32 v[101:102], 1, v[0:1]
	v_add_co_u32 v101, vcc_lo, s38, v101
	s_wait_alu 0xfffd
	s_delay_alu instid0(VALU_DEP_2) | instskip(SKIP_3) | instid1(VALU_DEP_1)
	v_add_co_ci_u32_e64 v102, null, s39, v102, vcc_lo
	global_load_u16 v93, v[101:102], off
	s_wait_loadcnt 0x0
	v_cvt_f32_f16_e32 v93, v93
	v_mul_f32_e32 v97, v40, v93
.LBB42_18:                              ;   in Loop: Header=BB42_8 Depth=1
	v_mov_b32_e32 v101, 0
	v_mov_b32_e32 v93, 0
	s_and_not1_b32 vcc_lo, exec_lo, s8
	s_wait_alu 0xfffe
	s_cbranch_vccnz .LBB42_20
; %bb.19:                               ;   in Loop: Header=BB42_8 Depth=1
	v_lshlrev_b64_e32 v[0:1], 1, v[0:1]
	s_delay_alu instid0(VALU_DEP_1) | instskip(SKIP_1) | instid1(VALU_DEP_2)
	v_add_co_u32 v0, vcc_lo, s38, v0
	s_wait_alu 0xfffd
	v_add_co_ci_u32_e64 v1, null, s39, v1, vcc_lo
	global_load_u16 v0, v[0:1], off offset:64
	s_wait_loadcnt 0x0
	v_cvt_f32_f16_e32 v0, v0
	s_delay_alu instid0(VALU_DEP_1)
	v_mul_f32_e32 v93, v40, v0
.LBB42_20:                              ;   in Loop: Header=BB42_8 Depth=1
	v_add_f32_e32 v43, v43, v97
	s_delay_alu instid0(VALU_DEP_2) | instskip(SKIP_1) | instid1(VALU_DEP_1)
	v_add_f32_e32 v97, v92, v93
	s_and_not1_b32 vcc_lo, exec_lo, s8
	v_dual_add_f32 v0, 0x40051340, v43 :: v_dual_add_f32 v1, 0x40051340, v97
	s_delay_alu instid0(VALU_DEP_1) | instskip(SKIP_3) | instid1(VALU_DEP_1)
	v_max3_num_f32 v0, v90, v0, v1
	ds_bpermute_b32 v1, v95, v0
	s_wait_dscnt 0x0
	v_max_num_f32_e32 v1, v1, v1
	v_max_num_f32_e32 v0, v0, v1
	ds_bpermute_b32 v1, v7, v0
	s_wait_dscnt 0x0
	v_max_num_f32_e32 v1, v1, v1
	s_delay_alu instid0(VALU_DEP_1) | instskip(SKIP_3) | instid1(VALU_DEP_1)
	v_max_num_f32_e32 v0, v0, v1
	ds_bpermute_b32 v1, v5, v0
	s_wait_dscnt 0x0
	v_max_num_f32_e32 v1, v1, v1
	v_max_num_f32_e32 v0, v0, v1
	ds_bpermute_b32 v1, v4, v0
	s_wait_dscnt 0x0
	v_max_num_f32_e32 v1, v1, v1
	s_delay_alu instid0(VALU_DEP_1)
	v_max_num_f32_e32 v92, v0, v1
	v_add_nc_u32_e32 v0, v103, v78
	ds_bpermute_b32 v102, v3, v92
	v_ashrrev_i32_e32 v1, 31, v0
	s_wait_alu 0xfffe
	s_cbranch_vccnz .LBB42_22
; %bb.21:                               ;   in Loop: Header=BB42_8 Depth=1
	s_delay_alu instid0(VALU_DEP_1) | instskip(NEXT) | instid1(VALU_DEP_1)
	v_lshlrev_b64_e32 v[103:104], 1, v[0:1]
	v_add_co_u32 v103, vcc_lo, s38, v103
	s_wait_alu 0xfffd
	s_delay_alu instid0(VALU_DEP_2) | instskip(SKIP_3) | instid1(VALU_DEP_1)
	v_add_co_ci_u32_e64 v104, null, s39, v104, vcc_lo
	global_load_u16 v93, v[103:104], off
	s_wait_loadcnt 0x0
	v_cvt_f32_f16_e32 v93, v93
	v_mul_f32_e32 v101, v40, v93
.LBB42_22:                              ;   in Loop: Header=BB42_8 Depth=1
	s_and_not1_b32 vcc_lo, exec_lo, s8
	s_wait_alu 0xfffe
	s_cbranch_vccnz .LBB42_24
; %bb.23:                               ;   in Loop: Header=BB42_8 Depth=1
	v_lshlrev_b64_e32 v[0:1], 1, v[0:1]
	s_delay_alu instid0(VALU_DEP_1) | instskip(SKIP_1) | instid1(VALU_DEP_2)
	v_add_co_u32 v0, vcc_lo, s38, v0
	s_wait_alu 0xfffd
	v_add_co_ci_u32_e64 v1, null, s39, v1, vcc_lo
	global_load_u16 v0, v[0:1], off offset:64
	s_wait_loadcnt 0x0
	v_cvt_f32_f16_e32 v0, v0
	s_delay_alu instid0(VALU_DEP_1)
	v_mul_f32_e32 v0, v40, v0
	s_branch .LBB42_25
.LBB42_24:                              ;   in Loop: Header=BB42_8 Depth=1
	v_mov_b32_e32 v0, 0
.LBB42_25:                              ;   in Loop: Header=BB42_8 Depth=1
	s_mul_u64 s[40:41], s[24:25], s[14:15]
	v_lshlrev_b32_e32 v93, 2, v28
	s_wait_alu 0xfffe
	s_lshl_b64 s[40:41], s[40:41], 2
	v_add_f32_e32 v41, v41, v101
	s_wait_alu 0xfffe
	s_add_nc_u64 s[40:41], s[26:27], s[40:41]
	v_add_f32_e32 v101, v42, v0
	s_wait_alu 0xfffe
	v_add_co_u32 v1, vcc_lo, s40, v18
	s_wait_alu 0xfffd
	v_add_co_ci_u32_e64 v104, null, s41, v19, vcc_lo
	v_add_co_u32 v105, vcc_lo, s40, v20
	s_wait_alu 0xfffd
	v_add_co_ci_u32_e64 v106, null, s41, v21, vcc_lo
	v_max_num_f32_e32 v0, v98, v98
	v_add_co_u32 v103, vcc_lo, v1, v93
	s_wait_alu 0xfffd
	v_add_co_ci_u32_e64 v104, null, 0, v104, vcc_lo
	v_add_co_u32 v107, vcc_lo, v105, v93
	s_wait_alu 0xfffd
	v_add_co_ci_u32_e64 v108, null, 0, v106, vcc_lo
	v_add_co_u32 v1, vcc_lo, s40, v22
	s_wait_alu 0xfffd
	v_add_co_ci_u32_e64 v105, null, s41, v23, vcc_lo
	v_add_co_u32 v106, vcc_lo, s40, v24
	s_wait_alu 0xfffd
	v_add_co_ci_u32_e64 v109, null, s41, v25, vcc_lo
	v_add_co_u32 v111, vcc_lo, v1, v93
	s_wait_alu 0xfffd
	v_add_co_ci_u32_e64 v112, null, 0, v105, vcc_lo
	v_add_co_u32 v115, vcc_lo, v106, v93
	s_wait_alu 0xfffd
	v_add_co_ci_u32_e64 v116, null, 0, v109, vcc_lo
	s_wait_loadcnt_dscnt 0x0
	s_barrier_signal -1
	s_barrier_wait -1
	global_inv scope:SCOPE_SE
	s_clause 0x3
	global_load_b128 v[103:106], v[103:104], off
	global_load_b128 v[107:110], v[107:108], off
	;; [unrolled: 1-line block ×4, first 2 shown]
	v_max_num_f32_e32 v42, v92, v92
	v_dual_add_f32 v92, 0x40051340, v41 :: v_dual_max_num_f32 v1, v102, v102
	v_add_f32_e32 v98, 0x40051340, v101
	v_dual_max_num_f32 v2, v2, v2 :: v_dual_max_num_f32 v99, v99, v99
	v_max_num_f32_e32 v100, v100, v100
	s_or_b32 s40, s24, 32
	s_delay_alu instid0(VALU_DEP_3) | instskip(NEXT) | instid1(VALU_DEP_3)
	v_max3_num_f32 v98, v88, v92, v98
	v_max_num_f32_e32 v0, v2, v0
	v_add_nc_u32_e32 v92, 0x800, v38
	v_dual_max_num_f32 v2, v42, v1 :: v_dual_max_num_f32 v1, v99, v100
	ds_bpermute_b32 v42, v95, v98
	s_wait_alu 0xfffe
	s_ashr_i32 s41, s40, 31
	s_wait_alu 0xfffe
	s_mul_u64 s[40:41], s[40:41], s[14:15]
	v_sub_f32_e32 v91, v91, v1
	v_dual_sub_f32 v95, v96, v1 :: v_dual_sub_f32 v94, v94, v0
	v_dual_sub_f32 v89, v89, v0 :: v_dual_add_nc_u32 v102, v79, v38
	s_delay_alu instid0(VALU_DEP_3) | instskip(NEXT) | instid1(VALU_DEP_3)
	v_dual_mul_f32 v121, 0x3fb8aa3b, v91 :: v_dual_sub_f32 v44, v44, v1
	v_dual_mul_f32 v99, 0x3fb8aa3b, v94 :: v_dual_sub_f32 v6, v6, v0
	s_wait_alu 0xfffe
	s_lshl_b64 s[40:41], s[40:41], 2
	s_delay_alu instid0(VALU_DEP_2)
	v_fma_f32 v134, 0x3fb8aa3b, v91, -v121
	v_mul_f32_e32 v119, 0x3fb8aa3b, v44
	v_rndne_f32_e32 v128, v99
	v_sub_f32_e32 v96, v97, v2
	v_fma_f32 v127, 0x3fb8aa3b, v94, -v99
	v_mul_f32_e32 v97, 0x3fb8aa3b, v6
	s_delay_alu instid0(VALU_DEP_4) | instskip(NEXT) | instid1(VALU_DEP_4)
	v_dual_sub_f32 v90, v90, v2 :: v_dual_sub_f32 v99, v99, v128
	v_dual_mul_f32 v100, 0x3fb8aa3b, v89 :: v_dual_mul_f32 v123, 0x3fb8aa3b, v96
	v_rndne_f32_e32 v131, v119
	v_fma_f32 v130, 0x3fb8aa3b, v44, -v119
	v_sub_f32_e32 v43, v43, v2
	s_delay_alu instid0(VALU_DEP_4) | instskip(SKIP_4) | instid1(VALU_DEP_3)
	v_fma_f32 v129, 0x3fb8aa3b, v89, -v100
	s_wait_dscnt 0x0
	v_dual_max_num_f32 v42, v42, v42 :: v_dual_sub_f32 v119, v119, v131
	v_fma_f32 v125, 0x3fb8aa3b, v6, -v97
	v_rndne_f32_e32 v126, v97
	v_dual_fmac_f32 v129, 0x32a5705f, v89 :: v_dual_max_num_f32 v42, v98, v42
	v_rndne_f32_e32 v98, v100
	s_delay_alu instid0(VALU_DEP_3)
	v_dual_mul_f32 v120, 0x3fb8aa3b, v95 :: v_dual_sub_f32 v97, v97, v126
	v_dual_fmac_f32 v125, 0x32a5705f, v6 :: v_dual_fmac_f32 v130, 0x32a5705f, v44
	ds_bpermute_b32 v7, v7, v42
	v_mul_f32_e32 v124, 0x3fb8aa3b, v90
	v_dual_mul_f32 v122, 0x3fb8aa3b, v43 :: v_dual_add_f32 v97, v97, v125
	v_fma_f32 v132, 0x3fb8aa3b, v95, -v120
	v_fma_f32 v138, 0x3fb8aa3b, v96, -v123
	v_fmac_f32_e32 v127, 0x32a5705f, v94
	v_rndne_f32_e32 v133, v120
	v_exp_f32_e32 v97, v97
	v_fmac_f32_e32 v132, 0x32a5705f, v95
	s_delay_alu instid0(VALU_DEP_3) | instskip(SKIP_4) | instid1(VALU_DEP_4)
	v_dual_fmac_f32 v138, 0x32a5705f, v96 :: v_dual_add_f32 v99, v99, v127
	v_rndne_f32_e32 v135, v121
	v_fma_f32 v136, 0x3fb8aa3b, v43, -v122
	v_rndne_f32_e32 v137, v122
	v_cvt_i32_f32_e32 v126, v126
	v_dual_sub_f32 v120, v120, v133 :: v_dual_sub_f32 v121, v121, v135
	v_exp_f32_e32 v99, v99
	v_rndne_f32_e32 v139, v123
	s_wait_dscnt 0x0
	v_dual_max_num_f32 v7, v7, v7 :: v_dual_sub_f32 v100, v100, v98
	v_fma_f32 v140, 0x3fb8aa3b, v90, -v124
	v_cvt_i32_f32_e32 v128, v128
	v_dual_fmac_f32 v134, 0x32a5705f, v91 :: v_dual_add_f32 v119, v119, v130
	s_delay_alu instid0(VALU_DEP_4)
	v_max_num_f32_e32 v7, v42, v7
	v_fmac_f32_e32 v136, 0x32a5705f, v43
	v_dual_sub_f32 v122, v122, v137 :: v_dual_sub_f32 v123, v123, v139
	v_ldexp_f32 v97, v97, v126
	ds_bpermute_b32 v5, v5, v7
	v_fmac_f32_e32 v140, 0x32a5705f, v90
	v_cmp_ngt_f32_e32 vcc_lo, 0xc2ce8ed0, v6
	v_dual_add_f32 v121, v121, v134 :: v_dual_add_f32 v122, v122, v136
	v_ldexp_f32 v99, v99, v128
	v_cvt_i32_f32_e32 v98, v98
	s_wait_alu 0xfffd
	v_cndmask_b32_e32 v97, 0, v97, vcc_lo
	v_cmp_ngt_f32_e32 vcc_lo, 0xc2ce8ed0, v94
	v_add_f32_e32 v100, v100, v129
	v_exp_f32_e32 v119, v119
	v_rndne_f32_e32 v141, v124
	v_cvt_i32_f32_e32 v131, v131
	s_wait_alu 0xfffd
	v_cndmask_b32_e32 v99, 0, v99, vcc_lo
	v_exp_f32_e32 v100, v100
	v_cvt_i32_f32_e32 v42, v133
	v_cvt_i32_f32_e32 v133, v135
	;; [unrolled: 1-line block ×3, first 2 shown]
	v_cmp_ngt_f32_e32 vcc_lo, 0xc2ce8ed0, v89
	v_dual_sub_f32 v124, v124, v141 :: v_dual_add_f32 v123, v123, v138
	s_wait_dscnt 0x0
	v_dual_max_num_f32 v5, v5, v5 :: v_dual_add_f32 v120, v120, v132
	v_cvt_i32_f32_e32 v137, v139
	s_delay_alu instid0(TRANS32_DEP_1) | instskip(SKIP_1) | instid1(VALU_DEP_4)
	v_ldexp_f32 v98, v100, v98
	v_ldexp_f32 v100, v119, v131
	v_max_num_f32_e32 v5, v7, v5
	v_exp_f32_e32 v7, v121
	v_exp_f32_e32 v121, v122
	;; [unrolled: 1-line block ×4, first 2 shown]
	ds_bpermute_b32 v4, v4, v5
	v_cvt_i32_f32_e32 v139, v141
	s_wait_alu 0xfffe
	s_add_nc_u64 s[40:41], s[26:27], s[40:41]
	v_ldexp_f32 v7, v7, v133
	v_ldexp_f32 v119, v121, v135
	s_wait_alu 0xfffd
	v_cndmask_b32_e32 v98, 0, v98, vcc_lo
	v_cmp_ngt_f32_e32 vcc_lo, 0xc2ce8ed0, v44
	v_ldexp_f32 v42, v120, v42
	v_ldexp_f32 v120, v122, v137
	s_wait_dscnt 0x0
	v_max_num_f32_e32 v4, v4, v4
	s_delay_alu instid0(VALU_DEP_1)
	v_max_num_f32_e32 v4, v5, v4
	ds_bpermute_b32 v3, v3, v4
	s_wait_alu 0xfffd
	v_cndmask_b32_e32 v100, 0, v100, vcc_lo
	v_cmp_ngt_f32_e32 vcc_lo, 0xc2ce8ed0, v95
	s_wait_alu 0xfffd
	v_cndmask_b32_e32 v42, 0, v42, vcc_lo
	v_cmp_ngt_f32_e32 vcc_lo, 0xc2ce8ed0, v91
	s_wait_alu 0xfffd
	v_dual_add_f32 v124, v124, v140 :: v_dual_cndmask_b32 v7, 0, v7
	s_delay_alu instid0(VALU_DEP_1)
	v_exp_f32_e32 v123, v124
	v_cmp_ngt_f32_e32 vcc_lo, 0xc2ce8ed0, v43
	s_wait_alu 0xfffd
	v_cndmask_b32_e32 v119, 0, v119, vcc_lo
	v_cmp_ngt_f32_e32 vcc_lo, 0xc2ce8ed0, v96
	s_wait_dscnt 0x0
	v_max_num_f32_e32 v3, v3, v3
	s_delay_alu instid0(TRANS32_DEP_1)
	v_ldexp_f32 v121, v123, v139
	s_wait_alu 0xfffd
	v_cndmask_b32_e32 v5, 0, v120, vcc_lo
	v_cmp_ngt_f32_e32 vcc_lo, 0xc2ce8ed0, v90
	s_wait_alu 0xfffd
	v_cndmask_b32_e32 v120, 0, v121, vcc_lo
	v_cmp_nlt_f32_e32 vcc_lo, 0x42b17218, v6
	s_wait_alu 0xfffd
	v_cndmask_b32_e32 v6, 0x7f800000, v97, vcc_lo
	v_cmp_nlt_f32_e32 vcc_lo, 0x42b17218, v94
	;; [unrolled: 3-line block ×7, first 2 shown]
	v_max_num_f32_e32 v3, v4, v3
	s_delay_alu instid0(VALU_DEP_3)
	v_cvt_f16_f32_e32 v4, v7
	s_wait_alu 0xfffd
	v_cndmask_b32_e32 v91, 0x7f800000, v119, vcc_lo
	v_cmp_nlt_f32_e32 vcc_lo, 0x42b17218, v96
	v_cvt_f16_f32_e32 v96, v97
	v_sub_f32_e32 v41, v41, v3
	v_add_f32_e32 v43, v97, v42
	v_cvt_f16_f32_e32 v97, v42
	s_wait_alu 0xfffd
	v_cndmask_b32_e32 v5, 0x7f800000, v5, vcc_lo
	v_cmp_nlt_f32_e32 vcc_lo, 0x42b17218, v90
	v_cvt_f16_f32_e32 v98, v91
	v_cvt_f16_f32_e32 v95, v6
	s_delay_alu instid0(VALU_DEP_4) | instskip(SKIP_4) | instid1(VALU_DEP_3)
	v_dual_fmac_f32 v43, v86, v7 :: v_dual_add_f32 v42, v91, v5
	s_wait_alu 0xfffd
	v_dual_cndmask_b32 v90, 0x7f800000, v120 :: v_dual_sub_f32 v91, v101, v3
	v_cvt_f16_f32_e32 v99, v5
	v_dual_sub_f32 v5, v88, v3 :: v_dual_mul_f32 v88, 0x3fb8aa3b, v41
	v_dual_fmac_f32 v42, v85, v90 :: v_dual_mul_f32 v101, 0x3fb8aa3b, v91
	v_cvt_f16_f32_e32 v100, v90
	v_cmp_ngt_f32_e32 vcc_lo, 0xc2ce8ed0, v41
	s_delay_alu instid0(VALU_DEP_4) | instskip(NEXT) | instid1(VALU_DEP_4)
	v_rndne_f32_e32 v119, v88
	v_rndne_f32_e32 v121, v101
	v_fma_f32 v120, 0x3fb8aa3b, v91, -v101
	s_delay_alu instid0(VALU_DEP_2) | instskip(SKIP_2) | instid1(VALU_DEP_4)
	v_dual_sub_f32 v101, v101, v121 :: v_dual_add_f32 v44, v6, v94
	v_cvt_f16_f32_e32 v6, v94
	v_cvt_f16_f32_e32 v94, v89
	v_fmac_f32_e32 v120, 0x32a5705f, v91
	v_cvt_i32_f32_e32 v90, v121
	v_fmac_f32_e32 v44, v87, v89
	v_mul_f32_e32 v87, 0x3fb8aa3b, v5
	v_fma_f32 v89, 0x3fb8aa3b, v41, -v88
	v_sub_f32_e32 v88, v88, v119
	v_dual_add_f32 v7, v101, v120 :: v_dual_and_b32 v94, 0xffff, v94
	s_delay_alu instid0(VALU_DEP_4) | instskip(SKIP_4) | instid1(VALU_DEP_3)
	v_fma_f32 v122, 0x3fb8aa3b, v5, -v87
	v_rndne_f32_e32 v123, v87
	v_fmac_f32_e32 v89, 0x32a5705f, v41
	v_pack_b32_f16 v6, v6, v97
	v_exp_f32_e32 v7, v7
	v_dual_fmac_f32 v122, 0x32a5705f, v5 :: v_dual_sub_f32 v87, v87, v123
	s_delay_alu instid0(VALU_DEP_3) | instskip(SKIP_2) | instid1(VALU_DEP_4)
	v_add_f32_e32 v88, v88, v89
	v_cvt_i32_f32_e32 v89, v119
	v_mul_u32_u24_e32 v119, 0x10001, v94
	v_dual_add_f32 v86, v87, v122 :: v_dual_and_b32 v87, 0xffff, v4
	s_delay_alu instid0(VALU_DEP_4) | instskip(SKIP_2) | instid1(VALU_DEP_3)
	v_exp_f32_e32 v88, v88
	v_pack_b32_f16 v4, v95, v96
	v_cvt_i32_f32_e32 v95, v123
	v_exp_f32_e32 v85, v86
	v_ldexp_f32 v7, v7, v90
	v_mul_u32_u24_e32 v120, 0x10001, v87
	v_pk_mul_f16 v122, v66, v119
	v_pk_mul_f16 v123, v64, v119
	;; [unrolled: 1-line block ×3, first 2 shown]
	s_delay_alu instid0(TRANS32_DEP_2) | instskip(SKIP_2) | instid1(TRANS32_DEP_1)
	v_ldexp_f32 v88, v88, v89
	v_pk_mul_f16 v125, v63, v120
	v_pk_mul_f16 v60, v60, v120
	v_ldexp_f32 v85, v85, v95
	v_pk_mul_f16 v61, v61, v120
	s_wait_alu 0xfffd
	v_cndmask_b32_e32 v88, 0, v88, vcc_lo
	v_cmp_ngt_f32_e32 vcc_lo, 0xc2ce8ed0, v91
	s_wait_alu 0xfffd
	v_dual_cndmask_b32 v7, 0, v7 :: v_dual_and_b32 v86, 0xffff, v100
	v_cmp_ngt_f32_e32 vcc_lo, 0xc2ce8ed0, v5
	s_delay_alu instid0(VALU_DEP_2) | instskip(SKIP_3) | instid1(VALU_DEP_3)
	v_mul_u32_u24_e32 v121, 0x10001, v86
	s_wait_alu 0xfffd
	v_cndmask_b32_e32 v85, 0, v85, vcc_lo
	v_cmp_nlt_f32_e32 vcc_lo, 0x42b17218, v41
	v_pk_mul_f16 v57, v57, v121
	s_wait_alu 0xfffd
	v_cndmask_b32_e32 v41, 0x7f800000, v88, vcc_lo
	v_cmp_nlt_f32_e32 vcc_lo, 0x42b17218, v91
	s_wait_alu 0xfffd
	v_cndmask_b32_e32 v88, 0x7f800000, v7, vcc_lo
	v_cmp_nlt_f32_e32 vcc_lo, 0x42b17218, v5
	v_cvt_f16_f32_e32 v5, v41
	s_delay_alu instid0(VALU_DEP_3) | instskip(SKIP_2) | instid1(VALU_DEP_3)
	v_add_f32_e32 v41, v41, v88
	s_wait_alu 0xfffd
	v_cndmask_b32_e32 v85, 0x7f800000, v85, vcc_lo
	v_pack_b32_f16 v5, v98, v5
	s_delay_alu instid0(VALU_DEP_2) | instskip(SKIP_2) | instid1(VALU_DEP_2)
	v_fmac_f32_e32 v41, v84, v85
	v_cvt_f16_f32_e32 v7, v88
	v_cvt_f16_f32_e32 v66, v85
	v_pack_b32_f16 v7, v99, v7
	ds_store_2addr_b64 v102, v[4:5], v[6:7] offset1:32
	s_wait_loadcnt 0x3
	ds_store_b128 v77, v[103:106]
	s_wait_loadcnt 0x2
	ds_store_b128 v80, v[107:110]
	;; [unrolled: 2-line block ×4, first 2 shown]
	s_wait_dscnt 0x0
	s_barrier_signal -1
	s_barrier_wait -1
	global_inv scope:SCOPE_SE
	ds_load_b128 v[4:7], v79
	v_and_b32_e32 v63, 0xffff, v66
	v_pk_mul_f16 v106, v53, v121
	v_pk_mul_f16 v107, v54, v121
	s_delay_alu instid0(VALU_DEP_3)
	v_mul_u32_u24_e32 v86, 0x10001, v63
	ds_load_b128 v[63:66], v79 offset:16
	v_pk_mul_f16 v55, v55, v86
	v_pk_mul_f16 v56, v56, v86
	v_pk_mul_f16 v108, v52, v86
	v_pk_mul_f16 v109, v51, v86
	ds_load_2addr_b64 v[51:54], v38 offset1:32
	ds_load_b128 v[84:87], v79 offset:32
	ds_load_b128 v[88:91], v79 offset:48
	ds_load_2addr_b64 v[94:97], v38 offset0:64 offset1:96
	ds_load_2addr_b64 v[98:101], v38 offset0:128 offset1:160
	;; [unrolled: 1-line block ×3, first 2 shown]
	s_wait_dscnt 0x7
	v_lshrrev_b32_e32 v110, 16, v4
	v_lshrrev_b32_e32 v111, 16, v5
	v_and_b32_e32 v4, 0xffff, v4
	v_and_b32_e32 v5, 0xffff, v5
	v_lshrrev_b32_e32 v112, 16, v6
	v_mul_u32_u24_e32 v110, 0x10001, v110
	v_lshrrev_b32_e32 v113, 16, v7
	v_mul_u32_u24_e32 v4, 0x10001, v4
	v_mul_u32_u24_e32 v5, 0x10001, v5
	v_and_b32_e32 v6, 0xffff, v6
	v_and_b32_e32 v7, 0xffff, v7
	v_mul_u32_u24_e32 v111, 0x10001, v111
	s_wait_dscnt 0x5
	v_pk_mul_f16 v118, v51, v4
	v_pk_mul_f16 v126, v51, v110
	;; [unrolled: 1-line block ×3, first 2 shown]
	v_lshrrev_b32_e32 v114, 16, v63
	v_lshrrev_b32_e32 v115, 16, v64
	v_and_b32_e32 v63, 0xffff, v63
	v_and_b32_e32 v64, 0xffff, v64
	v_mul_u32_u24_e32 v6, 0x10001, v6
	v_mul_u32_u24_e32 v112, 0x10001, v112
	;; [unrolled: 1-line block ×4, first 2 shown]
	v_pk_fma_f16 v51, v51, v111, v55
	v_pk_fma_f16 v55, v52, v4, v122
	;; [unrolled: 1-line block ×12, first 2 shown]
	v_lshrrev_b32_e32 v116, 16, v65
	v_lshrrev_b32_e32 v117, 16, v66
	v_and_b32_e32 v65, 0xffff, v65
	v_and_b32_e32 v66, 0xffff, v66
	v_mul_u32_u24_e32 v63, 0x10001, v63
	v_mul_u32_u24_e32 v114, 0x10001, v114
	v_mul_u32_u24_e32 v64, 0x10001, v64
	s_wait_dscnt 0x2
	v_pk_fma_f16 v55, v95, v6, v55
	v_pk_fma_f16 v107, v95, v112, v122
	v_pk_fma_f16 v57, v95, v7, v57
	v_pk_fma_f16 v52, v95, v113, v52
	v_pk_fma_f16 v56, v96, v6, v56
	v_pk_fma_f16 v95, v96, v7, v106
	v_pk_fma_f16 v4, v97, v6, v4
	v_pk_fma_f16 v5, v97, v7, v5
	v_pk_fma_f16 v6, v94, v6, v62
	v_pk_fma_f16 v58, v94, v112, v58
	v_pk_fma_f16 v7, v94, v7, v50
	v_mul_u32_u24_e32 v115, 0x10001, v115
	v_mul_u32_u24_e32 v65, 0x10001, v65
	;; [unrolled: 1-line block ×4, first 2 shown]
	v_pk_fma_f16 v60, v53, v110, v60
	v_pk_fma_f16 v53, v53, v111, v108
	;; [unrolled: 1-line block ×3, first 2 shown]
	s_wait_dscnt 0x1
	v_pk_fma_f16 v94, v101, v63, v4
	v_pk_fma_f16 v4, v98, v63, v6
	;; [unrolled: 1-line block ×11, first 2 shown]
	s_wait_dscnt 0x0
	v_pk_fma_f16 v63, v102, v65, v4
	v_pk_fma_f16 v64, v102, v116, v6
	;; [unrolled: 1-line block ×3, first 2 shown]
	ds_load_2addr_b64 v[4:7], v92 offset1:32
	v_mul_u32_u24_e32 v117, 0x10001, v117
	v_pk_fma_f16 v61, v54, v110, v61
	v_pk_fma_f16 v54, v54, v111, v109
	;; [unrolled: 1-line block ×9, first 2 shown]
	v_and_b32_e32 v52, 0xffff, v84
	v_lshrrev_b32_e32 v53, 16, v84
	v_and_b32_e32 v84, 0xffff, v85
	v_lshrrev_b32_e32 v85, 16, v85
	v_pk_fma_f16 v50, v102, v117, v50
	v_pk_fma_f16 v51, v103, v65, v51
	;; [unrolled: 1-line block ×7, first 2 shown]
	v_mul_u32_u24_e32 v66, 0x10001, v52
	v_mul_u32_u24_e32 v94, 0x10001, v53
	;; [unrolled: 1-line block ×4, first 2 shown]
	v_pk_fma_f16 v55, v99, v114, v107
	v_pk_fma_f16 v60, v100, v114, v60
	s_wait_dscnt 0x0
	v_pk_fma_f16 v63, v4, v66, v63
	v_pk_fma_f16 v64, v4, v94, v64
	;; [unrolled: 1-line block ×5, first 2 shown]
	ds_load_2addr_b64 v[50:53], v92 offset0:64 offset1:96
	v_pk_fma_f16 v55, v103, v116, v55
	v_pk_fma_f16 v60, v104, v116, v60
	;; [unrolled: 1-line block ×12, first 2 shown]
	v_and_b32_e32 v5, 0xffff, v86
	v_lshrrev_b32_e32 v6, 16, v86
	v_and_b32_e32 v66, 0xffff, v87
	v_lshrrev_b32_e32 v86, 16, v87
	v_pk_fma_f16 v61, v105, v116, v61
	v_pk_fma_f16 v54, v105, v117, v54
	;; [unrolled: 1-line block ×3, first 2 shown]
	v_mul_u32_u24_e32 v84, 0x10001, v5
	v_mul_u32_u24_e32 v87, 0x10001, v6
	;; [unrolled: 1-line block ×4, first 2 shown]
	v_pk_fma_f16 v61, v7, v94, v61
	v_pk_fma_f16 v54, v7, v85, v54
	s_wait_dscnt 0x0
	v_pk_fma_f16 v63, v50, v84, v63
	v_pk_fma_f16 v64, v50, v87, v64
	v_pk_fma_f16 v85, v50, v66, v95
	v_pk_fma_f16 v50, v50, v86, v4
	ds_load_2addr_b64 v[4:7], v92 offset0:128 offset1:160
	v_pk_fma_f16 v94, v51, v84, v98
	v_pk_fma_f16 v56, v52, v84, v56
	;; [unrolled: 1-line block ×6, first 2 shown]
	v_and_b32_e32 v52, 0xffff, v88
	v_lshrrev_b32_e32 v84, 16, v88
	v_pk_fma_f16 v55, v51, v87, v55
	v_pk_fma_f16 v57, v51, v66, v57
	;; [unrolled: 1-line block ×3, first 2 shown]
	v_and_b32_e32 v87, 0xffff, v89
	v_lshrrev_b32_e32 v88, 16, v89
	v_pk_fma_f16 v58, v53, v66, v58
	v_mul_u32_u24_e32 v66, 0x10001, v52
	v_mul_u32_u24_e32 v84, 0x10001, v84
	v_pk_fma_f16 v51, v51, v86, v96
	v_mul_u32_u24_e32 v87, 0x10001, v87
	v_mul_u32_u24_e32 v88, 0x10001, v88
	v_pk_fma_f16 v86, v53, v86, v54
	s_wait_dscnt 0x0
	v_pk_fma_f16 v89, v5, v66, v94
	v_pk_fma_f16 v94, v5, v84, v55
	ds_load_2addr_b64 v[52:55], v92 offset0:192 offset1:224
	v_pk_fma_f16 v63, v4, v66, v63
	v_pk_fma_f16 v64, v4, v84, v64
	;; [unrolled: 1-line block ×6, first 2 shown]
	v_and_b32_e32 v4, 0xffff, v90
	v_lshrrev_b32_e32 v5, 16, v90
	v_pk_fma_f16 v56, v6, v66, v56
	v_pk_fma_f16 v97, v6, v84, v60
	v_pk_fma_f16 v98, v6, v87, v62
	v_pk_fma_f16 v95, v6, v88, v95
	v_pk_fma_f16 v65, v7, v66, v65
	v_pk_fma_f16 v66, v7, v84, v61
	v_pk_fma_f16 v58, v7, v87, v58
	v_pk_fma_f16 v88, v7, v88, v86
	v_and_b32_e32 v51, 0xffff, v91
	v_mul_u32_u24_e32 v84, 0x10001, v4
	v_mul_u32_u24_e32 v86, 0x10001, v5
	ds_load_b128 v[4:7], v79 offset:64
	v_lshrrev_b32_e32 v60, 16, v91
	v_mul_u32_u24_e32 v90, 0x10001, v51
	v_add_nc_u32_e32 v51, 0x1000, v38
	s_wait_dscnt 0x1
	v_pk_fma_f16 v99, v52, v84, v63
	v_pk_fma_f16 v64, v52, v86, v64
	v_mul_u32_u24_e32 v91, 0x10001, v60
	v_pk_fma_f16 v100, v52, v90, v85
	ds_load_2addr_b64 v[60:63], v51 offset1:32
	v_pk_fma_f16 v57, v53, v90, v57
	v_pk_fma_f16 v56, v54, v84, v56
	v_pk_fma_f16 v50, v52, v91, v50
	v_pk_fma_f16 v52, v53, v84, v89
	v_pk_fma_f16 v89, v53, v86, v94
	v_pk_fma_f16 v94, v53, v91, v96
	v_pk_fma_f16 v96, v54, v86, v97
	v_pk_fma_f16 v97, v54, v90, v98
	v_pk_fma_f16 v95, v54, v91, v95
	v_pk_fma_f16 v65, v55, v84, v65
	v_pk_fma_f16 v66, v55, v86, v66
	ds_load_b128 v[84:87], v79 offset:80
	s_wait_dscnt 0x2
	v_and_b32_e32 v53, 0xffff, v4
	v_lshrrev_b32_e32 v4, 16, v4
	v_and_b32_e32 v54, 0xffff, v5
	v_lshrrev_b32_e32 v5, 16, v5
	v_pk_fma_f16 v58, v55, v90, v58
	v_mul_u32_u24_e32 v90, 0x10001, v53
	v_mul_u32_u24_e32 v4, 0x10001, v4
	;; [unrolled: 1-line block ×4, first 2 shown]
	v_pk_fma_f16 v88, v55, v91, v88
	s_wait_dscnt 0x1
	v_pk_fma_f16 v91, v60, v90, v99
	v_pk_fma_f16 v64, v60, v4, v64
	;; [unrolled: 1-line block ×5, first 2 shown]
	ds_load_2addr_b64 v[52:55], v51 offset0:64 offset1:96
	v_pk_fma_f16 v89, v61, v4, v89
	v_pk_fma_f16 v57, v61, v98, v57
	;; [unrolled: 1-line block ×7, first 2 shown]
	v_and_b32_e32 v4, 0xffff, v6
	v_lshrrev_b32_e32 v6, 16, v6
	v_and_b32_e32 v90, 0xffff, v7
	v_lshrrev_b32_e32 v7, 16, v7
	v_pk_fma_f16 v96, v62, v98, v97
	v_pk_fma_f16 v62, v62, v5, v95
	;; [unrolled: 1-line block ×3, first 2 shown]
	v_mul_u32_u24_e32 v95, 0x10001, v4
	v_mul_u32_u24_e32 v97, 0x10001, v6
	;; [unrolled: 1-line block ×3, first 2 shown]
	v_pk_fma_f16 v63, v63, v5, v88
	ds_load_2addr_b64 v[4:7], v51 offset0:128 offset1:160
	v_mul_u32_u24_e32 v90, 0x10001, v90
	s_wait_dscnt 0x1
	v_pk_fma_f16 v88, v52, v95, v91
	v_pk_fma_f16 v64, v52, v97, v64
	;; [unrolled: 1-line block ×12, first 2 shown]
	v_and_b32_e32 v53, 0xffff, v84
	v_lshrrev_b32_e32 v54, 16, v84
	v_and_b32_e32 v56, 0xffff, v85
	v_lshrrev_b32_e32 v84, 16, v85
	v_pk_fma_f16 v65, v55, v95, v65
	v_pk_fma_f16 v66, v55, v97, v66
	;; [unrolled: 1-line block ×3, first 2 shown]
	v_mul_u32_u24_e32 v85, 0x10001, v53
	v_mul_u32_u24_e32 v90, 0x10001, v54
	v_mul_u32_u24_e32 v95, 0x10001, v56
	v_mul_u32_u24_e32 v84, 0x10001, v84
	v_pk_fma_f16 v63, v55, v98, v63
	ds_load_2addr_b64 v[53:56], v51 offset0:192 offset1:224
	s_wait_dscnt 0x1
	v_pk_fma_f16 v88, v4, v85, v88
	v_pk_fma_f16 v64, v4, v90, v64
	;; [unrolled: 1-line block ×8, first 2 shown]
	v_and_b32_e32 v4, 0xffff, v86
	v_lshrrev_b32_e32 v5, 16, v86
	v_pk_fma_f16 v89, v6, v85, v89
	v_pk_fma_f16 v94, v6, v90, v94
	;; [unrolled: 1-line block ×8, first 2 shown]
	v_and_b32_e32 v52, 0xffff, v87
	v_lshrrev_b32_e32 v61, 16, v87
	v_mul_u32_u24_e32 v84, 0x10001, v4
	v_mul_u32_u24_e32 v85, 0x10001, v5
	ds_load_b128 v[4:7], v79 offset:96
	v_mul_u32_u24_e32 v95, 0x10001, v52
	v_mul_u32_u24_e32 v100, 0x10001, v61
	v_add_nc_u32_e32 v52, 0x1800, v38
	s_wait_dscnt 0x1
	v_pk_fma_f16 v88, v53, v84, v88
	v_pk_fma_f16 v64, v53, v85, v64
	;; [unrolled: 1-line block ×6, first 2 shown]
	ds_load_2addr_b64 v[60:63], v52 offset1:32
	v_pk_fma_f16 v57, v54, v95, v57
	v_pk_fma_f16 v98, v54, v100, v98
	;; [unrolled: 1-line block ×8, first 2 shown]
	ds_load_b128 v[84:87], v79 offset:112
	s_wait_dscnt 0x2
	v_and_b32_e32 v54, 0xffff, v4
	v_lshrrev_b32_e32 v4, 16, v4
	v_and_b32_e32 v55, 0xffff, v5
	v_lshrrev_b32_e32 v5, 16, v5
	v_pk_fma_f16 v58, v56, v95, v58
	v_mul_u32_u24_e32 v95, 0x10001, v54
	v_mul_u32_u24_e32 v4, 0x10001, v4
	v_mul_u32_u24_e32 v101, 0x10001, v55
	v_mul_u32_u24_e32 v5, 0x10001, v5
	v_pk_fma_f16 v90, v56, v100, v90
	s_wait_dscnt 0x1
	v_pk_fma_f16 v88, v60, v95, v88
	v_pk_fma_f16 v64, v60, v4, v64
	;; [unrolled: 1-line block ×5, first 2 shown]
	ds_load_2addr_b64 v[53:56], v52 offset0:64 offset1:96
	v_pk_fma_f16 v97, v61, v4, v97
	v_pk_fma_f16 v89, v62, v95, v89
	;; [unrolled: 1-line block ×5, first 2 shown]
	v_and_b32_e32 v4, 0xffff, v6
	v_lshrrev_b32_e32 v6, 16, v6
	v_and_b32_e32 v95, 0xffff, v7
	v_lshrrev_b32_e32 v7, 16, v7
	v_pk_fma_f16 v57, v61, v101, v57
	v_pk_fma_f16 v61, v61, v5, v98
	;; [unrolled: 1-line block ×5, first 2 shown]
	v_mul_u32_u24_e32 v98, 0x10001, v4
	v_mul_u32_u24_e32 v99, 0x10001, v6
	;; [unrolled: 1-line block ×3, first 2 shown]
	v_pk_fma_f16 v63, v63, v5, v90
	ds_load_2addr_b64 v[4:7], v52 offset0:128 offset1:160
	v_mul_u32_u24_e32 v95, 0x10001, v95
	s_wait_dscnt 0x1
	v_pk_fma_f16 v89, v55, v98, v89
	v_pk_fma_f16 v94, v55, v99, v94
	;; [unrolled: 1-line block ×5, first 2 shown]
	v_lshrrev_b32_e32 v55, 16, v84
	v_pk_fma_f16 v64, v53, v99, v64
	v_pk_fma_f16 v90, v53, v95, v91
	;; [unrolled: 1-line block ×7, first 2 shown]
	v_and_b32_e32 v54, 0xffff, v84
	v_and_b32_e32 v57, 0xffff, v85
	v_lshrrev_b32_e32 v84, 16, v85
	v_pk_fma_f16 v58, v56, v95, v58
	v_mul_u32_u24_e32 v95, 0x10001, v55
	v_pk_fma_f16 v65, v56, v98, v65
	v_pk_fma_f16 v66, v56, v99, v66
	v_mul_u32_u24_e32 v85, 0x10001, v54
	v_mul_u32_u24_e32 v97, 0x10001, v57
	;; [unrolled: 1-line block ×3, first 2 shown]
	v_pk_fma_f16 v63, v56, v100, v63
	s_wait_dscnt 0x0
	v_pk_fma_f16 v98, v5, v95, v60
	v_lshrrev_b32_e32 v60, 16, v86
	v_pk_fma_f16 v88, v4, v85, v88
	v_pk_fma_f16 v64, v4, v95, v64
	;; [unrolled: 1-line block ×5, first 2 shown]
	ds_load_2addr_b64 v[54:57], v52 offset0:192 offset1:224
	v_pk_fma_f16 v91, v5, v97, v91
	v_pk_fma_f16 v5, v5, v84, v61
	;; [unrolled: 1-line block ×7, first 2 shown]
	v_and_b32_e32 v53, 0xffff, v86
	v_pk_fma_f16 v95, v7, v84, v63
	v_mul_u32_u24_e32 v99, 0x10001, v60
	ds_load_b128 v[60:63], v79 offset:128
	v_pk_fma_f16 v58, v7, v97, v58
	v_lshrrev_b32_e32 v84, 16, v87
	v_mul_u32_u24_e32 v97, 0x10001, v53
	v_add_nc_u32_e32 v53, 0x2000, v38
	v_pk_fma_f16 v65, v7, v85, v65
	v_and_b32_e32 v7, 0xffff, v87
	v_mul_u32_u24_e32 v101, 0x10001, v84
	ds_load_2addr_b64 v[84:87], v53 offset1:32
	s_wait_dscnt 0x2
	v_pk_fma_f16 v88, v54, v97, v88
	v_mul_u32_u24_e32 v100, 0x10001, v7
	v_pk_fma_f16 v64, v54, v99, v64
	v_pk_fma_f16 v50, v55, v97, v50
	;; [unrolled: 1-line block ×11, first 2 shown]
	ds_load_b128 v[4:7], v79 offset:144
	s_wait_dscnt 0x2
	v_and_b32_e32 v55, 0xffff, v60
	v_lshrrev_b32_e32 v56, 16, v60
	v_and_b32_e32 v60, 0xffff, v61
	v_lshrrev_b32_e32 v61, 16, v61
	v_pk_fma_f16 v65, v57, v97, v65
	v_pk_fma_f16 v66, v57, v99, v66
	v_mul_u32_u24_e32 v97, 0x10001, v55
	v_mul_u32_u24_e32 v99, 0x10001, v56
	;; [unrolled: 1-line block ×4, first 2 shown]
	v_pk_fma_f16 v58, v57, v100, v58
	v_pk_fma_f16 v95, v57, v101, v95
	s_wait_dscnt 0x1
	v_pk_fma_f16 v88, v84, v97, v88
	v_pk_fma_f16 v64, v84, v99, v64
	v_pk_fma_f16 v90, v84, v60, v90
	v_pk_fma_f16 v84, v84, v61, v54
	ds_load_2addr_b64 v[54:57], v53 offset0:64 offset1:96
	v_pk_fma_f16 v50, v85, v97, v50
	v_pk_fma_f16 v98, v85, v99, v98
	;; [unrolled: 1-line block ×6, first 2 shown]
	v_and_b32_e32 v97, 0xffff, v62
	v_lshrrev_b32_e32 v62, 16, v62
	v_and_b32_e32 v99, 0xffff, v63
	v_lshrrev_b32_e32 v63, 16, v63
	v_pk_fma_f16 v91, v85, v60, v91
	v_pk_fma_f16 v96, v86, v60, v96
	;; [unrolled: 1-line block ×3, first 2 shown]
	v_mul_u32_u24_e32 v60, 0x10001, v97
	v_mul_u32_u24_e32 v62, 0x10001, v62
	;; [unrolled: 1-line block ×4, first 2 shown]
	v_pk_fma_f16 v85, v85, v61, v102
	v_pk_fma_f16 v86, v86, v61, v103
	s_wait_dscnt 0x0
	v_pk_fma_f16 v181, v54, v60, v88
	v_pk_fma_f16 v182, v54, v62, v64
	;; [unrolled: 1-line block ×4, first 2 shown]
	s_wait_alu 0xfffe
	v_add_co_u32 v54, vcc_lo, s40, v18
	v_pk_fma_f16 v185, v55, v60, v50
	v_pk_fma_f16 v186, v55, v62, v98
	v_pk_fma_f16 v187, v55, v178, v91
	v_pk_fma_f16 v188, v55, v179, v85
	s_wait_alu 0xfffd
	v_add_co_ci_u32_e64 v55, null, s41, v19, vcc_lo
	v_add_co_u32 v64, vcc_lo, s40, v20
	v_pk_fma_f16 v192, v57, v60, v65
	s_wait_alu 0xfffd
	v_add_co_ci_u32_e64 v65, null, s41, v21, vcc_lo
	v_add_co_u32 v54, vcc_lo, v54, v93
	s_wait_alu 0xfffd
	v_add_co_ci_u32_e64 v55, null, 0, v55, vcc_lo
	v_add_co_u32 v64, vcc_lo, v64, v93
	;; [unrolled: 3-line block ×5, first 2 shown]
	v_lshrrev_b32_e32 v193, 16, v4
	v_add_nc_u32_e32 v50, 0x2800, v38
	v_lshrrev_b32_e32 v194, 16, v5
	v_and_b32_e32 v195, 0xffff, v4
	v_and_b32_e32 v196, 0xffff, v5
	v_add_nc_u32_e32 v5, 0x3000, v38
	v_add_nc_u32_e32 v4, 0x3800, v38
	s_wait_alu 0xfffd
	v_add_co_ci_u32_e64 v171, null, 0, v163, vcc_lo
	v_add_co_u32 v174, vcc_lo, v164, v93
	s_wait_alu 0xfffd
	v_add_co_ci_u32_e64 v175, null, 0, v165, vcc_lo
	v_pk_fma_f16 v180, v87, v61, v95
	v_pk_fma_f16 v189, v56, v60, v89
	;; [unrolled: 1-line block ×6, first 2 shown]
	ds_load_2addr_b64 v[60:63], v53 offset0:128 offset1:160
	ds_load_2addr_b64 v[84:87], v53 offset0:192 offset1:224
	ds_load_2addr_b64 v[88:91], v50 offset1:32
	ds_load_2addr_b64 v[94:97], v50 offset0:64 offset1:96
	ds_load_2addr_b64 v[98:101], v50 offset0:128 offset1:160
	ds_load_b128 v[102:105], v79 offset:160
	ds_load_b128 v[106:109], v79 offset:176
	ds_load_2addr_b64 v[110:113], v50 offset0:192 offset1:224
	ds_load_2addr_b64 v[114:117], v5 offset1:32
	ds_load_2addr_b64 v[118:121], v5 offset0:64 offset1:96
	ds_load_2addr_b64 v[122:125], v5 offset0:128 offset1:160
	ds_load_b128 v[126:129], v79 offset:192
	ds_load_b128 v[130:133], v79 offset:208
	;; [unrolled: 6-line block ×3, first 2 shown]
	ds_load_2addr_b64 v[158:161], v4 offset0:192 offset1:224
	s_wait_loadcnt_dscnt 0x0
	s_barrier_signal -1
	s_barrier_wait -1
	global_inv scope:SCOPE_SE
	s_clause 0x3
	global_load_b128 v[162:165], v[54:55], off
	global_load_b128 v[166:169], v[64:65], off
	global_load_b128 v[170:173], v[170:171], off
	global_load_b128 v[174:177], v[174:175], off
	v_pk_fma_f16 v54, v57, v178, v58
	v_mul_u32_u24_e32 v55, 0x10001, v195
	v_mul_u32_u24_e32 v58, 0x10001, v193
	;; [unrolled: 1-line block ×4, first 2 shown]
	v_pk_fma_f16 v57, v57, v179, v180
	s_wait_loadcnt 0x3
	ds_store_b128 v77, v[162:165]
	s_wait_loadcnt 0x2
	ds_store_b128 v80, v[166:169]
	;; [unrolled: 2-line block ×4, first 2 shown]
	v_pk_fma_f16 v93, v60, v55, v181
	v_pk_fma_f16 v178, v60, v58, v182
	;; [unrolled: 1-line block ×11, first 2 shown]
	v_and_b32_e32 v62, 0xffff, v6
	v_lshrrev_b32_e32 v6, 16, v6
	v_and_b32_e32 v66, 0xffff, v7
	v_lshrrev_b32_e32 v7, 16, v7
	v_pk_fma_f16 v182, v61, v64, v187
	v_pk_fma_f16 v61, v61, v65, v188
	;; [unrolled: 1-line block ×4, first 2 shown]
	v_mul_u32_u24_e32 v62, 0x10001, v62
	v_mul_u32_u24_e32 v6, 0x10001, v6
	;; [unrolled: 1-line block ×4, first 2 shown]
	v_pk_fma_f16 v57, v63, v65, v57
	v_pk_fma_f16 v63, v84, v62, v93
	;; [unrolled: 1-line block ×15, first 2 shown]
	v_and_b32_e32 v58, 0xffff, v102
	v_lshrrev_b32_e32 v62, 16, v102
	v_and_b32_e32 v86, 0xffff, v103
	v_lshrrev_b32_e32 v102, 16, v103
	v_pk_fma_f16 v54, v87, v64, v54
	v_mul_u32_u24_e32 v58, 0x10001, v58
	v_mul_u32_u24_e32 v62, 0x10001, v62
	;; [unrolled: 1-line block ×4, first 2 shown]
	v_pk_fma_f16 v7, v87, v7, v57
	v_pk_fma_f16 v57, v88, v58, v63
	;; [unrolled: 1-line block ×7, first 2 shown]
	v_and_b32_e32 v58, 0xffff, v104
	v_pk_fma_f16 v60, v88, v86, v60
	v_pk_fma_f16 v84, v89, v62, v93
	;; [unrolled: 1-line block ×8, first 2 shown]
	v_lshrrev_b32_e32 v62, 16, v104
	v_and_b32_e32 v90, 0xffff, v105
	v_mul_u32_u24_e32 v58, 0x10001, v58
	v_pk_fma_f16 v54, v91, v64, v54
	v_pk_fma_f16 v7, v91, v86, v7
	v_mul_u32_u24_e32 v62, 0x10001, v62
	v_mul_u32_u24_e32 v64, 0x10001, v90
	v_pk_fma_f16 v57, v94, v58, v57
	v_pk_fma_f16 v66, v95, v58, v66
	;; [unrolled: 1-line block ×4, first 2 shown]
	v_and_b32_e32 v58, 0xffff, v106
	v_pk_fma_f16 v63, v94, v62, v63
	v_pk_fma_f16 v84, v95, v62, v84
	v_pk_fma_f16 v86, v95, v64, v87
	v_pk_fma_f16 v87, v96, v62, v88
	v_pk_fma_f16 v6, v97, v62, v6
	v_lshrrev_b32_e32 v62, 16, v106
	v_mul_u32_u24_e32 v58, 0x10001, v58
	v_lshrrev_b32_e32 v93, 16, v105
	v_pk_fma_f16 v88, v96, v64, v89
	v_and_b32_e32 v89, 0xffff, v107
	v_mul_u32_u24_e32 v62, 0x10001, v62
	v_pk_fma_f16 v57, v98, v58, v57
	v_pk_fma_f16 v66, v99, v58, v66
	;; [unrolled: 1-line block ×4, first 2 shown]
	v_and_b32_e32 v58, 0xffff, v108
	v_pk_fma_f16 v63, v98, v62, v63
	v_pk_fma_f16 v84, v99, v62, v84
	;; [unrolled: 1-line block ×4, first 2 shown]
	v_lshrrev_b32_e32 v62, 16, v108
	v_mul_u32_u24_e32 v58, 0x10001, v58
	v_mul_u32_u24_e32 v90, 0x10001, v93
	v_lshrrev_b32_e32 v91, 16, v107
	v_pk_fma_f16 v65, v94, v64, v65
	v_mul_u32_u24_e32 v62, 0x10001, v62
	v_pk_fma_f16 v57, v110, v58, v57
	v_pk_fma_f16 v66, v111, v58, v66
	;; [unrolled: 1-line block ×4, first 2 shown]
	v_and_b32_e32 v58, 0xffff, v126
	v_pk_fma_f16 v63, v110, v62, v63
	v_pk_fma_f16 v84, v111, v62, v84
	;; [unrolled: 1-line block ×4, first 2 shown]
	v_lshrrev_b32_e32 v62, 16, v126
	v_mul_u32_u24_e32 v58, 0x10001, v58
	v_pk_fma_f16 v60, v94, v90, v60
	v_pk_fma_f16 v61, v95, v90, v61
	;; [unrolled: 1-line block ×3, first 2 shown]
	v_mul_u32_u24_e32 v62, 0x10001, v62
	v_pk_fma_f16 v57, v114, v58, v57
	v_pk_fma_f16 v66, v115, v58, v66
	;; [unrolled: 1-line block ×4, first 2 shown]
	v_and_b32_e32 v58, 0xffff, v128
	v_pk_fma_f16 v63, v114, v62, v63
	v_pk_fma_f16 v84, v115, v62, v84
	;; [unrolled: 1-line block ×4, first 2 shown]
	v_lshrrev_b32_e32 v62, 16, v128
	v_mul_u32_u24_e32 v58, 0x10001, v58
	v_pk_fma_f16 v54, v97, v64, v54
	v_mul_u32_u24_e32 v64, 0x10001, v89
	v_mul_u32_u24_e32 v89, 0x10001, v91
	v_mul_u32_u24_e32 v62, 0x10001, v62
	v_pk_fma_f16 v57, v118, v58, v57
	v_pk_fma_f16 v66, v119, v58, v66
	;; [unrolled: 1-line block ×4, first 2 shown]
	v_and_b32_e32 v58, 0xffff, v130
	v_pk_fma_f16 v7, v97, v90, v7
	v_and_b32_e32 v90, 0xffff, v109
	v_lshrrev_b32_e32 v91, 16, v109
	v_pk_fma_f16 v63, v118, v62, v63
	v_pk_fma_f16 v84, v119, v62, v84
	v_pk_fma_f16 v87, v120, v62, v87
	v_pk_fma_f16 v6, v121, v62, v6
	v_lshrrev_b32_e32 v62, 16, v130
	v_mul_u32_u24_e32 v58, 0x10001, v58
	v_pk_fma_f16 v65, v98, v64, v65
	v_pk_fma_f16 v60, v98, v89, v60
	v_pk_fma_f16 v86, v99, v64, v86
	v_pk_fma_f16 v61, v99, v89, v61
	v_pk_fma_f16 v88, v100, v64, v88
	v_pk_fma_f16 v56, v100, v89, v56
	v_pk_fma_f16 v54, v101, v64, v54
	v_mul_u32_u24_e32 v64, 0x10001, v90
	v_mul_u32_u24_e32 v90, 0x10001, v91
	v_pk_fma_f16 v7, v101, v89, v7
	v_and_b32_e32 v89, 0xffff, v127
	v_lshrrev_b32_e32 v91, 16, v127
	v_mul_u32_u24_e32 v62, 0x10001, v62
	v_pk_fma_f16 v57, v122, v58, v57
	v_pk_fma_f16 v66, v123, v58, v66
	v_pk_fma_f16 v85, v124, v58, v85
	v_pk_fma_f16 v55, v125, v58, v55
	v_and_b32_e32 v58, 0xffff, v132
	v_pk_fma_f16 v65, v110, v64, v65
	v_pk_fma_f16 v60, v110, v90, v60
	v_pk_fma_f16 v86, v111, v64, v86
	v_pk_fma_f16 v61, v111, v90, v61
	v_pk_fma_f16 v88, v112, v64, v88
	v_pk_fma_f16 v56, v112, v90, v56
	v_pk_fma_f16 v54, v113, v64, v54
	v_mul_u32_u24_e32 v64, 0x10001, v89
	v_mul_u32_u24_e32 v89, 0x10001, v91
	v_pk_fma_f16 v7, v113, v90, v7
	v_and_b32_e32 v90, 0xffff, v129
	v_lshrrev_b32_e32 v91, 16, v129
	v_pk_fma_f16 v63, v122, v62, v63
	v_pk_fma_f16 v84, v123, v62, v84
	v_pk_fma_f16 v87, v124, v62, v87
	v_pk_fma_f16 v6, v125, v62, v6
	v_lshrrev_b32_e32 v62, 16, v132
	v_mul_u32_u24_e32 v58, 0x10001, v58
	v_pk_fma_f16 v65, v114, v64, v65
	v_pk_fma_f16 v60, v114, v89, v60
	v_pk_fma_f16 v86, v115, v64, v86
	v_pk_fma_f16 v61, v115, v89, v61
	v_pk_fma_f16 v88, v116, v64, v88
	v_pk_fma_f16 v56, v116, v89, v56
	v_pk_fma_f16 v54, v117, v64, v54
	v_mul_u32_u24_e32 v64, 0x10001, v90
	v_mul_u32_u24_e32 v90, 0x10001, v91
	v_pk_fma_f16 v7, v117, v89, v7
	v_and_b32_e32 v89, 0xffff, v131
	v_lshrrev_b32_e32 v91, 16, v131
	v_mul_u32_u24_e32 v62, 0x10001, v62
	v_pk_fma_f16 v57, v134, v58, v57
	v_pk_fma_f16 v66, v135, v58, v66
	v_pk_fma_f16 v85, v136, v58, v85
	v_pk_fma_f16 v55, v137, v58, v55
	v_and_b32_e32 v58, 0xffff, v150
	v_pk_fma_f16 v65, v118, v64, v65
	v_pk_fma_f16 v60, v118, v90, v60
	v_pk_fma_f16 v86, v119, v64, v86
	v_pk_fma_f16 v61, v119, v90, v61
	v_pk_fma_f16 v88, v120, v64, v88
	v_pk_fma_f16 v56, v120, v90, v56
	v_pk_fma_f16 v54, v121, v64, v54
	v_mul_u32_u24_e32 v64, 0x10001, v89
	v_mul_u32_u24_e32 v89, 0x10001, v91
	v_pk_fma_f16 v7, v121, v90, v7
	v_and_b32_e32 v90, 0xffff, v133
	v_lshrrev_b32_e32 v91, 16, v133
	v_pk_fma_f16 v63, v134, v62, v63
	v_pk_fma_f16 v84, v135, v62, v84
	v_pk_fma_f16 v87, v136, v62, v87
	v_pk_fma_f16 v6, v137, v62, v6
	v_lshrrev_b32_e32 v62, 16, v150
	v_mul_u32_u24_e32 v58, 0x10001, v58
	v_pk_fma_f16 v65, v122, v64, v65
	v_pk_fma_f16 v60, v122, v89, v60
	v_pk_fma_f16 v86, v123, v64, v86
	v_pk_fma_f16 v61, v123, v89, v61
	v_pk_fma_f16 v88, v124, v64, v88
	v_pk_fma_f16 v56, v124, v89, v56
	v_pk_fma_f16 v54, v125, v64, v54
	v_mul_u32_u24_e32 v64, 0x10001, v90
	v_mul_u32_u24_e32 v90, 0x10001, v91
	v_pk_fma_f16 v7, v125, v89, v7
	v_and_b32_e32 v89, 0xffff, v151
	v_lshrrev_b32_e32 v91, 16, v151
	v_mul_u32_u24_e32 v62, 0x10001, v62
	v_pk_fma_f16 v57, v138, v58, v57
	v_pk_fma_f16 v66, v139, v58, v66
	v_pk_fma_f16 v85, v140, v58, v85
	v_pk_fma_f16 v55, v141, v58, v55
	v_and_b32_e32 v58, 0xffff, v152
	v_pk_fma_f16 v65, v134, v64, v65
	v_pk_fma_f16 v60, v134, v90, v60
	v_pk_fma_f16 v86, v135, v64, v86
	v_pk_fma_f16 v61, v135, v90, v61
	v_pk_fma_f16 v88, v136, v64, v88
	v_pk_fma_f16 v56, v136, v90, v56
	v_pk_fma_f16 v54, v137, v64, v54
	v_mul_u32_u24_e32 v64, 0x10001, v89
	v_mul_u32_u24_e32 v89, 0x10001, v91
	v_pk_fma_f16 v7, v137, v90, v7
	v_pk_fma_f16 v63, v138, v62, v63
	v_pk_fma_f16 v84, v139, v62, v84
	v_pk_fma_f16 v87, v140, v62, v87
	v_pk_fma_f16 v6, v141, v62, v6
	v_lshrrev_b32_e32 v62, 16, v152
	v_and_b32_e32 v90, 0xffff, v153
	v_lshrrev_b32_e32 v91, 16, v153
	v_mul_u32_u24_e32 v58, 0x10001, v58
	v_pk_fma_f16 v65, v138, v64, v65
	v_pk_fma_f16 v60, v138, v89, v60
	;; [unrolled: 1-line block ×7, first 2 shown]
	v_mul_u32_u24_e32 v62, 0x10001, v62
	v_mul_u32_u24_e32 v64, 0x10001, v90
	;; [unrolled: 1-line block ×3, first 2 shown]
	v_pk_fma_f16 v7, v141, v89, v7
	v_pk_fma_f16 v57, v142, v58, v57
	;; [unrolled: 1-line block ×5, first 2 shown]
	v_and_b32_e32 v58, 0xffff, v154
	v_and_b32_e32 v89, 0xffff, v155
	v_lshrrev_b32_e32 v91, 16, v155
	v_pk_fma_f16 v63, v142, v62, v63
	v_pk_fma_f16 v65, v142, v64, v65
	;; [unrolled: 1-line block ×8, first 2 shown]
	v_lshrrev_b32_e32 v62, 16, v154
	v_pk_fma_f16 v54, v145, v64, v54
	v_mul_u32_u24_e32 v58, 0x10001, v58
	v_mul_u32_u24_e32 v64, 0x10001, v89
	;; [unrolled: 1-line block ×3, first 2 shown]
	v_pk_fma_f16 v60, v142, v90, v60
	v_pk_fma_f16 v61, v143, v90, v61
	v_mul_u32_u24_e32 v62, 0x10001, v62
	v_pk_fma_f16 v7, v145, v90, v7
	v_pk_fma_f16 v90, v146, v58, v57
	;; [unrolled: 1-line block ×6, first 2 shown]
	v_and_b32_e32 v55, 0xffff, v156
	v_lshrrev_b32_e32 v56, 16, v156
	v_and_b32_e32 v57, 0xffff, v157
	v_pk_fma_f16 v63, v146, v62, v63
	v_pk_fma_f16 v65, v146, v64, v65
	;; [unrolled: 1-line block ×8, first 2 shown]
	v_lshrrev_b32_e32 v62, 16, v157
	v_mul_u32_u24_e32 v93, 0x10001, v55
	v_mul_u32_u24_e32 v94, 0x10001, v56
	;; [unrolled: 1-line block ×3, first 2 shown]
	s_wait_dscnt 0x0
	s_barrier_signal -1
	s_barrier_wait -1
	global_inv scope:SCOPE_SE
	ds_load_b128 v[54:57], v79 offset:256
	v_pk_fma_f16 v60, v146, v89, v60
	v_pk_fma_f16 v61, v147, v89, v61
	v_mul_u32_u24_e32 v96, 0x10001, v62
	v_pk_fma_f16 v98, v158, v94, v63
	v_pk_fma_f16 v7, v149, v89, v7
	v_pk_fma_f16 v101, v159, v94, v84
	v_pk_fma_f16 v102, v159, v95, v86
	v_pk_fma_f16 v99, v158, v96, v60
	v_pk_fma_f16 v103, v159, v96, v61
	ds_load_2addr_b64 v[60:63], v38 offset1:32
	v_pk_fma_f16 v104, v160, v93, v85
	v_pk_fma_f16 v105, v160, v94, v87
	;; [unrolled: 1-line block ×3, first 2 shown]
	ds_load_b128 v[84:87], v79 offset:272
	v_pk_fma_f16 v97, v158, v93, v90
	v_pk_fma_f16 v65, v158, v95, v65
	;; [unrolled: 1-line block ×5, first 2 shown]
	s_wait_dscnt 0x2
	v_and_b32_e32 v88, 0xffff, v54
	v_lshrrev_b32_e32 v54, 16, v54
	v_and_b32_e32 v89, 0xffff, v55
	v_lshrrev_b32_e32 v55, 16, v55
	v_pk_fma_f16 v6, v161, v94, v6
	v_mul_u32_u24_e32 v108, 0x10001, v88
	v_mul_u32_u24_e32 v54, 0x10001, v54
	v_mul_u32_u24_e32 v109, 0x10001, v89
	v_mul_u32_u24_e32 v55, 0x10001, v55
	v_pk_fma_f16 v64, v161, v95, v64
	v_pk_fma_f16 v7, v161, v96, v7
	ds_load_b128 v[88:91], v79 offset:288
	ds_load_b128 v[93:96], v79 offset:304
	s_wait_dscnt 0x3
	v_pk_fma_f16 v110, v60, v108, v97
	v_pk_fma_f16 v111, v60, v54, v98
	v_pk_fma_f16 v65, v60, v109, v65
	v_pk_fma_f16 v60, v60, v55, v99
	ds_load_2addr_b64 v[97:100], v38 offset0:64 offset1:96
	v_pk_fma_f16 v66, v61, v108, v66
	v_pk_fma_f16 v101, v61, v54, v101
	;; [unrolled: 1-line block ×8, first 2 shown]
	v_and_b32_e32 v54, 0xffff, v56
	v_lshrrev_b32_e32 v56, 16, v56
	v_and_b32_e32 v106, 0xffff, v57
	v_lshrrev_b32_e32 v57, 16, v57
	v_pk_fma_f16 v62, v62, v55, v107
	v_pk_fma_f16 v58, v63, v108, v58
	;; [unrolled: 1-line block ×3, first 2 shown]
	v_mul_u32_u24_e32 v107, 0x10001, v54
	v_mul_u32_u24_e32 v108, 0x10001, v56
	;; [unrolled: 1-line block ×3, first 2 shown]
	v_pk_fma_f16 v7, v63, v55, v7
	ds_load_2addr_b64 v[54:57], v38 offset0:128 offset1:160
	v_mul_u32_u24_e32 v106, 0x10001, v106
	s_wait_dscnt 0x1
	v_pk_fma_f16 v63, v97, v107, v110
	v_pk_fma_f16 v110, v97, v108, v111
	;; [unrolled: 1-line block ×12, first 2 shown]
	v_and_b32_e32 v61, 0xffff, v84
	v_lshrrev_b32_e32 v62, 16, v84
	v_and_b32_e32 v84, 0xffff, v85
	v_lshrrev_b32_e32 v85, 16, v85
	v_pk_fma_f16 v64, v100, v106, v64
	v_mul_u32_u24_e32 v105, 0x10001, v61
	v_mul_u32_u24_e32 v106, 0x10001, v62
	;; [unrolled: 1-line block ×4, first 2 shown]
	v_pk_fma_f16 v58, v100, v107, v58
	v_pk_fma_f16 v6, v100, v108, v6
	;; [unrolled: 1-line block ×3, first 2 shown]
	s_wait_dscnt 0x0
	v_pk_fma_f16 v100, v54, v105, v63
	v_pk_fma_f16 v107, v54, v106, v110
	;; [unrolled: 1-line block ×4, first 2 shown]
	ds_load_2addr_b64 v[60:63], v38 offset0:192 offset1:224
	v_pk_fma_f16 v66, v55, v105, v66
	v_pk_fma_f16 v97, v55, v106, v97
	;; [unrolled: 1-line block ×8, first 2 shown]
	v_and_b32_e32 v55, 0xffff, v86
	v_lshrrev_b32_e32 v56, 16, v86
	v_and_b32_e32 v86, 0xffff, v87
	v_lshrrev_b32_e32 v87, 16, v87
	v_pk_fma_f16 v58, v57, v105, v58
	v_pk_fma_f16 v64, v57, v84, v64
	v_mul_u32_u24_e32 v84, 0x10001, v55
	v_mul_u32_u24_e32 v105, 0x10001, v56
	;; [unrolled: 1-line block ×4, first 2 shown]
	v_pk_fma_f16 v6, v57, v106, v6
	v_pk_fma_f16 v7, v57, v85, v7
	s_wait_dscnt 0x0
	v_pk_fma_f16 v85, v60, v84, v100
	v_pk_fma_f16 v100, v60, v105, v107
	v_pk_fma_f16 v65, v60, v86, v65
	v_pk_fma_f16 v60, v60, v87, v54
	ds_load_2addr_b64 v[54:57], v92 offset1:32
	v_pk_fma_f16 v66, v61, v84, v66
	v_pk_fma_f16 v97, v61, v105, v97
	;; [unrolled: 1-line block ×9, first 2 shown]
	v_and_b32_e32 v61, 0xffff, v88
	v_lshrrev_b32_e32 v62, 16, v88
	v_and_b32_e32 v84, 0xffff, v89
	v_lshrrev_b32_e32 v88, 16, v89
	v_pk_fma_f16 v64, v63, v86, v64
	v_mul_u32_u24_e32 v86, 0x10001, v61
	v_mul_u32_u24_e32 v89, 0x10001, v62
	;; [unrolled: 1-line block ×4, first 2 shown]
	v_pk_fma_f16 v6, v63, v105, v6
	v_pk_fma_f16 v7, v63, v87, v7
	s_wait_dscnt 0x0
	v_pk_fma_f16 v85, v54, v86, v85
	v_pk_fma_f16 v87, v54, v89, v100
	;; [unrolled: 1-line block ×4, first 2 shown]
	ds_load_2addr_b64 v[60:63], v92 offset0:64 offset1:96
	v_pk_fma_f16 v66, v55, v86, v66
	v_pk_fma_f16 v97, v55, v89, v97
	v_pk_fma_f16 v100, v55, v84, v101
	v_pk_fma_f16 v98, v55, v88, v98
	v_pk_fma_f16 v101, v56, v86, v102
	v_pk_fma_f16 v102, v56, v89, v103
	v_pk_fma_f16 v103, v56, v84, v104
	v_pk_fma_f16 v99, v56, v88, v99
	v_pk_fma_f16 v58, v57, v86, v58
	v_pk_fma_f16 v6, v57, v89, v6
	v_and_b32_e32 v55, 0xffff, v90
	v_lshrrev_b32_e32 v56, 16, v90
	v_and_b32_e32 v86, 0xffff, v91
	v_lshrrev_b32_e32 v89, 16, v91
	v_pk_fma_f16 v64, v57, v84, v64
	v_mul_u32_u24_e32 v84, 0x10001, v55
	v_mul_u32_u24_e32 v90, 0x10001, v56
	;; [unrolled: 1-line block ×4, first 2 shown]
	v_pk_fma_f16 v7, v57, v88, v7
	s_wait_dscnt 0x0
	v_pk_fma_f16 v85, v60, v84, v85
	v_pk_fma_f16 v87, v60, v90, v87
	;; [unrolled: 1-line block ×4, first 2 shown]
	ds_load_2addr_b64 v[54:57], v92 offset0:128 offset1:160
	v_pk_fma_f16 v66, v61, v84, v66
	v_pk_fma_f16 v88, v61, v90, v97
	;; [unrolled: 1-line block ×10, first 2 shown]
	v_and_b32_e32 v61, 0xffff, v93
	v_lshrrev_b32_e32 v62, 16, v93
	v_and_b32_e32 v84, 0xffff, v94
	v_lshrrev_b32_e32 v90, 16, v94
	v_pk_fma_f16 v64, v63, v86, v64
	v_mul_u32_u24_e32 v86, 0x10001, v61
	v_mul_u32_u24_e32 v93, 0x10001, v62
	v_mul_u32_u24_e32 v84, 0x10001, v84
	v_mul_u32_u24_e32 v90, 0x10001, v90
	v_pk_fma_f16 v7, v63, v89, v7
	s_wait_dscnt 0x0
	v_pk_fma_f16 v89, v54, v86, v85
	v_pk_fma_f16 v94, v54, v93, v87
	;; [unrolled: 1-line block ×4, first 2 shown]
	ds_load_2addr_b64 v[60:63], v92 offset0:192 offset1:224
	v_pk_fma_f16 v66, v55, v86, v66
	v_pk_fma_f16 v88, v55, v93, v88
	;; [unrolled: 1-line block ×10, first 2 shown]
	v_and_b32_e32 v55, 0xffff, v95
	v_lshrrev_b32_e32 v56, 16, v95
	v_pk_fma_f16 v64, v57, v84, v64
	v_and_b32_e32 v93, 0xffff, v96
	v_lshrrev_b32_e32 v95, 16, v96
	ds_load_b128 v[84:87], v79 offset:320
	v_mul_u32_u24_e32 v96, 0x10001, v55
	v_mul_u32_u24_e32 v101, 0x10001, v56
	;; [unrolled: 1-line block ×4, first 2 shown]
	v_pk_fma_f16 v7, v57, v90, v7
	s_wait_dscnt 0x1
	v_pk_fma_f16 v102, v60, v96, v89
	v_pk_fma_f16 v94, v60, v101, v94
	;; [unrolled: 1-line block ×4, first 2 shown]
	ds_load_2addr_b64 v[54:57], v51 offset1:32
	v_pk_fma_f16 v66, v61, v96, v66
	v_pk_fma_f16 v103, v61, v101, v88
	;; [unrolled: 1-line block ×8, first 2 shown]
	ds_load_b128 v[88:91], v79 offset:336
	s_wait_dscnt 0x2
	v_and_b32_e32 v61, 0xffff, v84
	v_lshrrev_b32_e32 v62, 16, v84
	v_and_b32_e32 v84, 0xffff, v85
	v_lshrrev_b32_e32 v85, 16, v85
	v_pk_fma_f16 v58, v63, v96, v58
	v_pk_fma_f16 v64, v63, v93, v64
	v_mul_u32_u24_e32 v93, 0x10001, v61
	v_mul_u32_u24_e32 v96, 0x10001, v62
	v_mul_u32_u24_e32 v84, 0x10001, v84
	v_mul_u32_u24_e32 v85, 0x10001, v85
	v_pk_fma_f16 v6, v63, v101, v6
	v_pk_fma_f16 v7, v63, v95, v7
	s_wait_dscnt 0x1
	v_pk_fma_f16 v95, v54, v93, v102
	v_pk_fma_f16 v94, v54, v96, v94
	;; [unrolled: 1-line block ×4, first 2 shown]
	ds_load_2addr_b64 v[60:63], v51 offset0:64 offset1:96
	v_pk_fma_f16 v66, v55, v93, v66
	v_pk_fma_f16 v101, v55, v96, v103
	;; [unrolled: 1-line block ×8, first 2 shown]
	v_and_b32_e32 v55, 0xffff, v86
	v_lshrrev_b32_e32 v56, 16, v86
	v_and_b32_e32 v86, 0xffff, v87
	v_lshrrev_b32_e32 v87, 16, v87
	v_pk_fma_f16 v58, v57, v93, v58
	v_pk_fma_f16 v64, v57, v84, v64
	v_mul_u32_u24_e32 v84, 0x10001, v55
	v_mul_u32_u24_e32 v93, 0x10001, v56
	;; [unrolled: 1-line block ×4, first 2 shown]
	v_pk_fma_f16 v6, v57, v96, v6
	v_pk_fma_f16 v7, v57, v85, v7
	s_wait_dscnt 0x0
	v_pk_fma_f16 v85, v60, v84, v95
	v_pk_fma_f16 v94, v60, v93, v94
	;; [unrolled: 1-line block ×4, first 2 shown]
	ds_load_2addr_b64 v[54:57], v51 offset0:128 offset1:160
	v_pk_fma_f16 v66, v61, v84, v66
	v_pk_fma_f16 v95, v61, v93, v101
	v_pk_fma_f16 v96, v61, v86, v102
	v_pk_fma_f16 v92, v61, v87, v92
	v_pk_fma_f16 v97, v62, v84, v97
	v_pk_fma_f16 v98, v62, v93, v98
	v_pk_fma_f16 v100, v62, v86, v100
	v_pk_fma_f16 v99, v62, v87, v99
	v_pk_fma_f16 v58, v63, v84, v58
	v_and_b32_e32 v61, 0xffff, v88
	v_lshrrev_b32_e32 v62, 16, v88
	v_and_b32_e32 v84, 0xffff, v89
	v_lshrrev_b32_e32 v88, 16, v89
	v_pk_fma_f16 v64, v63, v86, v64
	v_mul_u32_u24_e32 v86, 0x10001, v61
	v_mul_u32_u24_e32 v89, 0x10001, v62
	;; [unrolled: 1-line block ×4, first 2 shown]
	v_pk_fma_f16 v6, v63, v93, v6
	v_pk_fma_f16 v7, v63, v87, v7
	s_wait_dscnt 0x0
	v_pk_fma_f16 v93, v54, v86, v85
	v_pk_fma_f16 v94, v54, v89, v94
	;; [unrolled: 1-line block ×4, first 2 shown]
	ds_load_2addr_b64 v[60:63], v51 offset0:192 offset1:224
	v_pk_fma_f16 v66, v55, v86, v66
	v_pk_fma_f16 v95, v55, v89, v95
	;; [unrolled: 1-line block ×10, first 2 shown]
	v_and_b32_e32 v55, 0xffff, v90
	v_lshrrev_b32_e32 v56, 16, v90
	v_pk_fma_f16 v64, v57, v84, v64
	v_and_b32_e32 v89, 0xffff, v91
	v_lshrrev_b32_e32 v90, 16, v91
	ds_load_b128 v[84:87], v79 offset:352
	v_mul_u32_u24_e32 v91, 0x10001, v55
	v_mul_u32_u24_e32 v100, 0x10001, v56
	;; [unrolled: 1-line block ×4, first 2 shown]
	v_pk_fma_f16 v7, v57, v88, v7
	s_wait_dscnt 0x1
	v_pk_fma_f16 v93, v60, v91, v93
	v_pk_fma_f16 v94, v60, v100, v94
	;; [unrolled: 1-line block ×4, first 2 shown]
	ds_load_2addr_b64 v[54:57], v52 offset1:32
	v_pk_fma_f16 v66, v61, v91, v66
	v_pk_fma_f16 v95, v61, v100, v95
	;; [unrolled: 1-line block ×9, first 2 shown]
	ds_load_b128 v[88:91], v79 offset:368
	s_wait_dscnt 0x2
	v_and_b32_e32 v61, 0xffff, v84
	v_lshrrev_b32_e32 v62, 16, v84
	v_and_b32_e32 v84, 0xffff, v85
	v_lshrrev_b32_e32 v85, 16, v85
	v_pk_fma_f16 v6, v63, v100, v6
	v_pk_fma_f16 v64, v63, v101, v64
	v_mul_u32_u24_e32 v100, 0x10001, v61
	v_mul_u32_u24_e32 v101, 0x10001, v62
	;; [unrolled: 1-line block ×4, first 2 shown]
	v_pk_fma_f16 v7, v63, v102, v7
	s_wait_dscnt 0x1
	v_pk_fma_f16 v93, v54, v100, v93
	v_pk_fma_f16 v94, v54, v101, v94
	;; [unrolled: 1-line block ×4, first 2 shown]
	ds_load_2addr_b64 v[60:63], v52 offset0:64 offset1:96
	v_pk_fma_f16 v66, v55, v100, v66
	v_pk_fma_f16 v95, v55, v101, v95
	;; [unrolled: 1-line block ×8, first 2 shown]
	v_and_b32_e32 v55, 0xffff, v86
	v_lshrrev_b32_e32 v56, 16, v86
	v_and_b32_e32 v86, 0xffff, v87
	v_lshrrev_b32_e32 v87, 16, v87
	v_pk_fma_f16 v58, v57, v100, v58
	v_pk_fma_f16 v64, v57, v84, v64
	v_mul_u32_u24_e32 v84, 0x10001, v55
	v_mul_u32_u24_e32 v100, 0x10001, v56
	;; [unrolled: 1-line block ×4, first 2 shown]
	v_pk_fma_f16 v6, v57, v101, v6
	v_pk_fma_f16 v7, v57, v85, v7
	s_wait_dscnt 0x0
	v_pk_fma_f16 v85, v60, v84, v93
	v_pk_fma_f16 v93, v60, v100, v94
	;; [unrolled: 1-line block ×4, first 2 shown]
	ds_load_2addr_b64 v[54:57], v52 offset0:128 offset1:160
	v_pk_fma_f16 v66, v61, v84, v66
	v_pk_fma_f16 v94, v61, v100, v95
	;; [unrolled: 1-line block ×9, first 2 shown]
	v_and_b32_e32 v61, 0xffff, v88
	v_lshrrev_b32_e32 v62, 16, v88
	v_and_b32_e32 v84, 0xffff, v89
	v_lshrrev_b32_e32 v88, 16, v89
	v_pk_fma_f16 v64, v63, v86, v64
	v_mul_u32_u24_e32 v86, 0x10001, v61
	v_mul_u32_u24_e32 v89, 0x10001, v62
	;; [unrolled: 1-line block ×4, first 2 shown]
	v_pk_fma_f16 v6, v63, v100, v6
	v_pk_fma_f16 v7, v63, v87, v7
	s_wait_dscnt 0x0
	v_pk_fma_f16 v99, v54, v86, v85
	v_pk_fma_f16 v93, v54, v89, v93
	;; [unrolled: 1-line block ×4, first 2 shown]
	ds_load_2addr_b64 v[60:63], v52 offset0:192 offset1:224
	v_pk_fma_f16 v66, v55, v86, v66
	v_pk_fma_f16 v94, v55, v89, v94
	;; [unrolled: 1-line block ×10, first 2 shown]
	v_and_b32_e32 v55, 0xffff, v90
	v_lshrrev_b32_e32 v56, 16, v90
	v_pk_fma_f16 v64, v57, v84, v64
	v_and_b32_e32 v89, 0xffff, v91
	v_lshrrev_b32_e32 v90, 16, v91
	ds_load_b128 v[84:87], v79 offset:384
	v_mul_u32_u24_e32 v91, 0x10001, v55
	v_mul_u32_u24_e32 v98, 0x10001, v56
	;; [unrolled: 1-line block ×4, first 2 shown]
	v_pk_fma_f16 v7, v57, v88, v7
	s_wait_dscnt 0x1
	v_pk_fma_f16 v99, v60, v91, v99
	v_pk_fma_f16 v93, v60, v98, v93
	;; [unrolled: 1-line block ×4, first 2 shown]
	ds_load_2addr_b64 v[54:57], v53 offset1:32
	v_pk_fma_f16 v66, v61, v91, v66
	v_pk_fma_f16 v94, v61, v98, v94
	v_pk_fma_f16 v51, v61, v100, v51
	v_pk_fma_f16 v52, v61, v101, v52
	v_pk_fma_f16 v92, v62, v91, v92
	v_pk_fma_f16 v95, v62, v98, v95
	v_pk_fma_f16 v96, v62, v100, v96
	v_pk_fma_f16 v97, v62, v101, v97
	v_pk_fma_f16 v58, v63, v91, v58
	ds_load_b128 v[88:91], v79 offset:400
	s_wait_dscnt 0x2
	v_and_b32_e32 v61, 0xffff, v84
	v_lshrrev_b32_e32 v62, 16, v84
	v_and_b32_e32 v84, 0xffff, v85
	v_lshrrev_b32_e32 v85, 16, v85
	v_pk_fma_f16 v6, v63, v98, v6
	v_pk_fma_f16 v64, v63, v100, v64
	v_mul_u32_u24_e32 v98, 0x10001, v61
	v_mul_u32_u24_e32 v100, 0x10001, v62
	;; [unrolled: 1-line block ×4, first 2 shown]
	v_pk_fma_f16 v7, v63, v101, v7
	s_wait_dscnt 0x1
	v_pk_fma_f16 v99, v54, v98, v99
	v_pk_fma_f16 v93, v54, v100, v93
	;; [unrolled: 1-line block ×4, first 2 shown]
	ds_load_2addr_b64 v[60:63], v53 offset0:64 offset1:96
	v_pk_fma_f16 v66, v55, v98, v66
	v_pk_fma_f16 v94, v55, v100, v94
	;; [unrolled: 1-line block ×8, first 2 shown]
	v_and_b32_e32 v55, 0xffff, v86
	v_lshrrev_b32_e32 v56, 16, v86
	v_and_b32_e32 v86, 0xffff, v87
	v_lshrrev_b32_e32 v87, 16, v87
	v_pk_fma_f16 v58, v57, v98, v58
	v_pk_fma_f16 v64, v57, v84, v64
	v_mul_u32_u24_e32 v84, 0x10001, v55
	v_mul_u32_u24_e32 v98, 0x10001, v56
	;; [unrolled: 1-line block ×4, first 2 shown]
	v_pk_fma_f16 v6, v57, v100, v6
	v_pk_fma_f16 v7, v57, v85, v7
	s_wait_dscnt 0x0
	v_pk_fma_f16 v85, v60, v84, v99
	v_pk_fma_f16 v93, v60, v98, v93
	;; [unrolled: 1-line block ×4, first 2 shown]
	ds_load_2addr_b64 v[54:57], v53 offset0:128 offset1:160
	v_pk_fma_f16 v66, v61, v84, v66
	v_pk_fma_f16 v94, v61, v98, v94
	;; [unrolled: 1-line block ×6, first 2 shown]
	v_and_b32_e32 v51, 0xffff, v88
	v_lshrrev_b32_e32 v52, 16, v88
	v_and_b32_e32 v84, 0xffff, v89
	v_lshrrev_b32_e32 v88, 16, v89
	v_pk_fma_f16 v95, v62, v98, v95
	v_pk_fma_f16 v96, v62, v86, v96
	;; [unrolled: 1-line block ×4, first 2 shown]
	v_mul_u32_u24_e32 v86, 0x10001, v51
	v_mul_u32_u24_e32 v89, 0x10001, v52
	;; [unrolled: 1-line block ×4, first 2 shown]
	v_pk_fma_f16 v6, v63, v98, v6
	v_pk_fma_f16 v7, v63, v87, v7
	s_wait_dscnt 0x0
	v_pk_fma_f16 v85, v54, v86, v85
	v_pk_fma_f16 v87, v54, v89, v93
	;; [unrolled: 1-line block ×4, first 2 shown]
	ds_load_2addr_b64 v[51:54], v53 offset0:192 offset1:224
	v_pk_fma_f16 v97, v55, v84, v99
	v_pk_fma_f16 v98, v55, v88, v61
	v_pk_fma_f16 v99, v56, v88, v62
	ds_load_b128 v[60:63], v79 offset:416
	v_pk_fma_f16 v66, v55, v86, v66
	v_pk_fma_f16 v94, v55, v89, v94
	;; [unrolled: 1-line block ×6, first 2 shown]
	v_and_b32_e32 v55, 0xffff, v90
	v_lshrrev_b32_e32 v56, 16, v90
	v_and_b32_e32 v58, 0xffff, v91
	v_pk_fma_f16 v6, v57, v89, v6
	v_pk_fma_f16 v64, v57, v84, v64
	v_lshrrev_b32_e32 v84, 16, v91
	v_mul_u32_u24_e32 v89, 0x10001, v55
	v_mul_u32_u24_e32 v90, 0x10001, v56
	;; [unrolled: 1-line block ×3, first 2 shown]
	v_pk_fma_f16 v7, v57, v88, v7
	ds_load_2addr_b64 v[55:58], v50 offset1:32
	v_mul_u32_u24_e32 v100, 0x10001, v84
	s_wait_dscnt 0x2
	v_pk_fma_f16 v88, v51, v89, v85
	v_pk_fma_f16 v101, v51, v90, v87
	;; [unrolled: 1-line block ×13, first 2 shown]
	ds_load_b128 v[84:87], v79 offset:432
	s_wait_dscnt 0x2
	v_and_b32_e32 v52, 0xffff, v60
	v_lshrrev_b32_e32 v53, 16, v60
	v_and_b32_e32 v60, 0xffff, v61
	v_lshrrev_b32_e32 v61, 16, v61
	v_pk_fma_f16 v6, v54, v90, v6
	v_pk_fma_f16 v64, v54, v91, v64
	v_mul_u32_u24_e32 v90, 0x10001, v52
	v_mul_u32_u24_e32 v91, 0x10001, v53
	;; [unrolled: 1-line block ×4, first 2 shown]
	v_pk_fma_f16 v7, v54, v100, v7
	s_wait_dscnt 0x1
	v_pk_fma_f16 v88, v55, v90, v88
	v_pk_fma_f16 v99, v55, v91, v101
	;; [unrolled: 1-line block ×4, first 2 shown]
	ds_load_2addr_b64 v[51:54], v50 offset0:64 offset1:96
	v_pk_fma_f16 v66, v56, v90, v66
	v_pk_fma_f16 v93, v56, v91, v93
	;; [unrolled: 1-line block ×8, first 2 shown]
	v_and_b32_e32 v56, 0xffff, v62
	v_lshrrev_b32_e32 v57, 16, v62
	v_and_b32_e32 v62, 0xffff, v63
	v_lshrrev_b32_e32 v63, 16, v63
	v_pk_fma_f16 v89, v58, v90, v89
	v_pk_fma_f16 v60, v58, v60, v64
	v_mul_u32_u24_e32 v64, 0x10001, v56
	v_mul_u32_u24_e32 v90, 0x10001, v57
	;; [unrolled: 1-line block ×4, first 2 shown]
	v_pk_fma_f16 v6, v58, v91, v6
	v_pk_fma_f16 v7, v58, v61, v7
	s_wait_dscnt 0x0
	v_pk_fma_f16 v61, v51, v64, v88
	v_pk_fma_f16 v88, v51, v90, v99
	;; [unrolled: 1-line block ×4, first 2 shown]
	ds_load_2addr_b64 v[55:58], v50 offset0:128 offset1:160
	v_pk_fma_f16 v66, v52, v64, v66
	v_pk_fma_f16 v91, v52, v90, v93
	;; [unrolled: 1-line block ×8, first 2 shown]
	v_and_b32_e32 v52, 0xffff, v84
	v_lshrrev_b32_e32 v53, 16, v84
	v_and_b32_e32 v84, 0xffff, v85
	v_lshrrev_b32_e32 v85, 16, v85
	v_pk_fma_f16 v64, v54, v64, v89
	v_pk_fma_f16 v60, v54, v62, v60
	v_mul_u32_u24_e32 v89, 0x10001, v53
	v_mul_u32_u24_e32 v62, 0x10001, v52
	;; [unrolled: 1-line block ×4, first 2 shown]
	v_pk_fma_f16 v7, v54, v63, v7
	s_wait_dscnt 0x0
	v_pk_fma_f16 v63, v55, v89, v88
	v_pk_fma_f16 v6, v54, v90, v6
	;; [unrolled: 1-line block ×3, first 2 shown]
	ds_load_2addr_b64 v[50:53], v50 offset0:192 offset1:224
	v_pk_fma_f16 v61, v55, v62, v61
	v_pk_fma_f16 v65, v55, v84, v65
	v_and_b32_e32 v54, 0xffff, v86
	v_lshrrev_b32_e32 v55, 16, v86
	v_pk_fma_f16 v66, v56, v62, v66
	v_pk_fma_f16 v90, v56, v89, v91
	v_pk_fma_f16 v91, v56, v84, v93
	v_pk_fma_f16 v93, v56, v85, v94
	v_pk_fma_f16 v92, v57, v62, v92
	v_pk_fma_f16 v94, v57, v89, v95
	v_pk_fma_f16 v95, v57, v84, v96
	v_pk_fma_f16 v96, v57, v85, v97
	v_pk_fma_f16 v6, v58, v89, v6
	v_pk_fma_f16 v89, v58, v84, v60
	v_mul_u32_u24_e32 v84, 0x10001, v54
	v_mul_u32_u24_e32 v86, 0x10001, v55
	ds_load_b128 v[54:57], v79 offset:448
	v_pk_fma_f16 v64, v58, v62, v64
	v_and_b32_e32 v60, 0xffff, v87
	v_lshrrev_b32_e32 v62, 16, v87
	v_pk_fma_f16 v7, v58, v85, v7
	s_wait_dscnt 0x1
	v_pk_fma_f16 v58, v50, v84, v61
	v_pk_fma_f16 v99, v50, v86, v63
	v_mul_u32_u24_e32 v97, 0x10001, v60
	v_mul_u32_u24_e32 v98, 0x10001, v62
	ds_load_2addr_b64 v[60:63], v5 offset1:32
	v_pk_fma_f16 v66, v51, v84, v66
	v_pk_fma_f16 v92, v52, v84, v92
	v_pk_fma_f16 v65, v50, v97, v65
	v_pk_fma_f16 v50, v50, v98, v88
	v_pk_fma_f16 v88, v51, v86, v90
	v_pk_fma_f16 v90, v51, v97, v91
	v_pk_fma_f16 v91, v51, v98, v93
	v_pk_fma_f16 v93, v52, v86, v94
	v_pk_fma_f16 v94, v52, v97, v95
	v_pk_fma_f16 v95, v52, v98, v96
	v_pk_fma_f16 v64, v53, v84, v64
	v_pk_fma_f16 v6, v53, v86, v6
	ds_load_b128 v[84:87], v79 offset:464
	s_wait_dscnt 0x2
	v_and_b32_e32 v51, 0xffff, v54
	v_lshrrev_b32_e32 v52, 16, v54
	v_and_b32_e32 v54, 0xffff, v55
	v_lshrrev_b32_e32 v55, 16, v55
	v_pk_fma_f16 v89, v53, v97, v89
	v_mul_u32_u24_e32 v96, 0x10001, v51
	v_mul_u32_u24_e32 v97, 0x10001, v52
	;; [unrolled: 1-line block ×4, first 2 shown]
	v_pk_fma_f16 v7, v53, v98, v7
	s_wait_dscnt 0x1
	v_pk_fma_f16 v58, v60, v96, v58
	v_pk_fma_f16 v98, v60, v97, v99
	;; [unrolled: 1-line block ×4, first 2 shown]
	ds_load_2addr_b64 v[50:53], v5 offset0:64 offset1:96
	v_pk_fma_f16 v66, v61, v96, v66
	v_pk_fma_f16 v88, v61, v97, v88
	;; [unrolled: 1-line block ×8, first 2 shown]
	v_and_b32_e32 v94, 0xffff, v56
	v_lshrrev_b32_e32 v56, 16, v56
	v_and_b32_e32 v95, 0xffff, v57
	v_lshrrev_b32_e32 v57, 16, v57
	v_pk_fma_f16 v64, v63, v96, v64
	v_pk_fma_f16 v6, v63, v97, v6
	;; [unrolled: 1-line block ×3, first 2 shown]
	v_mul_u32_u24_e32 v96, 0x10001, v56
	v_mul_u32_u24_e32 v97, 0x10001, v57
	v_pk_fma_f16 v7, v63, v55, v7
	ds_load_2addr_b64 v[54:57], v5 offset0:128 offset1:160
	v_mul_u32_u24_e32 v94, 0x10001, v94
	v_mul_u32_u24_e32 v95, 0x10001, v95
	s_wait_dscnt 0x1
	v_pk_fma_f16 v63, v50, v96, v98
	v_pk_fma_f16 v61, v51, v97, v61
	;; [unrolled: 1-line block ×12, first 2 shown]
	v_and_b32_e32 v51, 0xffff, v84
	v_lshrrev_b32_e32 v52, 16, v84
	v_and_b32_e32 v84, 0xffff, v85
	v_lshrrev_b32_e32 v85, 16, v85
	v_pk_fma_f16 v64, v53, v94, v64
	v_mul_u32_u24_e32 v93, 0x10001, v51
	v_mul_u32_u24_e32 v94, 0x10001, v52
	;; [unrolled: 1-line block ×4, first 2 shown]
	v_pk_fma_f16 v6, v53, v96, v6
	v_pk_fma_f16 v89, v53, v95, v89
	;; [unrolled: 1-line block ×3, first 2 shown]
	s_wait_dscnt 0x0
	v_pk_fma_f16 v58, v54, v93, v58
	v_pk_fma_f16 v95, v54, v94, v63
	;; [unrolled: 1-line block ×4, first 2 shown]
	ds_load_2addr_b64 v[50:53], v5 offset0:192 offset1:224
	v_pk_fma_f16 v96, v55, v93, v60
	v_pk_fma_f16 v66, v55, v94, v66
	;; [unrolled: 1-line block ×8, first 2 shown]
	v_and_b32_e32 v55, 0xffff, v86
	v_lshrrev_b32_e32 v56, 16, v86
	v_pk_fma_f16 v89, v57, v84, v89
	v_and_b32_e32 v84, 0xffff, v87
	v_lshrrev_b32_e32 v86, 16, v87
	ds_load_b128 v[60:63], v79 offset:480
	v_pk_fma_f16 v64, v57, v93, v64
	v_pk_fma_f16 v6, v57, v94, v6
	v_mul_u32_u24_e32 v87, 0x10001, v55
	v_mul_u32_u24_e32 v93, 0x10001, v56
	;; [unrolled: 1-line block ×4, first 2 shown]
	v_pk_fma_f16 v7, v57, v85, v7
	s_wait_dscnt 0x1
	v_pk_fma_f16 v58, v50, v87, v58
	v_pk_fma_f16 v95, v50, v93, v95
	;; [unrolled: 1-line block ×4, first 2 shown]
	ds_load_2addr_b64 v[54:57], v4 offset1:32
	v_pk_fma_f16 v96, v51, v87, v96
	v_pk_fma_f16 v66, v51, v93, v66
	;; [unrolled: 1-line block ×9, first 2 shown]
	ds_load_b128 v[84:87], v79 offset:496
	s_wait_dscnt 0x2
	v_and_b32_e32 v51, 0xffff, v60
	v_lshrrev_b32_e32 v52, 16, v60
	v_and_b32_e32 v60, 0xffff, v61
	v_lshrrev_b32_e32 v61, 16, v61
	v_pk_fma_f16 v6, v53, v93, v6
	v_pk_fma_f16 v89, v53, v94, v89
	v_mul_u32_u24_e32 v93, 0x10001, v51
	v_mul_u32_u24_e32 v94, 0x10001, v52
	;; [unrolled: 1-line block ×4, first 2 shown]
	v_pk_fma_f16 v7, v53, v98, v7
	s_wait_dscnt 0x1
	v_pk_fma_f16 v58, v54, v93, v58
	v_pk_fma_f16 v95, v54, v94, v95
	;; [unrolled: 1-line block ×4, first 2 shown]
	ds_load_2addr_b64 v[50:53], v4 offset0:64 offset1:96
	v_pk_fma_f16 v96, v55, v93, v96
	v_pk_fma_f16 v66, v55, v94, v66
	;; [unrolled: 1-line block ×8, first 2 shown]
	v_and_b32_e32 v55, 0xffff, v62
	v_lshrrev_b32_e32 v56, 16, v62
	v_and_b32_e32 v62, 0xffff, v63
	v_lshrrev_b32_e32 v63, 16, v63
	v_pk_fma_f16 v64, v57, v93, v64
	v_pk_fma_f16 v60, v57, v60, v89
	v_mul_u32_u24_e32 v89, 0x10001, v55
	v_mul_u32_u24_e32 v93, 0x10001, v56
	;; [unrolled: 1-line block ×4, first 2 shown]
	v_pk_fma_f16 v6, v57, v94, v6
	v_pk_fma_f16 v7, v57, v61, v7
	s_wait_dscnt 0x0
	v_pk_fma_f16 v58, v50, v89, v58
	v_pk_fma_f16 v61, v50, v93, v95
	;; [unrolled: 1-line block ×4, first 2 shown]
	ds_load_2addr_b64 v[54:57], v4 offset0:128 offset1:160
	v_pk_fma_f16 v94, v51, v89, v96
	v_pk_fma_f16 v66, v51, v93, v66
	v_pk_fma_f16 v5, v51, v62, v5
	v_pk_fma_f16 v51, v51, v63, v88
	v_pk_fma_f16 v88, v52, v89, v90
	v_pk_fma_f16 v90, v52, v93, v91
	v_pk_fma_f16 v91, v52, v62, v92
	v_pk_fma_f16 v64, v53, v89, v64
	v_pk_fma_f16 v89, v53, v93, v6
	v_and_b32_e32 v6, 0xffff, v84
	v_and_b32_e32 v92, 0xffff, v85
	v_pk_fma_f16 v60, v53, v62, v60
	v_lshrrev_b32_e32 v84, 16, v84
	v_lshrrev_b32_e32 v85, 16, v85
	v_mul_u32_u24_e32 v62, 0x10001, v6
	v_mul_u32_u24_e32 v92, 0x10001, v92
	v_pk_fma_f16 v52, v52, v63, v97
	v_pk_fma_f16 v53, v53, v63, v7
	v_mul_u32_u24_e32 v84, 0x10001, v84
	v_mul_u32_u24_e32 v85, 0x10001, v85
	s_wait_dscnt 0x0
	v_pk_fma_f16 v63, v54, v92, v65
	v_pk_fma_f16 v65, v55, v62, v94
	;; [unrolled: 1-line block ×3, first 2 shown]
	ds_load_2addr_b64 v[4:7], v4 offset0:192 offset1:224
	s_wait_loadcnt_dscnt 0x0
	s_barrier_signal -1
	s_barrier_wait -1
	global_inv scope:SCOPE_SE
	s_load_b32 s9, s[6:7], 0x4
	v_pk_fma_f16 v58, v54, v62, v58
	v_pk_fma_f16 v61, v54, v84, v61
	;; [unrolled: 1-line block ×3, first 2 shown]
	v_and_b32_e32 v50, 0xffff, v86
	v_pk_fma_f16 v93, v55, v84, v66
	v_pk_fma_f16 v51, v55, v85, v51
	v_pk_fma_f16 v88, v56, v62, v88
	v_pk_fma_f16 v90, v56, v84, v90
	v_pk_fma_f16 v91, v56, v92, v91
	v_pk_fma_f16 v52, v56, v85, v52
	v_lshrrev_b32_e32 v55, 16, v86
	v_lshrrev_b32_e32 v56, 16, v87
	v_mul_u32_u24_e32 v86, 0x10001, v50
	v_and_b32_e32 v50, 0xffff, v87
	v_pk_fma_f16 v95, v57, v62, v64
	v_pk_fma_f16 v84, v57, v84, v89
	;; [unrolled: 1-line block ×3, first 2 shown]
	v_mul_u32_u24_e32 v87, 0x10001, v55
	v_mul_u32_u24_e32 v92, 0x10001, v50
	;; [unrolled: 1-line block ×3, first 2 shown]
	v_pk_fma_f16 v85, v57, v85, v53
	s_wait_kmcnt 0x0
	s_lshl_b32 s9, s9, 6
	v_pk_fma_f16 v62, v4, v86, v58
	v_pk_fma_f16 v58, v4, v87, v61
	;; [unrolled: 1-line block ×16, first 2 shown]
	s_add_co_i32 s24, s9, s24
	s_wait_alu 0xfffe
	s_cmp_lt_i32 s24, s3
	s_cbranch_scc0 .LBB42_28
; %bb.26:                               ;   in Loop: Header=BB42_8 Depth=1
	v_dual_mov_b32 v89, v0 :: v_dual_mov_b32 v90, v2
	v_dual_mov_b32 v91, v1 :: v_dual_mov_b32 v88, v3
	;; [unrolled: 1-line block ×4, first 2 shown]
	s_branch .LBB42_8
.LBB42_27:
	v_dual_mov_b32 v0, 0xfeffffff :: v_dual_mov_b32 v43, 0
	v_mov_b32_e32 v62, 0
	v_mov_b32_e32 v42, 0
	v_dual_mov_b32 v44, 0 :: v_dual_mov_b32 v63, 0
	s_delay_alu instid0(VALU_DEP_4)
	v_dual_mov_b32 v1, v0 :: v_dual_mov_b32 v2, v0
	v_mov_b32_e32 v65, 0
	v_dual_mov_b32 v3, v0 :: v_dual_mov_b32 v66, 0
	v_dual_mov_b32 v61, 0 :: v_dual_mov_b32 v64, 0
	;; [unrolled: 1-line block ×6, first 2 shown]
	v_mov_b32_e32 v56, 0
	v_mov_b32_e32 v52, 0
.LBB42_28:
	s_cmp_gt_i32 s2, s24
	s_cbranch_scc1 .LBB42_31
; %bb.29:
	v_mbcnt_lo_u32_b32 v4, -1, 0
	v_mov_b32_e32 v70, 32
	s_delay_alu instid0(VALU_DEP_2)
	v_xor_b32_e32 v71, 16, v4
	v_xor_b32_e32 v69, 8, v4
	;; [unrolled: 1-line block ×5, first 2 shown]
	s_cbranch_execz .LBB42_32
; %bb.30:
	v_mov_b32_e32 v36, v4
	s_branch .LBB42_72
.LBB42_31:
                                        ; implicit-def: $vgpr4
                                        ; implicit-def: $vgpr70
                                        ; implicit-def: $vgpr71
                                        ; implicit-def: $vgpr69
                                        ; implicit-def: $vgpr25
                                        ; implicit-def: $vgpr24
                                        ; implicit-def: $vgpr23
.LBB42_32:
	v_lshl_add_u32 v18, v39, 1, v68
	s_ashr_i32 s25, s24, 31
	s_ashr_i32 s29, s28, 31
	v_dual_mov_b32 v19, 0 :: v_dual_lshlrev_b32 v22, 2, v67
	s_delay_alu instid0(VALU_DEP_2)
	v_mul_lo_u32 v9, s28, v18
	s_wait_alu 0xfffe
	s_mul_u64 s[8:9], s[24:25], s[28:29]
	s_sub_co_i32 s29, s2, s24
	s_lshl_b64 s[2:3], s[8:9], 2
	s_mov_b32 s40, 0
	s_add_nc_u64 s[8:9], s[4:5], s[2:3]
	s_wait_alu 0xfffe
	v_cmp_gt_i32_e64 s4, s29, v18
	s_mov_b64 s[6:7], src_private_base
	v_ashrrev_i32_e32 v10, 31, v9
	s_mov_b32 s41, s40
	s_mov_b32 s42, s40
	s_lshl_b32 s3, s28, 4
	v_add_nc_u32_e32 v23, 32, v18
	v_lshlrev_b64_e32 v[4:5], 2, v[9:10]
	s_cmp_lg_u64 s[38:39], 0
	v_add_nc_u32_e32 v15, s3, v9
	s_delay_alu instid0(VALU_DEP_2) | instskip(SKIP_1) | instid1(VALU_DEP_3)
	v_add_co_u32 v4, vcc_lo, s8, v4
	s_wait_alu 0xfffd
	v_add_co_ci_u32_e64 v5, null, s9, v5, vcc_lo
	s_delay_alu instid0(VALU_DEP_3) | instskip(NEXT) | instid1(VALU_DEP_3)
	v_ashrrev_i32_e32 v16, 31, v15
	v_add_co_u32 v24, vcc_lo, v4, v22
	s_wait_alu 0xfffd
	s_delay_alu instid0(VALU_DEP_3) | instskip(SKIP_3) | instid1(VALU_DEP_3)
	v_add_co_ci_u32_e64 v25, null, 0, v5, vcc_lo
	s_wait_alu 0xfffe
	v_dual_mov_b32 v4, s40 :: v_dual_mov_b32 v5, s41
	v_mov_b32_e32 v6, s42
	v_cndmask_b32_e64 v11, s7, v25, s4
	v_cndmask_b32_e64 v10, 0, v24, s4
	s_clause 0x1
	scratch_store_b32 off, v19, off
	scratch_store_b96 off, v[4:6], off offset:4
	v_add_co_u32 v24, s5, 0x100, v24
	flat_load_b128 v[11:14], v[10:11]
	v_lshlrev_b64_e32 v[9:10], 2, v[15:16]
	v_add_nc_u32_e32 v16, 16, v18
	s_clause 0x1
	scratch_store_b32 off, v19, off
	scratch_store_b96 off, v[4:6], off offset:4
	s_wait_alu 0xf1ff
	v_add_co_ci_u32_e64 v25, null, 0, v25, s5
	v_cndmask_b32_e64 v24, 0, v24, s4
	v_add_co_u32 v7, vcc_lo, s8, v9
	s_wait_alu 0xfffd
	v_add_co_ci_u32_e64 v10, null, s9, v10, vcc_lo
	v_cndmask_b32_e64 v25, s7, v25, s4
	s_delay_alu instid0(VALU_DEP_3) | instskip(SKIP_1) | instid1(VALU_DEP_3)
	v_add_co_u32 v9, vcc_lo, v7, v22
	s_wait_alu 0xfffd
	v_add_co_ci_u32_e64 v10, null, 0, v10, vcc_lo
	v_cmp_gt_i32_e32 vcc_lo, s29, v16
	v_mad_u32_u24 v7, 0x110, v18, v22
	s_wait_alu 0xfffd
	v_dual_cndmask_b32 v16, 0, v9 :: v_dual_add_nc_u32 v15, s3, v15
	v_cndmask_b32_e32 v17, s7, v10, vcc_lo
	v_add_co_u32 v9, s4, 0x100, v9
	s_wait_alu 0xf1ff
	v_add_co_ci_u32_e64 v10, null, 0, v10, s4
	s_delay_alu instid0(VALU_DEP_2) | instskip(NEXT) | instid1(VALU_DEP_2)
	v_cndmask_b32_e32 v9, 0, v9, vcc_lo
	v_cndmask_b32_e32 v10, s7, v10, vcc_lo
	s_wait_loadcnt_dscnt 0x0
	ds_store_b128 v7, v[11:14]
	flat_load_b128 v[11:14], v[16:17]
	v_ashrrev_i32_e32 v16, 31, v15
	s_clause 0x1
	scratch_store_b32 off, v19, off
	scratch_store_b96 off, v[4:6], off offset:4
	v_lshlrev_b64_e32 v[16:17], 2, v[15:16]
	v_add_nc_u32_e32 v15, s3, v15
	s_delay_alu instid0(VALU_DEP_2) | instskip(SKIP_1) | instid1(VALU_DEP_3)
	v_add_co_u32 v16, s2, s8, v16
	s_wait_alu 0xf1ff
	v_add_co_ci_u32_e64 v17, null, s9, v17, s2
	s_delay_alu instid0(VALU_DEP_2) | instskip(SKIP_1) | instid1(VALU_DEP_2)
	v_add_co_u32 v20, s2, v16, v22
	s_wait_alu 0xf1ff
	v_add_co_ci_u32_e64 v21, null, 0, v17, s2
	v_cmp_gt_i32_e64 s2, s29, v23
	s_wait_alu 0xf1ff
	s_delay_alu instid0(VALU_DEP_1)
	v_cndmask_b32_e64 v17, s7, v21, s2
	v_cndmask_b32_e64 v16, 0, v20, s2
	s_wait_loadcnt_dscnt 0x0
	ds_store_b128 v7, v[11:14] offset:4352
	flat_load_b128 v[11:14], v[16:17]
	v_ashrrev_i32_e32 v16, 31, v15
	v_add_nc_u32_e32 v17, 48, v18
	s_clause 0x1
	scratch_store_b32 off, v19, off
	scratch_store_b96 off, v[4:6], off offset:4
	v_mov_b32_e32 v18, 0
	v_lshlrev_b64_e32 v[15:16], 2, v[15:16]
	s_delay_alu instid0(VALU_DEP_1) | instskip(SKIP_1) | instid1(VALU_DEP_2)
	v_add_co_u32 v15, s3, s8, v15
	s_wait_alu 0xf1ff
	v_add_co_ci_u32_e64 v16, null, s9, v16, s3
	s_delay_alu instid0(VALU_DEP_2) | instskip(SKIP_1) | instid1(VALU_DEP_2)
	v_add_co_u32 v22, s3, v15, v22
	s_wait_alu 0xf1ff
	v_add_co_ci_u32_e64 v23, null, 0, v16, s3
	v_cmp_gt_i32_e64 s3, s29, v17
	v_mov_b32_e32 v17, 0
	s_wait_alu 0xf1ff
	s_delay_alu instid0(VALU_DEP_2)
	v_cndmask_b32_e64 v16, s7, v23, s3
	v_cndmask_b32_e64 v15, 0, v22, s3
	s_wait_loadcnt_dscnt 0x0
	ds_store_b128 v7, v[11:14] offset:8704
	flat_load_b128 v[11:14], v[15:16]
	v_dual_mov_b32 v16, 0 :: v_dual_mov_b32 v15, 0
	s_wait_loadcnt_dscnt 0x0
	ds_store_b128 v7, v[11:14] offset:13056
	s_wait_storecnt_dscnt 0x0
	s_barrier_signal -1
	s_barrier_wait -1
	global_inv scope:SCOPE_SE
	ds_load_b128 v[67:70], v59
	ds_load_b128 v[71:74], v49 offset:17408
	ds_load_b128 v[75:78], v49 offset:17920
	;; [unrolled: 1-line block ×5, first 2 shown]
	v_mov_b32_e32 v11, 0
	v_dual_mov_b32 v13, 0 :: v_dual_mov_b32 v14, 0
	v_mov_b32_e32 v12, 0
	s_wait_dscnt 0x4
	;;#ASMSTART
	v_dot2_f32_f16 v18, v67, v71, v18
	;;#ASMEND
	;;#ASMSTART
	v_dot2_f32_f16 v18, v68, v72, v18
	;;#ASMEND
	;;#ASMSTART
	v_dot2_f32_f16 v18, v69, v73, v18
	;;#ASMEND
	;;#ASMSTART
	v_dot2_f32_f16 v18, v70, v74, v18
	;;#ASMEND
	s_wait_dscnt 0x3
	;;#ASMSTART
	v_dot2_f32_f16 v17, v67, v75, v17
	;;#ASMEND
	;;#ASMSTART
	v_dot2_f32_f16 v17, v68, v76, v17
	;;#ASMEND
	;;#ASMSTART
	v_dot2_f32_f16 v17, v69, v77, v17
	;;#ASMEND
	;;#ASMSTART
	v_dot2_f32_f16 v17, v70, v78, v17
	;;#ASMEND
	;; [unrolled: 13-line block ×5, first 2 shown]
	;;#ASMSTART
	v_dot2_f32_f16 v13, v87, v75, v13
	;;#ASMEND
	;;#ASMSTART
	v_dot2_f32_f16 v13, v88, v76, v13
	;;#ASMEND
	;; [unrolled: 3-line block ×12, first 2 shown]
	ds_load_b128 v[67:70], v59 offset:16
	ds_load_b128 v[71:74], v49 offset:17424
	ds_load_b128 v[75:78], v49 offset:17936
	ds_load_b128 v[79:82], v49 offset:18448
	ds_load_b128 v[83:86], v49 offset:18960
	ds_load_b128 v[87:90], v59 offset:8720
	s_wait_dscnt 0x4
	;;#ASMSTART
	v_dot2_f32_f16 v18, v67, v71, v18
	;;#ASMEND
	;;#ASMSTART
	v_dot2_f32_f16 v18, v68, v72, v18
	;;#ASMEND
	;;#ASMSTART
	v_dot2_f32_f16 v18, v69, v73, v18
	;;#ASMEND
	;;#ASMSTART
	v_dot2_f32_f16 v18, v70, v74, v18
	;;#ASMEND
	s_wait_dscnt 0x3
	;;#ASMSTART
	v_dot2_f32_f16 v17, v67, v75, v17
	;;#ASMEND
	;;#ASMSTART
	v_dot2_f32_f16 v17, v68, v76, v17
	;;#ASMEND
	;;#ASMSTART
	v_dot2_f32_f16 v17, v69, v77, v17
	;;#ASMEND
	;;#ASMSTART
	v_dot2_f32_f16 v17, v70, v78, v17
	;;#ASMEND
	;; [unrolled: 13-line block ×5, first 2 shown]
	;;#ASMSTART
	v_dot2_f32_f16 v13, v87, v75, v13
	;;#ASMEND
	;;#ASMSTART
	v_dot2_f32_f16 v13, v88, v76, v13
	;;#ASMEND
	;; [unrolled: 3-line block ×12, first 2 shown]
	ds_load_b128 v[67:70], v59 offset:32
	ds_load_b128 v[71:74], v49 offset:17440
	;; [unrolled: 1-line block ×6, first 2 shown]
	s_wait_dscnt 0x4
	;;#ASMSTART
	v_dot2_f32_f16 v18, v67, v71, v18
	;;#ASMEND
	;;#ASMSTART
	v_dot2_f32_f16 v18, v68, v72, v18
	;;#ASMEND
	;;#ASMSTART
	v_dot2_f32_f16 v18, v69, v73, v18
	;;#ASMEND
	;;#ASMSTART
	v_dot2_f32_f16 v18, v70, v74, v18
	;;#ASMEND
	s_wait_dscnt 0x3
	;;#ASMSTART
	v_dot2_f32_f16 v17, v67, v75, v17
	;;#ASMEND
	;;#ASMSTART
	v_dot2_f32_f16 v17, v68, v76, v17
	;;#ASMEND
	;;#ASMSTART
	v_dot2_f32_f16 v17, v69, v77, v17
	;;#ASMEND
	;;#ASMSTART
	v_dot2_f32_f16 v17, v70, v78, v17
	;;#ASMEND
	;; [unrolled: 13-line block ×5, first 2 shown]
	;;#ASMSTART
	v_dot2_f32_f16 v13, v87, v75, v13
	;;#ASMEND
	;;#ASMSTART
	v_dot2_f32_f16 v13, v88, v76, v13
	;;#ASMEND
	;; [unrolled: 3-line block ×12, first 2 shown]
	ds_load_b128 v[67:70], v59 offset:48
	ds_load_b128 v[71:74], v49 offset:17456
	;; [unrolled: 1-line block ×6, first 2 shown]
	s_wait_dscnt 0x4
	;;#ASMSTART
	v_dot2_f32_f16 v18, v67, v71, v18
	;;#ASMEND
	;;#ASMSTART
	v_dot2_f32_f16 v18, v68, v72, v18
	;;#ASMEND
	;;#ASMSTART
	v_dot2_f32_f16 v18, v69, v73, v18
	;;#ASMEND
	;;#ASMSTART
	v_dot2_f32_f16 v18, v70, v74, v18
	;;#ASMEND
	s_wait_dscnt 0x3
	;;#ASMSTART
	v_dot2_f32_f16 v17, v67, v75, v17
	;;#ASMEND
	;;#ASMSTART
	v_dot2_f32_f16 v17, v68, v76, v17
	;;#ASMEND
	;;#ASMSTART
	v_dot2_f32_f16 v17, v69, v77, v17
	;;#ASMEND
	;;#ASMSTART
	v_dot2_f32_f16 v17, v70, v78, v17
	;;#ASMEND
	s_wait_dscnt 0x2
	;;#ASMSTART
	v_dot2_f32_f16 v16, v67, v79, v16
	;;#ASMEND
	;;#ASMSTART
	v_dot2_f32_f16 v16, v68, v80, v16
	;;#ASMEND
	;;#ASMSTART
	v_dot2_f32_f16 v16, v69, v81, v16
	;;#ASMEND
	;;#ASMSTART
	v_dot2_f32_f16 v16, v70, v82, v16
	;;#ASMEND
	s_wait_dscnt 0x1
	;;#ASMSTART
	v_dot2_f32_f16 v15, v67, v83, v15
	;;#ASMEND
	;;#ASMSTART
	v_dot2_f32_f16 v15, v68, v84, v15
	;;#ASMEND
	;;#ASMSTART
	v_dot2_f32_f16 v15, v69, v85, v15
	;;#ASMEND
	;;#ASMSTART
	v_dot2_f32_f16 v15, v70, v86, v15
	;;#ASMEND
	s_wait_dscnt 0x0
	;;#ASMSTART
	v_dot2_f32_f16 v11, v87, v71, v11
	;;#ASMEND
	;;#ASMSTART
	v_dot2_f32_f16 v11, v88, v72, v11
	;;#ASMEND
	;;#ASMSTART
	v_dot2_f32_f16 v11, v89, v73, v11
	;;#ASMEND
	;;#ASMSTART
	v_dot2_f32_f16 v11, v90, v74, v11
	;;#ASMEND
	;;#ASMSTART
	v_dot2_f32_f16 v13, v87, v75, v13
	;;#ASMEND
	;;#ASMSTART
	v_dot2_f32_f16 v13, v88, v76, v13
	;;#ASMEND
	;; [unrolled: 3-line block ×12, first 2 shown]
	ds_load_b128 v[67:70], v59 offset:64
	ds_load_b128 v[71:74], v49 offset:17472
	;; [unrolled: 1-line block ×6, first 2 shown]
	s_wait_dscnt 0x4
	;;#ASMSTART
	v_dot2_f32_f16 v18, v67, v71, v18
	;;#ASMEND
	;;#ASMSTART
	v_dot2_f32_f16 v18, v68, v72, v18
	;;#ASMEND
	;;#ASMSTART
	v_dot2_f32_f16 v18, v69, v73, v18
	;;#ASMEND
	;;#ASMSTART
	v_dot2_f32_f16 v18, v70, v74, v18
	;;#ASMEND
	s_wait_dscnt 0x3
	;;#ASMSTART
	v_dot2_f32_f16 v17, v67, v75, v17
	;;#ASMEND
	;;#ASMSTART
	v_dot2_f32_f16 v17, v68, v76, v17
	;;#ASMEND
	;;#ASMSTART
	v_dot2_f32_f16 v17, v69, v77, v17
	;;#ASMEND
	;;#ASMSTART
	v_dot2_f32_f16 v17, v70, v78, v17
	;;#ASMEND
	;; [unrolled: 13-line block ×5, first 2 shown]
	;;#ASMSTART
	v_dot2_f32_f16 v13, v87, v75, v13
	;;#ASMEND
	;;#ASMSTART
	v_dot2_f32_f16 v13, v88, v76, v13
	;;#ASMEND
	;; [unrolled: 3-line block ×12, first 2 shown]
	ds_load_b128 v[67:70], v59 offset:80
	ds_load_b128 v[71:74], v49 offset:17488
	;; [unrolled: 1-line block ×6, first 2 shown]
	s_wait_dscnt 0x4
	;;#ASMSTART
	v_dot2_f32_f16 v18, v67, v71, v18
	;;#ASMEND
	;;#ASMSTART
	v_dot2_f32_f16 v18, v68, v72, v18
	;;#ASMEND
	;;#ASMSTART
	v_dot2_f32_f16 v18, v69, v73, v18
	;;#ASMEND
	;;#ASMSTART
	v_dot2_f32_f16 v18, v70, v74, v18
	;;#ASMEND
	s_wait_dscnt 0x3
	;;#ASMSTART
	v_dot2_f32_f16 v17, v67, v75, v17
	;;#ASMEND
	;;#ASMSTART
	v_dot2_f32_f16 v17, v68, v76, v17
	;;#ASMEND
	;;#ASMSTART
	v_dot2_f32_f16 v17, v69, v77, v17
	;;#ASMEND
	;;#ASMSTART
	v_dot2_f32_f16 v17, v70, v78, v17
	;;#ASMEND
	s_wait_dscnt 0x2
	;;#ASMSTART
	v_dot2_f32_f16 v16, v67, v79, v16
	;;#ASMEND
	;;#ASMSTART
	v_dot2_f32_f16 v16, v68, v80, v16
	;;#ASMEND
	;;#ASMSTART
	v_dot2_f32_f16 v16, v69, v81, v16
	;;#ASMEND
	;;#ASMSTART
	v_dot2_f32_f16 v16, v70, v82, v16
	;;#ASMEND
	s_wait_dscnt 0x1
	;;#ASMSTART
	v_dot2_f32_f16 v15, v67, v83, v15
	;;#ASMEND
	;;#ASMSTART
	v_dot2_f32_f16 v15, v68, v84, v15
	;;#ASMEND
	;;#ASMSTART
	v_dot2_f32_f16 v15, v69, v85, v15
	;;#ASMEND
	;;#ASMSTART
	v_dot2_f32_f16 v15, v70, v86, v15
	;;#ASMEND
	s_wait_dscnt 0x0
	;;#ASMSTART
	v_dot2_f32_f16 v11, v87, v71, v11
	;;#ASMEND
	;;#ASMSTART
	v_dot2_f32_f16 v11, v88, v72, v11
	;;#ASMEND
	;;#ASMSTART
	v_dot2_f32_f16 v11, v89, v73, v11
	;;#ASMEND
	;;#ASMSTART
	v_dot2_f32_f16 v11, v90, v74, v11
	;;#ASMEND
	;;#ASMSTART
	v_dot2_f32_f16 v13, v87, v75, v13
	;;#ASMEND
	;;#ASMSTART
	v_dot2_f32_f16 v13, v88, v76, v13
	;;#ASMEND
	;; [unrolled: 3-line block ×12, first 2 shown]
	ds_load_b128 v[67:70], v59 offset:96
	ds_load_b128 v[71:74], v49 offset:17504
	ds_load_b128 v[75:78], v49 offset:18016
	ds_load_b128 v[79:82], v49 offset:18528
	ds_load_b128 v[83:86], v49 offset:19040
	ds_load_b128 v[87:90], v59 offset:8800
	s_wait_dscnt 0x4
	;;#ASMSTART
	v_dot2_f32_f16 v18, v67, v71, v18
	;;#ASMEND
	;;#ASMSTART
	v_dot2_f32_f16 v18, v68, v72, v18
	;;#ASMEND
	;;#ASMSTART
	v_dot2_f32_f16 v18, v69, v73, v18
	;;#ASMEND
	;;#ASMSTART
	v_dot2_f32_f16 v18, v70, v74, v18
	;;#ASMEND
	s_wait_dscnt 0x3
	;;#ASMSTART
	v_dot2_f32_f16 v17, v67, v75, v17
	;;#ASMEND
	;;#ASMSTART
	v_dot2_f32_f16 v17, v68, v76, v17
	;;#ASMEND
	;;#ASMSTART
	v_dot2_f32_f16 v17, v69, v77, v17
	;;#ASMEND
	;;#ASMSTART
	v_dot2_f32_f16 v17, v70, v78, v17
	;;#ASMEND
	;; [unrolled: 13-line block ×5, first 2 shown]
	;;#ASMSTART
	v_dot2_f32_f16 v13, v87, v75, v13
	;;#ASMEND
	;;#ASMSTART
	v_dot2_f32_f16 v13, v88, v76, v13
	;;#ASMEND
	;; [unrolled: 3-line block ×12, first 2 shown]
	ds_load_b128 v[67:70], v59 offset:112
	ds_load_b128 v[71:74], v49 offset:17520
	;; [unrolled: 1-line block ×6, first 2 shown]
	s_wait_dscnt 0x4
	;;#ASMSTART
	v_dot2_f32_f16 v18, v67, v71, v18
	;;#ASMEND
	;;#ASMSTART
	v_dot2_f32_f16 v18, v68, v72, v18
	;;#ASMEND
	;;#ASMSTART
	v_dot2_f32_f16 v18, v69, v73, v18
	;;#ASMEND
	;;#ASMSTART
	v_dot2_f32_f16 v18, v70, v74, v18
	;;#ASMEND
	s_wait_dscnt 0x3
	;;#ASMSTART
	v_dot2_f32_f16 v17, v67, v75, v17
	;;#ASMEND
	;;#ASMSTART
	v_dot2_f32_f16 v17, v68, v76, v17
	;;#ASMEND
	;;#ASMSTART
	v_dot2_f32_f16 v17, v69, v77, v17
	;;#ASMEND
	;;#ASMSTART
	v_dot2_f32_f16 v17, v70, v78, v17
	;;#ASMEND
	;; [unrolled: 13-line block ×5, first 2 shown]
	;;#ASMSTART
	v_dot2_f32_f16 v13, v87, v75, v13
	;;#ASMEND
	;;#ASMSTART
	v_dot2_f32_f16 v13, v88, v76, v13
	;;#ASMEND
	;; [unrolled: 3-line block ×12, first 2 shown]
	ds_load_b128 v[67:70], v59 offset:128
	ds_load_b128 v[71:74], v49 offset:17536
	;; [unrolled: 1-line block ×6, first 2 shown]
	s_wait_dscnt 0x4
	;;#ASMSTART
	v_dot2_f32_f16 v18, v67, v71, v18
	;;#ASMEND
	;;#ASMSTART
	v_dot2_f32_f16 v18, v68, v72, v18
	;;#ASMEND
	;;#ASMSTART
	v_dot2_f32_f16 v18, v69, v73, v18
	;;#ASMEND
	;;#ASMSTART
	v_dot2_f32_f16 v18, v70, v74, v18
	;;#ASMEND
	s_wait_dscnt 0x3
	;;#ASMSTART
	v_dot2_f32_f16 v17, v67, v75, v17
	;;#ASMEND
	;;#ASMSTART
	v_dot2_f32_f16 v17, v68, v76, v17
	;;#ASMEND
	;;#ASMSTART
	v_dot2_f32_f16 v17, v69, v77, v17
	;;#ASMEND
	;;#ASMSTART
	v_dot2_f32_f16 v17, v70, v78, v17
	;;#ASMEND
	;; [unrolled: 13-line block ×5, first 2 shown]
	;;#ASMSTART
	v_dot2_f32_f16 v13, v87, v75, v13
	;;#ASMEND
	;;#ASMSTART
	v_dot2_f32_f16 v13, v88, v76, v13
	;;#ASMEND
	;; [unrolled: 3-line block ×12, first 2 shown]
	ds_load_b128 v[67:70], v59 offset:144
	ds_load_b128 v[71:74], v49 offset:17552
	;; [unrolled: 1-line block ×6, first 2 shown]
	s_wait_dscnt 0x4
	;;#ASMSTART
	v_dot2_f32_f16 v18, v67, v71, v18
	;;#ASMEND
	;;#ASMSTART
	v_dot2_f32_f16 v18, v68, v72, v18
	;;#ASMEND
	;;#ASMSTART
	v_dot2_f32_f16 v18, v69, v73, v18
	;;#ASMEND
	;;#ASMSTART
	v_dot2_f32_f16 v18, v70, v74, v18
	;;#ASMEND
	s_wait_dscnt 0x3
	;;#ASMSTART
	v_dot2_f32_f16 v17, v67, v75, v17
	;;#ASMEND
	;;#ASMSTART
	v_dot2_f32_f16 v17, v68, v76, v17
	;;#ASMEND
	;;#ASMSTART
	v_dot2_f32_f16 v17, v69, v77, v17
	;;#ASMEND
	;;#ASMSTART
	v_dot2_f32_f16 v17, v70, v78, v17
	;;#ASMEND
	;; [unrolled: 13-line block ×5, first 2 shown]
	;;#ASMSTART
	v_dot2_f32_f16 v13, v87, v75, v13
	;;#ASMEND
	;;#ASMSTART
	v_dot2_f32_f16 v13, v88, v76, v13
	;;#ASMEND
	;; [unrolled: 3-line block ×12, first 2 shown]
	ds_load_b128 v[67:70], v59 offset:160
	ds_load_b128 v[71:74], v49 offset:17568
	ds_load_b128 v[75:78], v49 offset:18080
	ds_load_b128 v[79:82], v49 offset:18592
	ds_load_b128 v[83:86], v49 offset:19104
	ds_load_b128 v[87:90], v59 offset:8864
	s_wait_dscnt 0x4
	;;#ASMSTART
	v_dot2_f32_f16 v18, v67, v71, v18
	;;#ASMEND
	;;#ASMSTART
	v_dot2_f32_f16 v18, v68, v72, v18
	;;#ASMEND
	;;#ASMSTART
	v_dot2_f32_f16 v18, v69, v73, v18
	;;#ASMEND
	;;#ASMSTART
	v_dot2_f32_f16 v18, v70, v74, v18
	;;#ASMEND
	s_wait_dscnt 0x3
	;;#ASMSTART
	v_dot2_f32_f16 v17, v67, v75, v17
	;;#ASMEND
	;;#ASMSTART
	v_dot2_f32_f16 v17, v68, v76, v17
	;;#ASMEND
	;;#ASMSTART
	v_dot2_f32_f16 v17, v69, v77, v17
	;;#ASMEND
	;;#ASMSTART
	v_dot2_f32_f16 v17, v70, v78, v17
	;;#ASMEND
	;; [unrolled: 13-line block ×5, first 2 shown]
	;;#ASMSTART
	v_dot2_f32_f16 v13, v87, v75, v13
	;;#ASMEND
	;;#ASMSTART
	v_dot2_f32_f16 v13, v88, v76, v13
	;;#ASMEND
	;; [unrolled: 3-line block ×12, first 2 shown]
	ds_load_b128 v[67:70], v59 offset:176
	ds_load_b128 v[71:74], v49 offset:17584
	;; [unrolled: 1-line block ×6, first 2 shown]
	s_wait_dscnt 0x4
	;;#ASMSTART
	v_dot2_f32_f16 v18, v67, v71, v18
	;;#ASMEND
	;;#ASMSTART
	v_dot2_f32_f16 v18, v68, v72, v18
	;;#ASMEND
	;;#ASMSTART
	v_dot2_f32_f16 v18, v69, v73, v18
	;;#ASMEND
	;;#ASMSTART
	v_dot2_f32_f16 v18, v70, v74, v18
	;;#ASMEND
	s_wait_dscnt 0x3
	;;#ASMSTART
	v_dot2_f32_f16 v17, v67, v75, v17
	;;#ASMEND
	;;#ASMSTART
	v_dot2_f32_f16 v17, v68, v76, v17
	;;#ASMEND
	;;#ASMSTART
	v_dot2_f32_f16 v17, v69, v77, v17
	;;#ASMEND
	;;#ASMSTART
	v_dot2_f32_f16 v17, v70, v78, v17
	;;#ASMEND
	;; [unrolled: 13-line block ×5, first 2 shown]
	;;#ASMSTART
	v_dot2_f32_f16 v13, v87, v75, v13
	;;#ASMEND
	;;#ASMSTART
	v_dot2_f32_f16 v13, v88, v76, v13
	;;#ASMEND
	;; [unrolled: 3-line block ×12, first 2 shown]
	ds_load_b128 v[67:70], v59 offset:192
	ds_load_b128 v[71:74], v49 offset:17600
	;; [unrolled: 1-line block ×6, first 2 shown]
	s_wait_dscnt 0x4
	;;#ASMSTART
	v_dot2_f32_f16 v18, v67, v71, v18
	;;#ASMEND
	;;#ASMSTART
	v_dot2_f32_f16 v18, v68, v72, v18
	;;#ASMEND
	;;#ASMSTART
	v_dot2_f32_f16 v18, v69, v73, v18
	;;#ASMEND
	;;#ASMSTART
	v_dot2_f32_f16 v18, v70, v74, v18
	;;#ASMEND
	s_wait_dscnt 0x3
	;;#ASMSTART
	v_dot2_f32_f16 v17, v67, v75, v17
	;;#ASMEND
	;;#ASMSTART
	v_dot2_f32_f16 v17, v68, v76, v17
	;;#ASMEND
	;;#ASMSTART
	v_dot2_f32_f16 v17, v69, v77, v17
	;;#ASMEND
	;;#ASMSTART
	v_dot2_f32_f16 v17, v70, v78, v17
	;;#ASMEND
	;; [unrolled: 13-line block ×5, first 2 shown]
	;;#ASMSTART
	v_dot2_f32_f16 v13, v87, v75, v13
	;;#ASMEND
	;;#ASMSTART
	v_dot2_f32_f16 v13, v88, v76, v13
	;;#ASMEND
	;; [unrolled: 3-line block ×12, first 2 shown]
	ds_load_b128 v[67:70], v59 offset:208
	ds_load_b128 v[71:74], v49 offset:17616
	;; [unrolled: 1-line block ×6, first 2 shown]
	s_wait_dscnt 0x4
	;;#ASMSTART
	v_dot2_f32_f16 v18, v67, v71, v18
	;;#ASMEND
	;;#ASMSTART
	v_dot2_f32_f16 v18, v68, v72, v18
	;;#ASMEND
	;;#ASMSTART
	v_dot2_f32_f16 v18, v69, v73, v18
	;;#ASMEND
	;;#ASMSTART
	v_dot2_f32_f16 v18, v70, v74, v18
	;;#ASMEND
	s_wait_dscnt 0x3
	;;#ASMSTART
	v_dot2_f32_f16 v17, v67, v75, v17
	;;#ASMEND
	;;#ASMSTART
	v_dot2_f32_f16 v17, v68, v76, v17
	;;#ASMEND
	;;#ASMSTART
	v_dot2_f32_f16 v17, v69, v77, v17
	;;#ASMEND
	;;#ASMSTART
	v_dot2_f32_f16 v17, v70, v78, v17
	;;#ASMEND
	;; [unrolled: 13-line block ×5, first 2 shown]
	;;#ASMSTART
	v_dot2_f32_f16 v13, v87, v75, v13
	;;#ASMEND
	;;#ASMSTART
	v_dot2_f32_f16 v13, v88, v76, v13
	;;#ASMEND
	;; [unrolled: 3-line block ×12, first 2 shown]
	ds_load_b128 v[67:70], v59 offset:224
	ds_load_b128 v[71:74], v49 offset:17632
	;; [unrolled: 1-line block ×6, first 2 shown]
	s_wait_dscnt 0x4
	;;#ASMSTART
	v_dot2_f32_f16 v18, v67, v71, v18
	;;#ASMEND
	;;#ASMSTART
	v_dot2_f32_f16 v18, v68, v72, v18
	;;#ASMEND
	;;#ASMSTART
	v_dot2_f32_f16 v18, v69, v73, v18
	;;#ASMEND
	;;#ASMSTART
	v_dot2_f32_f16 v18, v70, v74, v18
	;;#ASMEND
	s_wait_dscnt 0x3
	;;#ASMSTART
	v_dot2_f32_f16 v17, v67, v75, v17
	;;#ASMEND
	;;#ASMSTART
	v_dot2_f32_f16 v17, v68, v76, v17
	;;#ASMEND
	;;#ASMSTART
	v_dot2_f32_f16 v17, v69, v77, v17
	;;#ASMEND
	;;#ASMSTART
	v_dot2_f32_f16 v17, v70, v78, v17
	;;#ASMEND
	;; [unrolled: 13-line block ×5, first 2 shown]
	;;#ASMSTART
	v_dot2_f32_f16 v13, v87, v75, v13
	;;#ASMEND
	;;#ASMSTART
	v_dot2_f32_f16 v13, v88, v76, v13
	;;#ASMEND
	;; [unrolled: 3-line block ×12, first 2 shown]
	ds_load_b128 v[67:70], v59 offset:240
	ds_load_b128 v[71:74], v49 offset:17648
	;; [unrolled: 1-line block ×6, first 2 shown]
	s_wait_dscnt 0x4
	;;#ASMSTART
	v_dot2_f32_f16 v18, v67, v71, v18
	;;#ASMEND
	;;#ASMSTART
	v_dot2_f32_f16 v18, v68, v72, v18
	;;#ASMEND
	;;#ASMSTART
	v_dot2_f32_f16 v18, v69, v73, v18
	;;#ASMEND
	;;#ASMSTART
	v_dot2_f32_f16 v18, v70, v74, v18
	;;#ASMEND
	s_wait_dscnt 0x3
	;;#ASMSTART
	v_dot2_f32_f16 v17, v67, v75, v17
	;;#ASMEND
	;;#ASMSTART
	v_dot2_f32_f16 v17, v68, v76, v17
	;;#ASMEND
	;;#ASMSTART
	v_dot2_f32_f16 v17, v69, v77, v17
	;;#ASMEND
	;;#ASMSTART
	v_dot2_f32_f16 v17, v70, v78, v17
	;;#ASMEND
	;; [unrolled: 13-line block ×5, first 2 shown]
	;;#ASMSTART
	v_dot2_f32_f16 v13, v87, v75, v13
	;;#ASMEND
	;;#ASMSTART
	v_dot2_f32_f16 v13, v88, v76, v13
	;;#ASMEND
	;;#ASMSTART
	v_dot2_f32_f16 v13, v89, v77, v13
	;;#ASMEND
	;;#ASMSTART
	v_dot2_f32_f16 v13, v90, v78, v13
	;;#ASMEND
	;;#ASMSTART
	v_dot2_f32_f16 v14, v87, v79, v14
	;;#ASMEND
	;;#ASMSTART
	v_dot2_f32_f16 v14, v88, v80, v14
	;;#ASMEND
	;;#ASMSTART
	v_dot2_f32_f16 v14, v89, v81, v14
	;;#ASMEND
	;;#ASMSTART
	v_dot2_f32_f16 v14, v90, v82, v14
	;;#ASMEND
	;;#ASMSTART
	v_dot2_f32_f16 v12, v87, v83, v12
	;;#ASMEND
	;;#ASMSTART
	v_dot2_f32_f16 v12, v88, v84, v12
	;;#ASMEND
	;;#ASMSTART
	v_dot2_f32_f16 v12, v89, v85, v12
	;;#ASMEND
	;;#ASMSTART
	v_dot2_f32_f16 v12, v90, v86, v12
	;;#ASMEND
	s_wait_loadcnt 0x0
	s_barrier_signal -1
	s_barrier_wait -1
	global_inv scope:SCOPE_SE
	s_clause 0x1
	scratch_store_b32 off, v19, off
	scratch_store_b96 off, v[4:6], off offset:4
	flat_load_b128 v[67:70], v[24:25]
	s_clause 0x1
	scratch_store_b32 off, v19, off
	scratch_store_b96 off, v[4:6], off offset:4
	s_wait_loadcnt_dscnt 0x0
	ds_store_b128 v7, v[67:70]
	flat_load_b128 v[67:70], v[9:10]
	v_add_co_u32 v9, vcc_lo, 0x100, v20
	s_wait_alu 0xfffd
	v_add_co_ci_u32_e64 v10, null, 0, v21, vcc_lo
	s_clause 0x1
	scratch_store_b32 off, v19, off
	scratch_store_b96 off, v[4:6], off offset:4
	v_cndmask_b32_e64 v9, 0, v9, s2
	v_cndmask_b32_e64 v10, s7, v10, s2
	v_cmp_gt_i32_e64 s2, s29, v35
	s_wait_loadcnt_dscnt 0x0
	ds_store_b128 v7, v[67:70] offset:4352
	flat_load_b128 v[67:70], v[9:10]
	v_add_co_u32 v9, vcc_lo, 0x100, v22
	s_wait_alu 0xfffd
	v_add_co_ci_u32_e64 v10, null, 0, v23, vcc_lo
	s_clause 0x1
	scratch_store_b32 off, v19, off
	scratch_store_b96 off, v[4:6], off offset:4
	v_cndmask_b32_e64 v9, 0, v9, s3
	v_cndmask_b32_e64 v10, s7, v10, s3
	s_cselect_b32 s3, -1, 0
	s_wait_loadcnt_dscnt 0x0
	ds_store_b128 v7, v[67:70] offset:8704
	flat_load_b128 v[20:23], v[9:10]
	v_mad_co_u64_u32 v[9:10], null, v47, s30, s[24:25]
	s_wait_alu 0xfffe
	v_cndmask_b32_e64 v47, 0, 1, s3
	s_wait_loadcnt_dscnt 0x0
	ds_store_b128 v7, v[20:23] offset:13056
	s_wait_storecnt_dscnt 0x0
	s_barrier_signal -1
	s_barrier_wait -1
	global_inv scope:SCOPE_SE
	ds_load_b128 v[4:7], v59
	ds_load_b128 v[20:23], v49 offset:17664
	ds_load_b128 v[67:70], v49 offset:18176
	;; [unrolled: 1-line block ×5, first 2 shown]
	s_wait_dscnt 0x4
	;;#ASMSTART
	v_dot2_f32_f16 v18, v4, v20, v18
	;;#ASMEND
	;;#ASMSTART
	v_dot2_f32_f16 v18, v5, v21, v18
	;;#ASMEND
	;;#ASMSTART
	v_dot2_f32_f16 v18, v6, v22, v18
	;;#ASMEND
	;;#ASMSTART
	v_dot2_f32_f16 v18, v7, v23, v18
	;;#ASMEND
	s_wait_dscnt 0x3
	;;#ASMSTART
	v_dot2_f32_f16 v17, v4, v67, v17
	;;#ASMEND
	;;#ASMSTART
	v_dot2_f32_f16 v17, v5, v68, v17
	;;#ASMEND
	;;#ASMSTART
	v_dot2_f32_f16 v17, v6, v69, v17
	;;#ASMEND
	;;#ASMSTART
	v_dot2_f32_f16 v17, v7, v70, v17
	;;#ASMEND
	;; [unrolled: 13-line block ×5, first 2 shown]
	;;#ASMSTART
	v_dot2_f32_f16 v13, v79, v67, v13
	;;#ASMEND
	;;#ASMSTART
	v_dot2_f32_f16 v13, v80, v68, v13
	;;#ASMEND
	;; [unrolled: 3-line block ×12, first 2 shown]
	ds_load_b128 v[4:7], v59 offset:16
	ds_load_b128 v[20:23], v49 offset:17680
	;; [unrolled: 1-line block ×6, first 2 shown]
	s_wait_dscnt 0x4
	;;#ASMSTART
	v_dot2_f32_f16 v18, v4, v20, v18
	;;#ASMEND
	;;#ASMSTART
	v_dot2_f32_f16 v18, v5, v21, v18
	;;#ASMEND
	;;#ASMSTART
	v_dot2_f32_f16 v18, v6, v22, v18
	;;#ASMEND
	;;#ASMSTART
	v_dot2_f32_f16 v18, v7, v23, v18
	;;#ASMEND
	s_wait_dscnt 0x3
	;;#ASMSTART
	v_dot2_f32_f16 v17, v4, v67, v17
	;;#ASMEND
	;;#ASMSTART
	v_dot2_f32_f16 v17, v5, v68, v17
	;;#ASMEND
	;;#ASMSTART
	v_dot2_f32_f16 v17, v6, v69, v17
	;;#ASMEND
	;;#ASMSTART
	v_dot2_f32_f16 v17, v7, v70, v17
	;;#ASMEND
	s_wait_dscnt 0x2
	;;#ASMSTART
	v_dot2_f32_f16 v16, v4, v71, v16
	;;#ASMEND
	;;#ASMSTART
	v_dot2_f32_f16 v16, v5, v72, v16
	;;#ASMEND
	;;#ASMSTART
	v_dot2_f32_f16 v16, v6, v73, v16
	;;#ASMEND
	;;#ASMSTART
	v_dot2_f32_f16 v16, v7, v74, v16
	;;#ASMEND
	s_wait_dscnt 0x1
	;;#ASMSTART
	v_dot2_f32_f16 v15, v4, v75, v15
	;;#ASMEND
	;;#ASMSTART
	v_dot2_f32_f16 v15, v5, v76, v15
	;;#ASMEND
	;;#ASMSTART
	v_dot2_f32_f16 v15, v6, v77, v15
	;;#ASMEND
	;;#ASMSTART
	v_dot2_f32_f16 v15, v7, v78, v15
	;;#ASMEND
	s_wait_dscnt 0x0
	;;#ASMSTART
	v_dot2_f32_f16 v11, v79, v20, v11
	;;#ASMEND
	;;#ASMSTART
	v_dot2_f32_f16 v11, v80, v21, v11
	;;#ASMEND
	;;#ASMSTART
	v_dot2_f32_f16 v11, v81, v22, v11
	;;#ASMEND
	;;#ASMSTART
	v_dot2_f32_f16 v11, v82, v23, v11
	;;#ASMEND
	;;#ASMSTART
	v_dot2_f32_f16 v13, v79, v67, v13
	;;#ASMEND
	;;#ASMSTART
	v_dot2_f32_f16 v13, v80, v68, v13
	;;#ASMEND
	;; [unrolled: 3-line block ×12, first 2 shown]
	ds_load_b128 v[4:7], v59 offset:32
	ds_load_b128 v[20:23], v49 offset:17696
	;; [unrolled: 1-line block ×6, first 2 shown]
	s_wait_dscnt 0x4
	;;#ASMSTART
	v_dot2_f32_f16 v18, v4, v20, v18
	;;#ASMEND
	;;#ASMSTART
	v_dot2_f32_f16 v18, v5, v21, v18
	;;#ASMEND
	;;#ASMSTART
	v_dot2_f32_f16 v18, v6, v22, v18
	;;#ASMEND
	;;#ASMSTART
	v_dot2_f32_f16 v18, v7, v23, v18
	;;#ASMEND
	s_wait_dscnt 0x3
	;;#ASMSTART
	v_dot2_f32_f16 v17, v4, v67, v17
	;;#ASMEND
	;;#ASMSTART
	v_dot2_f32_f16 v17, v5, v68, v17
	;;#ASMEND
	;;#ASMSTART
	v_dot2_f32_f16 v17, v6, v69, v17
	;;#ASMEND
	;;#ASMSTART
	v_dot2_f32_f16 v17, v7, v70, v17
	;;#ASMEND
	;; [unrolled: 13-line block ×5, first 2 shown]
	;;#ASMSTART
	v_dot2_f32_f16 v13, v79, v67, v13
	;;#ASMEND
	;;#ASMSTART
	v_dot2_f32_f16 v13, v80, v68, v13
	;;#ASMEND
	;; [unrolled: 3-line block ×12, first 2 shown]
	ds_load_b128 v[4:7], v59 offset:48
	ds_load_b128 v[20:23], v49 offset:17712
	ds_load_b128 v[67:70], v49 offset:18224
	ds_load_b128 v[71:74], v49 offset:18736
	ds_load_b128 v[75:78], v49 offset:19248
	ds_load_b128 v[79:82], v59 offset:8752
	s_wait_dscnt 0x4
	;;#ASMSTART
	v_dot2_f32_f16 v18, v4, v20, v18
	;;#ASMEND
	;;#ASMSTART
	v_dot2_f32_f16 v18, v5, v21, v18
	;;#ASMEND
	;;#ASMSTART
	v_dot2_f32_f16 v18, v6, v22, v18
	;;#ASMEND
	;;#ASMSTART
	v_dot2_f32_f16 v18, v7, v23, v18
	;;#ASMEND
	s_wait_dscnt 0x3
	;;#ASMSTART
	v_dot2_f32_f16 v17, v4, v67, v17
	;;#ASMEND
	;;#ASMSTART
	v_dot2_f32_f16 v17, v5, v68, v17
	;;#ASMEND
	;;#ASMSTART
	v_dot2_f32_f16 v17, v6, v69, v17
	;;#ASMEND
	;;#ASMSTART
	v_dot2_f32_f16 v17, v7, v70, v17
	;;#ASMEND
	;; [unrolled: 13-line block ×5, first 2 shown]
	;;#ASMSTART
	v_dot2_f32_f16 v13, v79, v67, v13
	;;#ASMEND
	;;#ASMSTART
	v_dot2_f32_f16 v13, v80, v68, v13
	;;#ASMEND
	;; [unrolled: 3-line block ×12, first 2 shown]
	ds_load_b128 v[4:7], v59 offset:64
	ds_load_b128 v[20:23], v49 offset:17728
	;; [unrolled: 1-line block ×6, first 2 shown]
	s_wait_dscnt 0x4
	;;#ASMSTART
	v_dot2_f32_f16 v18, v4, v20, v18
	;;#ASMEND
	;;#ASMSTART
	v_dot2_f32_f16 v18, v5, v21, v18
	;;#ASMEND
	;;#ASMSTART
	v_dot2_f32_f16 v18, v6, v22, v18
	;;#ASMEND
	;;#ASMSTART
	v_dot2_f32_f16 v18, v7, v23, v18
	;;#ASMEND
	s_wait_dscnt 0x3
	;;#ASMSTART
	v_dot2_f32_f16 v17, v4, v67, v17
	;;#ASMEND
	;;#ASMSTART
	v_dot2_f32_f16 v17, v5, v68, v17
	;;#ASMEND
	;;#ASMSTART
	v_dot2_f32_f16 v17, v6, v69, v17
	;;#ASMEND
	;;#ASMSTART
	v_dot2_f32_f16 v17, v7, v70, v17
	;;#ASMEND
	;; [unrolled: 13-line block ×5, first 2 shown]
	;;#ASMSTART
	v_dot2_f32_f16 v13, v79, v67, v13
	;;#ASMEND
	;;#ASMSTART
	v_dot2_f32_f16 v13, v80, v68, v13
	;;#ASMEND
	;; [unrolled: 3-line block ×12, first 2 shown]
	ds_load_b128 v[4:7], v59 offset:80
	ds_load_b128 v[20:23], v49 offset:17744
	;; [unrolled: 1-line block ×6, first 2 shown]
	s_wait_dscnt 0x4
	;;#ASMSTART
	v_dot2_f32_f16 v18, v4, v20, v18
	;;#ASMEND
	;;#ASMSTART
	v_dot2_f32_f16 v18, v5, v21, v18
	;;#ASMEND
	;;#ASMSTART
	v_dot2_f32_f16 v18, v6, v22, v18
	;;#ASMEND
	;;#ASMSTART
	v_dot2_f32_f16 v18, v7, v23, v18
	;;#ASMEND
	s_wait_dscnt 0x3
	;;#ASMSTART
	v_dot2_f32_f16 v17, v4, v67, v17
	;;#ASMEND
	;;#ASMSTART
	v_dot2_f32_f16 v17, v5, v68, v17
	;;#ASMEND
	;;#ASMSTART
	v_dot2_f32_f16 v17, v6, v69, v17
	;;#ASMEND
	;;#ASMSTART
	v_dot2_f32_f16 v17, v7, v70, v17
	;;#ASMEND
	;; [unrolled: 13-line block ×5, first 2 shown]
	;;#ASMSTART
	v_dot2_f32_f16 v13, v79, v67, v13
	;;#ASMEND
	;;#ASMSTART
	v_dot2_f32_f16 v13, v80, v68, v13
	;;#ASMEND
	;; [unrolled: 3-line block ×12, first 2 shown]
	ds_load_b128 v[4:7], v59 offset:96
	ds_load_b128 v[20:23], v49 offset:17760
	;; [unrolled: 1-line block ×6, first 2 shown]
	s_wait_dscnt 0x4
	;;#ASMSTART
	v_dot2_f32_f16 v18, v4, v20, v18
	;;#ASMEND
	;;#ASMSTART
	v_dot2_f32_f16 v18, v5, v21, v18
	;;#ASMEND
	;;#ASMSTART
	v_dot2_f32_f16 v18, v6, v22, v18
	;;#ASMEND
	;;#ASMSTART
	v_dot2_f32_f16 v18, v7, v23, v18
	;;#ASMEND
	s_wait_dscnt 0x3
	;;#ASMSTART
	v_dot2_f32_f16 v17, v4, v67, v17
	;;#ASMEND
	;;#ASMSTART
	v_dot2_f32_f16 v17, v5, v68, v17
	;;#ASMEND
	;;#ASMSTART
	v_dot2_f32_f16 v17, v6, v69, v17
	;;#ASMEND
	;;#ASMSTART
	v_dot2_f32_f16 v17, v7, v70, v17
	;;#ASMEND
	;; [unrolled: 13-line block ×5, first 2 shown]
	;;#ASMSTART
	v_dot2_f32_f16 v13, v79, v67, v13
	;;#ASMEND
	;;#ASMSTART
	v_dot2_f32_f16 v13, v80, v68, v13
	;;#ASMEND
	;; [unrolled: 3-line block ×12, first 2 shown]
	ds_load_b128 v[4:7], v59 offset:112
	ds_load_b128 v[20:23], v49 offset:17776
	;; [unrolled: 1-line block ×6, first 2 shown]
	s_wait_dscnt 0x4
	;;#ASMSTART
	v_dot2_f32_f16 v18, v4, v20, v18
	;;#ASMEND
	;;#ASMSTART
	v_dot2_f32_f16 v18, v5, v21, v18
	;;#ASMEND
	;;#ASMSTART
	v_dot2_f32_f16 v18, v6, v22, v18
	;;#ASMEND
	;;#ASMSTART
	v_dot2_f32_f16 v18, v7, v23, v18
	;;#ASMEND
	s_wait_dscnt 0x3
	;;#ASMSTART
	v_dot2_f32_f16 v17, v4, v67, v17
	;;#ASMEND
	;;#ASMSTART
	v_dot2_f32_f16 v17, v5, v68, v17
	;;#ASMEND
	;;#ASMSTART
	v_dot2_f32_f16 v17, v6, v69, v17
	;;#ASMEND
	;;#ASMSTART
	v_dot2_f32_f16 v17, v7, v70, v17
	;;#ASMEND
	;; [unrolled: 13-line block ×5, first 2 shown]
	;;#ASMSTART
	v_dot2_f32_f16 v13, v79, v67, v13
	;;#ASMEND
	;;#ASMSTART
	v_dot2_f32_f16 v13, v80, v68, v13
	;;#ASMEND
	;; [unrolled: 3-line block ×12, first 2 shown]
	ds_load_b128 v[4:7], v59 offset:128
	ds_load_b128 v[20:23], v49 offset:17792
	ds_load_b128 v[67:70], v49 offset:18304
	ds_load_b128 v[71:74], v49 offset:18816
	ds_load_b128 v[75:78], v49 offset:19328
	ds_load_b128 v[79:82], v59 offset:8832
	s_wait_dscnt 0x4
	;;#ASMSTART
	v_dot2_f32_f16 v18, v4, v20, v18
	;;#ASMEND
	;;#ASMSTART
	v_dot2_f32_f16 v18, v5, v21, v18
	;;#ASMEND
	;;#ASMSTART
	v_dot2_f32_f16 v18, v6, v22, v18
	;;#ASMEND
	;;#ASMSTART
	v_dot2_f32_f16 v18, v7, v23, v18
	;;#ASMEND
	s_wait_dscnt 0x3
	;;#ASMSTART
	v_dot2_f32_f16 v17, v4, v67, v17
	;;#ASMEND
	;;#ASMSTART
	v_dot2_f32_f16 v17, v5, v68, v17
	;;#ASMEND
	;;#ASMSTART
	v_dot2_f32_f16 v17, v6, v69, v17
	;;#ASMEND
	;;#ASMSTART
	v_dot2_f32_f16 v17, v7, v70, v17
	;;#ASMEND
	;; [unrolled: 13-line block ×5, first 2 shown]
	;;#ASMSTART
	v_dot2_f32_f16 v13, v79, v67, v13
	;;#ASMEND
	;;#ASMSTART
	v_dot2_f32_f16 v13, v80, v68, v13
	;;#ASMEND
	;; [unrolled: 3-line block ×12, first 2 shown]
	ds_load_b128 v[4:7], v59 offset:144
	ds_load_b128 v[20:23], v49 offset:17808
	;; [unrolled: 1-line block ×6, first 2 shown]
	s_wait_dscnt 0x4
	;;#ASMSTART
	v_dot2_f32_f16 v18, v4, v20, v18
	;;#ASMEND
	;;#ASMSTART
	v_dot2_f32_f16 v18, v5, v21, v18
	;;#ASMEND
	;;#ASMSTART
	v_dot2_f32_f16 v18, v6, v22, v18
	;;#ASMEND
	;;#ASMSTART
	v_dot2_f32_f16 v18, v7, v23, v18
	;;#ASMEND
	s_wait_dscnt 0x3
	;;#ASMSTART
	v_dot2_f32_f16 v17, v4, v67, v17
	;;#ASMEND
	;;#ASMSTART
	v_dot2_f32_f16 v17, v5, v68, v17
	;;#ASMEND
	;;#ASMSTART
	v_dot2_f32_f16 v17, v6, v69, v17
	;;#ASMEND
	;;#ASMSTART
	v_dot2_f32_f16 v17, v7, v70, v17
	;;#ASMEND
	;; [unrolled: 13-line block ×5, first 2 shown]
	;;#ASMSTART
	v_dot2_f32_f16 v13, v79, v67, v13
	;;#ASMEND
	;;#ASMSTART
	v_dot2_f32_f16 v13, v80, v68, v13
	;;#ASMEND
	;; [unrolled: 3-line block ×12, first 2 shown]
	ds_load_b128 v[4:7], v59 offset:160
	ds_load_b128 v[20:23], v49 offset:17824
	;; [unrolled: 1-line block ×6, first 2 shown]
	s_wait_dscnt 0x4
	;;#ASMSTART
	v_dot2_f32_f16 v18, v4, v20, v18
	;;#ASMEND
	;;#ASMSTART
	v_dot2_f32_f16 v18, v5, v21, v18
	;;#ASMEND
	;;#ASMSTART
	v_dot2_f32_f16 v18, v6, v22, v18
	;;#ASMEND
	;;#ASMSTART
	v_dot2_f32_f16 v18, v7, v23, v18
	;;#ASMEND
	s_wait_dscnt 0x3
	;;#ASMSTART
	v_dot2_f32_f16 v17, v4, v67, v17
	;;#ASMEND
	;;#ASMSTART
	v_dot2_f32_f16 v17, v5, v68, v17
	;;#ASMEND
	;;#ASMSTART
	v_dot2_f32_f16 v17, v6, v69, v17
	;;#ASMEND
	;;#ASMSTART
	v_dot2_f32_f16 v17, v7, v70, v17
	;;#ASMEND
	;; [unrolled: 13-line block ×5, first 2 shown]
	;;#ASMSTART
	v_dot2_f32_f16 v13, v79, v67, v13
	;;#ASMEND
	;;#ASMSTART
	v_dot2_f32_f16 v13, v80, v68, v13
	;;#ASMEND
	;; [unrolled: 3-line block ×12, first 2 shown]
	ds_load_b128 v[4:7], v59 offset:176
	ds_load_b128 v[20:23], v49 offset:17840
	;; [unrolled: 1-line block ×6, first 2 shown]
	s_wait_dscnt 0x4
	;;#ASMSTART
	v_dot2_f32_f16 v18, v4, v20, v18
	;;#ASMEND
	;;#ASMSTART
	v_dot2_f32_f16 v18, v5, v21, v18
	;;#ASMEND
	;;#ASMSTART
	v_dot2_f32_f16 v18, v6, v22, v18
	;;#ASMEND
	;;#ASMSTART
	v_dot2_f32_f16 v18, v7, v23, v18
	;;#ASMEND
	s_wait_dscnt 0x3
	;;#ASMSTART
	v_dot2_f32_f16 v17, v4, v67, v17
	;;#ASMEND
	;;#ASMSTART
	v_dot2_f32_f16 v17, v5, v68, v17
	;;#ASMEND
	;;#ASMSTART
	v_dot2_f32_f16 v17, v6, v69, v17
	;;#ASMEND
	;;#ASMSTART
	v_dot2_f32_f16 v17, v7, v70, v17
	;;#ASMEND
	;; [unrolled: 13-line block ×5, first 2 shown]
	;;#ASMSTART
	v_dot2_f32_f16 v13, v79, v67, v13
	;;#ASMEND
	;;#ASMSTART
	v_dot2_f32_f16 v13, v80, v68, v13
	;;#ASMEND
	;; [unrolled: 3-line block ×12, first 2 shown]
	ds_load_b128 v[4:7], v59 offset:192
	ds_load_b128 v[20:23], v49 offset:17856
	;; [unrolled: 1-line block ×6, first 2 shown]
	s_wait_dscnt 0x4
	;;#ASMSTART
	v_dot2_f32_f16 v18, v4, v20, v18
	;;#ASMEND
	;;#ASMSTART
	v_dot2_f32_f16 v18, v5, v21, v18
	;;#ASMEND
	;;#ASMSTART
	v_dot2_f32_f16 v18, v6, v22, v18
	;;#ASMEND
	;;#ASMSTART
	v_dot2_f32_f16 v18, v7, v23, v18
	;;#ASMEND
	s_wait_dscnt 0x3
	;;#ASMSTART
	v_dot2_f32_f16 v17, v4, v67, v17
	;;#ASMEND
	;;#ASMSTART
	v_dot2_f32_f16 v17, v5, v68, v17
	;;#ASMEND
	;;#ASMSTART
	v_dot2_f32_f16 v17, v6, v69, v17
	;;#ASMEND
	;;#ASMSTART
	v_dot2_f32_f16 v17, v7, v70, v17
	;;#ASMEND
	;; [unrolled: 13-line block ×5, first 2 shown]
	;;#ASMSTART
	v_dot2_f32_f16 v13, v79, v67, v13
	;;#ASMEND
	;;#ASMSTART
	v_dot2_f32_f16 v13, v80, v68, v13
	;;#ASMEND
	;; [unrolled: 3-line block ×12, first 2 shown]
	ds_load_b128 v[4:7], v59 offset:208
	ds_load_b128 v[20:23], v49 offset:17872
	;; [unrolled: 1-line block ×6, first 2 shown]
	s_wait_dscnt 0x4
	;;#ASMSTART
	v_dot2_f32_f16 v18, v4, v20, v18
	;;#ASMEND
	;;#ASMSTART
	v_dot2_f32_f16 v18, v5, v21, v18
	;;#ASMEND
	;;#ASMSTART
	v_dot2_f32_f16 v18, v6, v22, v18
	;;#ASMEND
	;;#ASMSTART
	v_dot2_f32_f16 v18, v7, v23, v18
	;;#ASMEND
	s_wait_dscnt 0x3
	;;#ASMSTART
	v_dot2_f32_f16 v17, v4, v67, v17
	;;#ASMEND
	;;#ASMSTART
	v_dot2_f32_f16 v17, v5, v68, v17
	;;#ASMEND
	;;#ASMSTART
	v_dot2_f32_f16 v17, v6, v69, v17
	;;#ASMEND
	;;#ASMSTART
	v_dot2_f32_f16 v17, v7, v70, v17
	;;#ASMEND
	;; [unrolled: 13-line block ×5, first 2 shown]
	;;#ASMSTART
	v_dot2_f32_f16 v13, v79, v67, v13
	;;#ASMEND
	;;#ASMSTART
	v_dot2_f32_f16 v13, v80, v68, v13
	;;#ASMEND
	;; [unrolled: 3-line block ×12, first 2 shown]
	ds_load_b128 v[4:7], v59 offset:224
	ds_load_b128 v[20:23], v49 offset:17888
	;; [unrolled: 1-line block ×6, first 2 shown]
	s_wait_dscnt 0x4
	;;#ASMSTART
	v_dot2_f32_f16 v18, v4, v20, v18
	;;#ASMEND
	;;#ASMSTART
	v_dot2_f32_f16 v18, v5, v21, v18
	;;#ASMEND
	;;#ASMSTART
	v_dot2_f32_f16 v18, v6, v22, v18
	;;#ASMEND
	;;#ASMSTART
	v_dot2_f32_f16 v18, v7, v23, v18
	;;#ASMEND
	s_wait_dscnt 0x3
	;;#ASMSTART
	v_dot2_f32_f16 v17, v4, v67, v17
	;;#ASMEND
	;;#ASMSTART
	v_dot2_f32_f16 v17, v5, v68, v17
	;;#ASMEND
	;;#ASMSTART
	v_dot2_f32_f16 v17, v6, v69, v17
	;;#ASMEND
	;;#ASMSTART
	v_dot2_f32_f16 v17, v7, v70, v17
	;;#ASMEND
	;; [unrolled: 13-line block ×5, first 2 shown]
	;;#ASMSTART
	v_dot2_f32_f16 v13, v79, v67, v13
	;;#ASMEND
	;;#ASMSTART
	v_dot2_f32_f16 v13, v80, v68, v13
	;;#ASMEND
	;; [unrolled: 3-line block ×12, first 2 shown]
	ds_load_b128 v[20:23], v59 offset:240
	ds_load_b128 v[67:70], v49 offset:17904
	;; [unrolled: 1-line block ×6, first 2 shown]
	s_wait_dscnt 0x4
	;;#ASMSTART
	v_dot2_f32_f16 v18, v20, v67, v18
	;;#ASMEND
	;;#ASMSTART
	v_dot2_f32_f16 v18, v21, v68, v18
	;;#ASMEND
	;;#ASMSTART
	v_dot2_f32_f16 v18, v22, v69, v18
	;;#ASMEND
	;;#ASMSTART
	v_dot2_f32_f16 v18, v23, v70, v18
	;;#ASMEND
	s_wait_dscnt 0x3
	;;#ASMSTART
	v_dot2_f32_f16 v17, v20, v71, v17
	;;#ASMEND
	;;#ASMSTART
	v_dot2_f32_f16 v17, v21, v72, v17
	;;#ASMEND
	;;#ASMSTART
	v_dot2_f32_f16 v17, v22, v73, v17
	;;#ASMEND
	;;#ASMSTART
	v_dot2_f32_f16 v17, v23, v74, v17
	;;#ASMEND
	;; [unrolled: 13-line block ×5, first 2 shown]
	;;#ASMSTART
	v_dot2_f32_f16 v13, v83, v71, v13
	;;#ASMEND
	;;#ASMSTART
	v_dot2_f32_f16 v13, v84, v72, v13
	;;#ASMEND
	;;#ASMSTART
	v_dot2_f32_f16 v13, v85, v73, v13
	;;#ASMEND
	v_mov_b32_e32 v7, v3
	;;#ASMSTART
	v_dot2_f32_f16 v13, v86, v74, v13
	;;#ASMEND
	;;#ASMSTART
	v_dot2_f32_f16 v14, v83, v75, v14
	;;#ASMEND
	v_dual_mov_b32 v6, v2 :: v_dual_mov_b32 v5, v1
	v_mov_b32_e32 v4, v0
	;;#ASMSTART
	v_dot2_f32_f16 v14, v84, v76, v14
	;;#ASMEND
	;;#ASMSTART
	v_dot2_f32_f16 v14, v85, v77, v14
	;;#ASMEND
	;;#ASMSTART
	v_dot2_f32_f16 v14, v86, v78, v14
	;;#ASMEND
	;;#ASMSTART
	v_dot2_f32_f16 v12, v83, v79, v12
	;;#ASMEND
	;;#ASMSTART
	v_dot2_f32_f16 v12, v84, v80, v12
	;;#ASMEND
	;;#ASMSTART
	v_dot2_f32_f16 v12, v85, v81, v12
	;;#ASMEND
	;;#ASMSTART
	v_dot2_f32_f16 v12, v86, v82, v12
	;;#ASMEND
	s_and_saveexec_b32 s4, s2
	s_cbranch_execz .LBB42_36
; %bb.33:
	s_and_not1_b32 vcc_lo, exec_lo, s3
	s_wait_alu 0xfffe
	s_cbranch_vccnz .LBB42_35
; %bb.34:
	v_add_nc_u32_e32 v4, v9, v35
	s_delay_alu instid0(VALU_DEP_1) | instskip(NEXT) | instid1(VALU_DEP_1)
	v_ashrrev_i32_e32 v5, 31, v4
	v_lshlrev_b64_e32 v[4:5], 1, v[4:5]
	s_delay_alu instid0(VALU_DEP_1) | instskip(SKIP_1) | instid1(VALU_DEP_2)
	v_add_co_u32 v4, vcc_lo, s38, v4
	s_wait_alu 0xfffd
	v_add_co_ci_u32_e64 v5, null, s39, v5, vcc_lo
	global_load_u16 v4, v[4:5], off
	s_wait_loadcnt 0x0
	v_cvt_f32_f16_e32 v4, v4
	s_delay_alu instid0(VALU_DEP_1)
	v_mul_f32_e32 v19, v40, v4
.LBB42_35:
	s_delay_alu instid0(VALU_DEP_1) | instskip(NEXT) | instid1(VALU_DEP_1)
	v_dual_add_f32 v18, v18, v19 :: v_dual_max_num_f32 v5, v0, v0
	v_add_f32_e32 v4, 0x40051340, v18
	s_delay_alu instid0(VALU_DEP_1) | instskip(SKIP_2) | instid1(VALU_DEP_3)
	v_dual_max_num_f32 v10, v5, v4 :: v_dual_mov_b32 v7, v3
	v_mov_b32_e32 v4, v0
	v_dual_mov_b32 v6, v2 :: v_dual_mov_b32 v5, v1
	v_mov_b32_e32 v4, v10
.LBB42_36:
	s_wait_alu 0xfffe
	s_or_b32 exec_lo, exec_lo, s4
	v_add_nc_u32_e32 v19, 32, v35
	s_delay_alu instid0(VALU_DEP_1)
	v_cmp_gt_i32_e64 s3, s29, v19
	s_and_saveexec_b32 s4, s3
	s_cbranch_execz .LBB42_41
; %bb.37:
	v_cmp_ne_u32_e32 vcc_lo, 1, v47
	s_cbranch_vccnz .LBB42_39
; %bb.38:
	v_ashrrev_i32_e32 v10, 31, v9
	v_add_co_u32 v9, vcc_lo, v9, v35
	s_wait_alu 0xfffd
	s_delay_alu instid0(VALU_DEP_2) | instskip(NEXT) | instid1(VALU_DEP_1)
	v_add_co_ci_u32_e64 v10, null, 0, v10, vcc_lo
	v_lshlrev_b64_e32 v[9:10], 1, v[9:10]
	s_delay_alu instid0(VALU_DEP_1) | instskip(SKIP_1) | instid1(VALU_DEP_2)
	v_add_co_u32 v9, vcc_lo, s38, v9
	s_wait_alu 0xfffd
	v_add_co_ci_u32_e64 v10, null, s39, v10, vcc_lo
	global_load_u16 v9, v[9:10], off offset:64
	s_wait_loadcnt 0x0
	v_cvt_f32_f16_e32 v9, v9
	s_delay_alu instid0(VALU_DEP_1)
	v_mul_f32_e32 v9, v40, v9
	s_branch .LBB42_40
.LBB42_39:
	v_mov_b32_e32 v9, 0
.LBB42_40:
	s_delay_alu instid0(VALU_DEP_1) | instskip(NEXT) | instid1(VALU_DEP_1)
	v_dual_add_f32 v11, v11, v9 :: v_dual_max_num_f32 v4, v4, v4
	v_add_f32_e32 v9, 0x40051340, v11
	s_delay_alu instid0(VALU_DEP_1)
	v_max_num_f32_e32 v4, v4, v9
.LBB42_41:
	s_wait_alu 0xfffe
	s_or_b32 exec_lo, exec_lo, s4
	v_xor_b32_e32 v71, 16, v36
	v_xor_b32_e32 v69, 8, v36
	;; [unrolled: 1-line block ×5, first 2 shown]
	v_cmp_gt_i32_e32 vcc_lo, 32, v71
	v_mul_hi_u32 v67, s20, v48
	s_wait_alu 0xfffd
	v_dual_mov_b32 v70, 32 :: v_dual_cndmask_b32 v9, v36, v71
	v_cmp_gt_i32_e32 vcc_lo, 32, v69
	s_wait_alu 0xfffd
	v_cndmask_b32_e32 v10, v36, v69, vcc_lo
	v_cmp_gt_i32_e32 vcc_lo, 32, v25
	s_wait_alu 0xfffd
	s_delay_alu instid0(VALU_DEP_2) | instskip(SKIP_1) | instid1(VALU_DEP_2)
	v_dual_cndmask_b32 v10, v36, v25 :: v_dual_lshlrev_b32 v59, 2, v10
	v_cmp_gt_i32_e32 vcc_lo, 32, v24
	v_lshlrev_b32_e32 v22, 2, v10
	s_wait_alu 0xfffd
	v_dual_cndmask_b32 v10, v36, v24 :: v_dual_lshlrev_b32 v49, 2, v9
	v_cmp_gt_i32_e32 vcc_lo, 32, v23
	ds_bpermute_b32 v9, v49, v4
	v_dual_max_num_f32 v4, v4, v4 :: v_dual_lshlrev_b32 v21, 2, v10
	s_wait_alu 0xfffd
	v_cndmask_b32_e32 v10, v36, v23, vcc_lo
	s_wait_dscnt 0x0
	s_delay_alu instid0(VALU_DEP_1) | instskip(NEXT) | instid1(VALU_DEP_1)
	v_dual_max_num_f32 v9, v9, v9 :: v_dual_lshlrev_b32 v20, 2, v10
	v_max_num_f32_e32 v4, v4, v9
	ds_bpermute_b32 v9, v59, v4
	s_wait_dscnt 0x0
	v_max_num_f32_e32 v9, v9, v9
	s_delay_alu instid0(VALU_DEP_1) | instskip(SKIP_3) | instid1(VALU_DEP_1)
	v_max_num_f32_e32 v4, v4, v9
	ds_bpermute_b32 v9, v22, v4
	s_wait_dscnt 0x0
	v_max_num_f32_e32 v9, v9, v9
	v_max_num_f32_e32 v4, v4, v9
	ds_bpermute_b32 v9, v21, v4
	s_wait_dscnt 0x0
	v_max_num_f32_e32 v9, v9, v9
	s_delay_alu instid0(VALU_DEP_1) | instskip(SKIP_3) | instid1(VALU_DEP_1)
	v_max_num_f32_e32 v4, v4, v9
	v_add_nc_u32_e32 v9, v48, v67
	ds_bpermute_b32 v10, v20, v4
	v_lshrrev_b32_e32 v9, s21, v9
	v_mul_lo_u32 v9, v9, s22
	s_delay_alu instid0(VALU_DEP_1) | instskip(SKIP_2) | instid1(VALU_DEP_2)
	v_sub_nc_u32_e32 v9, v48, v9
	s_wait_dscnt 0x0
	v_max_num_f32_e32 v48, v10, v10
	v_mad_co_u64_u32 v[9:10], null, v9, s30, s[24:25]
	s_delay_alu instid0(VALU_DEP_2)
	v_max_num_f32_e32 v4, v4, v48
	s_and_saveexec_b32 s4, s2
	s_cbranch_execz .LBB42_46
; %bb.42:
	v_cmp_ne_u32_e32 vcc_lo, 1, v47
	s_cbranch_vccnz .LBB42_44
; %bb.43:
	s_delay_alu instid0(VALU_DEP_3) | instskip(NEXT) | instid1(VALU_DEP_1)
	v_add_nc_u32_e32 v67, v9, v35
	v_ashrrev_i32_e32 v68, 31, v67
	s_delay_alu instid0(VALU_DEP_1) | instskip(NEXT) | instid1(VALU_DEP_1)
	v_lshlrev_b64_e32 v[67:68], 1, v[67:68]
	v_add_co_u32 v67, vcc_lo, s38, v67
	s_wait_alu 0xfffd
	s_delay_alu instid0(VALU_DEP_2) | instskip(SKIP_3) | instid1(VALU_DEP_1)
	v_add_co_ci_u32_e64 v68, null, s39, v68, vcc_lo
	global_load_u16 v10, v[67:68], off
	s_wait_loadcnt 0x0
	v_cvt_f32_f16_e32 v10, v10
	v_mul_f32_e32 v10, v40, v10
	s_branch .LBB42_45
.LBB42_44:
	v_mov_b32_e32 v10, 0
.LBB42_45:
	s_delay_alu instid0(VALU_DEP_1) | instskip(SKIP_1) | instid1(VALU_DEP_2)
	v_add_f32_e32 v17, v17, v10
	v_max_num_f32_e32 v5, v5, v5
	v_add_f32_e32 v10, 0x40051340, v17
	s_delay_alu instid0(VALU_DEP_1)
	v_max_num_f32_e32 v5, v5, v10
.LBB42_46:
	s_wait_alu 0xfffe
	s_or_b32 exec_lo, exec_lo, s4
	s_and_saveexec_b32 s4, s3
	s_cbranch_execz .LBB42_51
; %bb.47:
	v_cmp_ne_u32_e32 vcc_lo, 1, v47
	s_cbranch_vccnz .LBB42_49
; %bb.48:
	v_ashrrev_i32_e32 v10, 31, v9
	v_add_co_u32 v9, vcc_lo, v9, v35
	s_wait_alu 0xfffd
	s_delay_alu instid0(VALU_DEP_2) | instskip(NEXT) | instid1(VALU_DEP_1)
	v_add_co_ci_u32_e64 v10, null, 0, v10, vcc_lo
	v_lshlrev_b64_e32 v[9:10], 1, v[9:10]
	s_delay_alu instid0(VALU_DEP_1) | instskip(SKIP_1) | instid1(VALU_DEP_2)
	v_add_co_u32 v9, vcc_lo, s38, v9
	s_wait_alu 0xfffd
	v_add_co_ci_u32_e64 v10, null, s39, v10, vcc_lo
	global_load_u16 v9, v[9:10], off offset:64
	s_wait_loadcnt 0x0
	v_cvt_f32_f16_e32 v9, v9
	s_delay_alu instid0(VALU_DEP_1)
	v_mul_f32_e32 v9, v40, v9
	s_branch .LBB42_50
.LBB42_49:
	v_mov_b32_e32 v9, 0
.LBB42_50:
	s_delay_alu instid0(VALU_DEP_1) | instskip(SKIP_1) | instid1(VALU_DEP_2)
	v_add_f32_e32 v13, v13, v9
	v_max_num_f32_e32 v5, v5, v5
	v_add_f32_e32 v9, 0x40051340, v13
	s_delay_alu instid0(VALU_DEP_1)
	v_max_num_f32_e32 v5, v5, v9
.LBB42_51:
	s_wait_alu 0xfffe
	s_or_b32 exec_lo, exec_lo, s4
	ds_bpermute_b32 v9, v49, v5
	v_max_num_f32_e32 v5, v5, v5
	v_mul_hi_u32 v10, s20, v46
	s_wait_dscnt 0x0
	v_max_num_f32_e32 v9, v9, v9
	s_delay_alu instid0(VALU_DEP_1) | instskip(SKIP_3) | instid1(VALU_DEP_1)
	v_max_num_f32_e32 v5, v5, v9
	ds_bpermute_b32 v9, v59, v5
	s_wait_dscnt 0x0
	v_max_num_f32_e32 v9, v9, v9
	v_max_num_f32_e32 v5, v5, v9
	ds_bpermute_b32 v9, v22, v5
	s_wait_dscnt 0x0
	v_max_num_f32_e32 v9, v9, v9
	s_delay_alu instid0(VALU_DEP_1) | instskip(SKIP_3) | instid1(VALU_DEP_1)
	v_max_num_f32_e32 v5, v5, v9
	ds_bpermute_b32 v9, v21, v5
	s_wait_dscnt 0x0
	v_max_num_f32_e32 v9, v9, v9
	v_max_num_f32_e32 v5, v5, v9
	v_add_nc_u32_e32 v9, v46, v10
	ds_bpermute_b32 v10, v20, v5
	v_lshrrev_b32_e32 v9, s21, v9
	s_delay_alu instid0(VALU_DEP_1) | instskip(NEXT) | instid1(VALU_DEP_1)
	v_mul_lo_u32 v9, v9, s22
	v_sub_nc_u32_e32 v9, v46, v9
	s_wait_dscnt 0x0
	v_max_num_f32_e32 v46, v10, v10
	s_delay_alu instid0(VALU_DEP_2) | instskip(NEXT) | instid1(VALU_DEP_2)
	v_mad_co_u64_u32 v[9:10], null, v9, s30, s[24:25]
	v_max_num_f32_e32 v5, v5, v46
	s_and_saveexec_b32 s4, s2
	s_cbranch_execz .LBB42_56
; %bb.52:
	v_cmp_ne_u32_e32 vcc_lo, 1, v47
	s_cbranch_vccnz .LBB42_54
; %bb.53:
	s_delay_alu instid0(VALU_DEP_3) | instskip(NEXT) | instid1(VALU_DEP_1)
	v_add_nc_u32_e32 v67, v9, v35
	v_ashrrev_i32_e32 v68, 31, v67
	s_delay_alu instid0(VALU_DEP_1) | instskip(NEXT) | instid1(VALU_DEP_1)
	v_lshlrev_b64_e32 v[67:68], 1, v[67:68]
	v_add_co_u32 v67, vcc_lo, s38, v67
	s_wait_alu 0xfffd
	s_delay_alu instid0(VALU_DEP_2) | instskip(SKIP_3) | instid1(VALU_DEP_1)
	v_add_co_ci_u32_e64 v68, null, s39, v68, vcc_lo
	global_load_u16 v10, v[67:68], off
	s_wait_loadcnt 0x0
	v_cvt_f32_f16_e32 v10, v10
	v_mul_f32_e32 v10, v40, v10
	s_branch .LBB42_55
.LBB42_54:
	v_mov_b32_e32 v10, 0
.LBB42_55:
	s_delay_alu instid0(VALU_DEP_1) | instskip(SKIP_1) | instid1(VALU_DEP_2)
	v_add_f32_e32 v16, v16, v10
	v_max_num_f32_e32 v6, v6, v6
	v_add_f32_e32 v10, 0x40051340, v16
	s_delay_alu instid0(VALU_DEP_1)
	v_max_num_f32_e32 v6, v6, v10
.LBB42_56:
	s_wait_alu 0xfffe
	s_or_b32 exec_lo, exec_lo, s4
	s_and_saveexec_b32 s4, s3
	s_cbranch_execz .LBB42_61
; %bb.57:
	v_cmp_ne_u32_e32 vcc_lo, 1, v47
	s_cbranch_vccnz .LBB42_59
; %bb.58:
	v_ashrrev_i32_e32 v10, 31, v9
	v_add_co_u32 v9, vcc_lo, v9, v35
	s_wait_alu 0xfffd
	s_delay_alu instid0(VALU_DEP_2) | instskip(NEXT) | instid1(VALU_DEP_1)
	v_add_co_ci_u32_e64 v10, null, 0, v10, vcc_lo
	v_lshlrev_b64_e32 v[9:10], 1, v[9:10]
	s_delay_alu instid0(VALU_DEP_1) | instskip(SKIP_1) | instid1(VALU_DEP_2)
	v_add_co_u32 v9, vcc_lo, s38, v9
	s_wait_alu 0xfffd
	v_add_co_ci_u32_e64 v10, null, s39, v10, vcc_lo
	global_load_u16 v9, v[9:10], off offset:64
	s_wait_loadcnt 0x0
	v_cvt_f32_f16_e32 v9, v9
	s_delay_alu instid0(VALU_DEP_1)
	v_mul_f32_e32 v9, v40, v9
	s_branch .LBB42_60
.LBB42_59:
	v_mov_b32_e32 v9, 0
.LBB42_60:
	s_delay_alu instid0(VALU_DEP_1) | instskip(SKIP_1) | instid1(VALU_DEP_2)
	v_add_f32_e32 v14, v14, v9
	v_max_num_f32_e32 v6, v6, v6
	v_add_f32_e32 v9, 0x40051340, v14
	s_delay_alu instid0(VALU_DEP_1)
	v_max_num_f32_e32 v6, v6, v9
.LBB42_61:
	s_wait_alu 0xfffe
	s_or_b32 exec_lo, exec_lo, s4
	ds_bpermute_b32 v9, v49, v6
	v_mul_hi_u32 v10, s20, v45
	s_wait_dscnt 0x0
	v_dual_max_num_f32 v6, v6, v6 :: v_dual_max_num_f32 v9, v9, v9
	s_delay_alu instid0(VALU_DEP_1) | instskip(SKIP_3) | instid1(VALU_DEP_1)
	v_max_num_f32_e32 v6, v6, v9
	ds_bpermute_b32 v9, v59, v6
	s_wait_dscnt 0x0
	v_max_num_f32_e32 v9, v9, v9
	v_max_num_f32_e32 v6, v6, v9
	ds_bpermute_b32 v9, v22, v6
	s_wait_dscnt 0x0
	v_max_num_f32_e32 v9, v9, v9
	s_delay_alu instid0(VALU_DEP_1) | instskip(SKIP_3) | instid1(VALU_DEP_1)
	v_max_num_f32_e32 v6, v6, v9
	ds_bpermute_b32 v9, v21, v6
	s_wait_dscnt 0x0
	v_max_num_f32_e32 v9, v9, v9
	v_dual_max_num_f32 v6, v6, v9 :: v_dual_add_nc_u32 v9, v45, v10
	ds_bpermute_b32 v10, v20, v6
	v_lshrrev_b32_e32 v9, s21, v9
	s_delay_alu instid0(VALU_DEP_1) | instskip(NEXT) | instid1(VALU_DEP_1)
	v_mul_lo_u32 v9, v9, s22
	v_sub_nc_u32_e32 v9, v45, v9
	s_wait_dscnt 0x0
	v_max_num_f32_e32 v45, v10, v10
	s_delay_alu instid0(VALU_DEP_2) | instskip(NEXT) | instid1(VALU_DEP_2)
	v_mad_co_u64_u32 v[9:10], null, v9, s30, s[24:25]
	v_max_num_f32_e32 v6, v6, v45
	s_and_saveexec_b32 s4, s2
	s_cbranch_execz .LBB42_66
; %bb.62:
	v_cmp_ne_u32_e32 vcc_lo, 1, v47
	s_cbranch_vccnz .LBB42_64
; %bb.63:
	s_delay_alu instid0(VALU_DEP_3) | instskip(NEXT) | instid1(VALU_DEP_1)
	v_add_nc_u32_e32 v45, v9, v35
	v_ashrrev_i32_e32 v46, 31, v45
	s_delay_alu instid0(VALU_DEP_1) | instskip(NEXT) | instid1(VALU_DEP_1)
	v_lshlrev_b64_e32 v[45:46], 1, v[45:46]
	v_add_co_u32 v45, vcc_lo, s38, v45
	s_wait_alu 0xfffd
	s_delay_alu instid0(VALU_DEP_2) | instskip(SKIP_3) | instid1(VALU_DEP_1)
	v_add_co_ci_u32_e64 v46, null, s39, v46, vcc_lo
	global_load_u16 v10, v[45:46], off
	s_wait_loadcnt 0x0
	v_cvt_f32_f16_e32 v10, v10
	v_mul_f32_e32 v10, v40, v10
	s_branch .LBB42_65
.LBB42_64:
	v_mov_b32_e32 v10, 0
.LBB42_65:
	s_delay_alu instid0(VALU_DEP_1) | instskip(SKIP_1) | instid1(VALU_DEP_2)
	v_add_f32_e32 v15, v15, v10
	v_max_num_f32_e32 v7, v7, v7
	v_add_f32_e32 v10, 0x40051340, v15
	s_delay_alu instid0(VALU_DEP_1)
	v_max_num_f32_e32 v7, v7, v10
.LBB42_66:
	s_wait_alu 0xfffe
	s_or_b32 exec_lo, exec_lo, s4
	s_and_saveexec_b32 s2, s3
	s_cbranch_execz .LBB42_71
; %bb.67:
	v_cmp_ne_u32_e32 vcc_lo, 1, v47
	s_cbranch_vccnz .LBB42_69
; %bb.68:
	v_ashrrev_i32_e32 v10, 31, v9
	v_add_co_u32 v9, vcc_lo, v9, v35
	s_wait_alu 0xfffd
	s_delay_alu instid0(VALU_DEP_2) | instskip(NEXT) | instid1(VALU_DEP_1)
	v_add_co_ci_u32_e64 v10, null, 0, v10, vcc_lo
	v_lshlrev_b64_e32 v[9:10], 1, v[9:10]
	s_delay_alu instid0(VALU_DEP_1) | instskip(SKIP_1) | instid1(VALU_DEP_2)
	v_add_co_u32 v9, vcc_lo, s38, v9
	s_wait_alu 0xfffd
	v_add_co_ci_u32_e64 v10, null, s39, v10, vcc_lo
	global_load_u16 v9, v[9:10], off offset:64
	s_wait_loadcnt 0x0
	v_cvt_f32_f16_e32 v9, v9
	s_delay_alu instid0(VALU_DEP_1)
	v_mul_f32_e32 v9, v40, v9
	s_branch .LBB42_70
.LBB42_69:
	v_mov_b32_e32 v9, 0
.LBB42_70:
	s_delay_alu instid0(VALU_DEP_1) | instskip(NEXT) | instid1(VALU_DEP_1)
	v_dual_add_f32 v12, v12, v9 :: v_dual_max_num_f32 v7, v7, v7
	v_add_f32_e32 v9, 0x40051340, v12
	s_delay_alu instid0(VALU_DEP_1)
	v_max_num_f32_e32 v7, v7, v9
.LBB42_71:
	s_wait_alu 0xfffe
	s_or_b32 exec_lo, exec_lo, s2
	ds_bpermute_b32 v9, v49, v7
	v_max_num_f32_e32 v7, v7, v7
	s_mov_b64 s[8:9], src_private_base
	s_mov_b32 s41, s40
	s_mov_b32 s42, s40
	s_wait_loadcnt_dscnt 0x0
	s_barrier_signal -1
	s_barrier_wait -1
	global_inv scope:SCOPE_SE
	v_sub_f32_e32 v1, v1, v5
	s_ashr_i32 s15, s14, 31
	v_dual_mov_b32 v76, 0 :: v_dual_lshlrev_b32 v75, 2, v28
	v_add_nc_u32_e32 v78, 8, v39
	v_add_nc_u32_e32 v82, 24, v39
	;; [unrolled: 1-line block ×3, first 2 shown]
	s_delay_alu instid0(VALU_DEP_4) | instskip(NEXT) | instid1(VALU_DEP_4)
	v_dual_sub_f32 v0, v0, v4 :: v_dual_add_nc_u32 v77, v37, v75
	v_lshl_add_u32 v79, v78, 9, v75
	s_delay_alu instid0(VALU_DEP_4) | instskip(SKIP_2) | instid1(VALU_DEP_2)
	v_lshl_add_u32 v83, v82, 9, v75
	v_max_num_f32_e32 v9, v9, v9
	v_lshl_add_u32 v81, v80, 9, v75
	v_dual_sub_f32 v2, v2, v6 :: v_dual_max_num_f32 v7, v7, v9
	ds_bpermute_b32 v9, v59, v7
	s_wait_dscnt 0x0
	v_max_num_f32_e32 v9, v9, v9
	s_delay_alu instid0(VALU_DEP_1) | instskip(SKIP_3) | instid1(VALU_DEP_1)
	v_max_num_f32_e32 v7, v7, v9
	ds_bpermute_b32 v9, v22, v7
	s_wait_dscnt 0x0
	v_max_num_f32_e32 v9, v9, v9
	v_max_num_f32_e32 v7, v7, v9
	ds_bpermute_b32 v9, v21, v7
	s_wait_dscnt 0x0
	v_max_num_f32_e32 v9, v9, v9
	s_delay_alu instid0(VALU_DEP_1) | instskip(SKIP_3) | instid1(VALU_DEP_1)
	v_max_num_f32_e32 v7, v7, v9
	ds_bpermute_b32 v9, v20, v7
	s_wait_dscnt 0x0
	v_max_num_f32_e32 v9, v9, v9
	v_max_num_f32_e32 v7, v7, v9
	v_sub_f32_e32 v9, v18, v4
	s_delay_alu instid0(VALU_DEP_1) | instskip(SKIP_2) | instid1(VALU_DEP_3)
	v_dual_sub_f32 v15, v15, v7 :: v_dual_mul_f32 v10, 0x3fb8aa3b, v9
	v_cmp_ngt_f32_e32 vcc_lo, 0xc2ce8ed0, v9
	v_cmp_nlt_f32_e64 s2, 0x42b17218, v9
	v_cmp_ngt_f32_e64 s7, 0xc2ce8ed0, v15
	s_delay_alu instid0(VALU_DEP_4) | instskip(SKIP_1) | instid1(VALU_DEP_2)
	v_fma_f32 v18, 0x3fb8aa3b, v9, -v10
	v_cmp_nlt_f32_e64 s8, 0x42b17218, v15
	v_fmac_f32_e32 v18, 0x32a5705f, v9
	v_sub_f32_e32 v9, v17, v5
	s_delay_alu instid0(VALU_DEP_1) | instskip(SKIP_2) | instid1(VALU_DEP_3)
	v_mul_f32_e32 v17, 0x3fb8aa3b, v9
	v_cmp_ngt_f32_e64 s3, 0xc2ce8ed0, v9
	v_cmp_nlt_f32_e64 s4, 0x42b17218, v9
	v_fma_f32 v20, 0x3fb8aa3b, v9, -v17
	s_delay_alu instid0(VALU_DEP_1) | instskip(NEXT) | instid1(VALU_DEP_1)
	v_dual_fmac_f32 v20, 0x32a5705f, v9 :: v_dual_sub_f32 v9, v16, v6
	v_mul_f32_e32 v16, 0x3fb8aa3b, v9
	v_cmp_ngt_f32_e64 s5, 0xc2ce8ed0, v9
	v_cmp_nlt_f32_e64 s6, 0x42b17218, v9
	s_delay_alu instid0(VALU_DEP_3) | instskip(NEXT) | instid1(VALU_DEP_1)
	v_fma_f32 v21, 0x3fb8aa3b, v9, -v16
	v_fmac_f32_e32 v21, 0x32a5705f, v9
	v_rndne_f32_e32 v9, v10
	s_delay_alu instid0(VALU_DEP_1) | instskip(SKIP_1) | instid1(VALU_DEP_2)
	v_sub_f32_e32 v10, v10, v9
	v_cvt_i32_f32_e32 v9, v9
	v_add_f32_e32 v10, v10, v18
	v_rndne_f32_e32 v18, v17
	s_delay_alu instid0(VALU_DEP_2) | instskip(NEXT) | instid1(VALU_DEP_1)
	v_exp_f32_e32 v10, v10
	v_sub_f32_e32 v17, v17, v18
	s_delay_alu instid0(VALU_DEP_1) | instskip(SKIP_1) | instid1(TRANS32_DEP_1)
	v_add_f32_e32 v17, v17, v20
	v_rndne_f32_e32 v20, v16
	v_ldexp_f32 v9, v10, v9
	s_delay_alu instid0(VALU_DEP_3) | instskip(SKIP_2) | instid1(VALU_DEP_2)
	v_exp_f32_e32 v10, v17
	v_cvt_i32_f32_e32 v17, v18
	s_wait_alu 0xfffd
	v_dual_sub_f32 v16, v16, v20 :: v_dual_cndmask_b32 v9, 0, v9
	v_cmp_gt_u32_e32 vcc_lo, s29, v35
	s_delay_alu instid0(VALU_DEP_2) | instskip(SKIP_1) | instid1(VALU_DEP_3)
	v_add_f32_e32 v16, v16, v21
	s_wait_alu 0xf1ff
	v_cndmask_b32_e64 v9, 0x7f800000, v9, s2
	s_delay_alu instid0(TRANS32_DEP_1)
	v_ldexp_f32 v10, v10, v17
	v_mul_f32_e32 v17, 0x3fb8aa3b, v15
	v_exp_f32_e32 v16, v16
	s_wait_alu 0xfffd
	v_cndmask_b32_e32 v46, 0, v9, vcc_lo
	v_cndmask_b32_e64 v10, 0, v10, s3
	v_fma_f32 v18, 0x3fb8aa3b, v15, -v17
	v_rndne_f32_e32 v21, v17
	s_delay_alu instid0(VALU_DEP_4) | instskip(NEXT) | instid1(VALU_DEP_4)
	v_cvt_f16_f32_e32 v9, v46
	v_cndmask_b32_e64 v10, 0x7f800000, v10, s4
	s_delay_alu instid0(VALU_DEP_3) | instskip(NEXT) | instid1(VALU_DEP_2)
	v_dual_fmac_f32 v18, 0x32a5705f, v15 :: v_dual_sub_f32 v17, v17, v21
	v_cndmask_b32_e32 v45, 0, v10, vcc_lo
	s_delay_alu instid0(VALU_DEP_2) | instskip(SKIP_1) | instid1(VALU_DEP_3)
	v_add_f32_e32 v17, v17, v18
	v_cvt_i32_f32_e32 v18, v20
	v_cvt_f16_f32_e32 v10, v45
	s_delay_alu instid0(VALU_DEP_3) | instskip(SKIP_1) | instid1(VALU_DEP_3)
	v_exp_f32_e32 v15, v17
	v_cvt_i32_f32_e32 v17, v21
	v_ldexp_f32 v16, v16, v18
	s_delay_alu instid0(VALU_DEP_3) | instskip(NEXT) | instid1(VALU_DEP_2)
	v_pack_b32_f16 v9, v9, v10
	v_cndmask_b32_e64 v16, 0, v16, s5
	s_delay_alu instid0(TRANS32_DEP_1) | instid1(VALU_DEP_4)
	v_ldexp_f32 v15, v15, v17
	s_delay_alu instid0(VALU_DEP_2) | instskip(NEXT) | instid1(VALU_DEP_2)
	v_cndmask_b32_e64 v16, 0x7f800000, v16, s6
	v_cndmask_b32_e64 v15, 0, v15, s7
	s_delay_alu instid0(VALU_DEP_2) | instskip(SKIP_1) | instid1(VALU_DEP_2)
	v_cndmask_b32_e32 v40, 0, v16, vcc_lo
	s_wait_alu 0xfffe
	v_cndmask_b32_e64 v15, 0x7f800000, v15, s8
	s_delay_alu instid0(VALU_DEP_2) | instskip(NEXT) | instid1(VALU_DEP_2)
	v_cvt_f16_f32_e32 v10, v40
	v_cndmask_b32_e32 v47, 0, v15, vcc_lo
	s_delay_alu instid0(VALU_DEP_1) | instskip(NEXT) | instid1(VALU_DEP_1)
	v_cvt_f16_f32_e32 v15, v47
	v_pack_b32_f16 v10, v10, v15
	v_add_nc_u32_e32 v15, 0x8400, v37
	s_delay_alu instid0(VALU_DEP_1) | instskip(SKIP_2) | instid1(VALU_DEP_1)
	v_add_nc_u32_e32 v16, v15, v38
	ds_store_b64 v16, v[9:10]
	v_sub_f32_e32 v9, v11, v4
	v_mul_f32_e32 v10, 0x3fb8aa3b, v9
	v_cmp_ngt_f32_e32 vcc_lo, 0xc2ce8ed0, v9
	v_cmp_nlt_f32_e64 s2, 0x42b17218, v9
	s_delay_alu instid0(VALU_DEP_3) | instskip(NEXT) | instid1(VALU_DEP_1)
	v_fma_f32 v11, 0x3fb8aa3b, v9, -v10
	v_fmac_f32_e32 v11, 0x32a5705f, v9
	v_sub_f32_e32 v9, v13, v5
	s_delay_alu instid0(VALU_DEP_1) | instskip(SKIP_2) | instid1(VALU_DEP_3)
	v_mul_f32_e32 v13, 0x3fb8aa3b, v9
	v_cmp_ngt_f32_e64 s3, 0xc2ce8ed0, v9
	v_cmp_nlt_f32_e64 s4, 0x42b17218, v9
	v_fma_f32 v16, 0x3fb8aa3b, v9, -v13
	s_delay_alu instid0(VALU_DEP_1) | instskip(NEXT) | instid1(VALU_DEP_1)
	v_dual_fmac_f32 v16, 0x32a5705f, v9 :: v_dual_sub_f32 v9, v14, v6
	v_mul_f32_e32 v14, 0x3fb8aa3b, v9
	v_cmp_ngt_f32_e64 s5, 0xc2ce8ed0, v9
	v_cmp_nlt_f32_e64 s6, 0x42b17218, v9
	s_delay_alu instid0(VALU_DEP_3) | instskip(NEXT) | instid1(VALU_DEP_1)
	v_fma_f32 v17, 0x3fb8aa3b, v9, -v14
	v_fmac_f32_e32 v17, 0x32a5705f, v9
	v_rndne_f32_e32 v9, v10
	s_delay_alu instid0(VALU_DEP_1) | instskip(SKIP_1) | instid1(VALU_DEP_2)
	v_sub_f32_e32 v10, v10, v9
	v_cvt_i32_f32_e32 v9, v9
	v_add_f32_e32 v10, v10, v11
	v_rndne_f32_e32 v11, v13
	s_delay_alu instid0(VALU_DEP_2) | instskip(NEXT) | instid1(VALU_DEP_1)
	v_exp_f32_e32 v10, v10
	v_sub_f32_e32 v13, v13, v11
	v_cvt_i32_f32_e32 v11, v11
	s_delay_alu instid0(VALU_DEP_2) | instskip(SKIP_1) | instid1(TRANS32_DEP_1)
	v_add_f32_e32 v13, v13, v16
	v_rndne_f32_e32 v16, v14
	v_ldexp_f32 v9, v10, v9
	s_delay_alu instid0(VALU_DEP_3) | instskip(SKIP_1) | instid1(VALU_DEP_1)
	v_exp_f32_e32 v10, v13
	s_wait_alu 0xfffd
	v_dual_sub_f32 v14, v14, v16 :: v_dual_cndmask_b32 v9, 0, v9
	v_cmp_gt_u32_e32 vcc_lo, s29, v19
	s_delay_alu instid0(VALU_DEP_2) | instskip(SKIP_1) | instid1(VALU_DEP_3)
	v_add_f32_e32 v14, v14, v17
	s_wait_alu 0xf1ff
	v_cndmask_b32_e64 v9, 0x7f800000, v9, s2
	s_delay_alu instid0(TRANS32_DEP_1) | instskip(SKIP_2) | instid1(VALU_DEP_3)
	v_ldexp_f32 v10, v10, v11
	v_sub_f32_e32 v11, v12, v7
	s_wait_alu 0xfffd
	v_cndmask_b32_e32 v67, 0, v9, vcc_lo
	s_delay_alu instid0(VALU_DEP_3) | instskip(NEXT) | instid1(VALU_DEP_3)
	v_cndmask_b32_e64 v10, 0, v10, s3
	v_mul_f32_e32 v12, 0x3fb8aa3b, v11
	v_cmp_ngt_f32_e64 s7, 0xc2ce8ed0, v11
	v_cmp_nlt_f32_e64 s8, 0x42b17218, v11
	v_cvt_f16_f32_e32 v9, v67
	v_cndmask_b32_e64 v10, 0x7f800000, v10, s4
	v_fma_f32 v13, 0x3fb8aa3b, v11, -v12
	v_rndne_f32_e32 v17, v12
	s_mul_u64 s[2:3], s[24:25], s[14:15]
	s_delay_alu instid0(VALU_DEP_3) | instskip(NEXT) | instid1(VALU_DEP_2)
	v_cndmask_b32_e32 v59, 0, v10, vcc_lo
	v_dual_fmac_f32 v13, 0x32a5705f, v11 :: v_dual_sub_f32 v12, v12, v17
	s_wait_alu 0xfffe
	s_lshl_b64 s[2:3], s[2:3], 2
	s_delay_alu instid0(VALU_DEP_2) | instskip(NEXT) | instid1(VALU_DEP_2)
	v_cvt_f16_f32_e32 v10, v59
	v_add_f32_e32 v12, v12, v13
	v_exp_f32_e32 v13, v14
	v_cvt_i32_f32_e32 v14, v16
	s_delay_alu instid0(VALU_DEP_3) | instskip(NEXT) | instid1(VALU_DEP_3)
	v_pack_b32_f16 v9, v9, v10
	v_exp_f32_e32 v11, v12
	v_cvt_i32_f32_e32 v12, v17
	s_delay_alu instid0(TRANS32_DEP_2) | instid1(VALU_DEP_3)
	v_ldexp_f32 v13, v13, v14
	s_delay_alu instid0(TRANS32_DEP_1) | instid1(VALU_DEP_2)
	v_ldexp_f32 v11, v11, v12
	s_delay_alu instid0(VALU_DEP_2) | instskip(SKIP_2) | instid1(VALU_DEP_2)
	v_cndmask_b32_e64 v12, 0, v13, s5
	s_wait_alu 0xfffe
	s_add_nc_u64 s[4:5], s[26:27], s[2:3]
	v_cndmask_b32_e64 v11, 0, v11, s7
	s_delay_alu instid0(VALU_DEP_2) | instskip(SKIP_1) | instid1(VALU_DEP_2)
	v_cndmask_b32_e64 v12, 0x7f800000, v12, s6
	s_lshl_b32 s6, s14, 3
	v_cndmask_b32_e64 v11, 0x7f800000, v11, s8
	s_delay_alu instid0(VALU_DEP_2) | instskip(SKIP_1) | instid1(VALU_DEP_3)
	v_dual_cndmask_b32 v49, 0, v12 :: v_dual_mov_b32 v12, s40
	v_dual_mov_b32 v13, s41 :: v_dual_mov_b32 v14, s42
	v_cndmask_b32_e32 v48, 0, v11, vcc_lo
	s_delay_alu instid0(VALU_DEP_3)
	v_cvt_f16_f32_e32 v10, v49
	v_cmp_gt_i32_e32 vcc_lo, s29, v39
	s_clause 0x1
	scratch_store_b32 off, v76, off
	scratch_store_b96 off, v[12:14], off offset:4
	v_cvt_f16_f32_e32 v11, v48
	s_delay_alu instid0(VALU_DEP_1) | instskip(SKIP_3) | instid1(VALU_DEP_1)
	v_pack_b32_f16 v10, v10, v11
	v_lshl_add_u32 v11, v19, 3, v15
	ds_store_b64 v11, v[9:10]
	v_ashrrev_i32_e32 v9, 31, v8
	v_lshlrev_b64_e32 v[15:16], 2, v[8:9]
	s_wait_alu 0xfffe
	s_delay_alu instid0(VALU_DEP_1) | instskip(SKIP_1) | instid1(VALU_DEP_2)
	v_add_co_u32 v9, s2, s4, v15
	s_wait_alu 0xf1ff
	v_add_co_ci_u32_e64 v10, null, s5, v16, s2
	s_delay_alu instid0(VALU_DEP_2) | instskip(SKIP_1) | instid1(VALU_DEP_2)
	v_add_co_u32 v9, s3, v9, v75
	s_wait_alu 0xf1ff
	v_add_co_ci_u32_e64 v10, null, 0, v10, s3
	s_wait_alu 0xfffd
	s_delay_alu instid0(VALU_DEP_2) | instskip(NEXT) | instid1(VALU_DEP_2)
	v_cndmask_b32_e32 v9, 0, v9, vcc_lo
	v_dual_cndmask_b32 v10, s9, v10 :: v_dual_sub_f32 v3, v3, v7
	v_cmp_gt_i32_e32 vcc_lo, s29, v78
	flat_load_b128 v[17:20], v[9:10]
	v_cmp_ngt_f32_e64 s7, 0xc2ce8ed0, v3
	v_cmp_nlt_f32_e64 s8, 0x42b17218, v3
	s_wait_loadcnt_dscnt 0x0
	ds_store_b128 v77, v[17:20]
	v_add_nc_u32_e32 v19, s6, v8
	s_clause 0x1
	scratch_store_b32 off, v76, off
	scratch_store_b96 off, v[12:14], off offset:4
	v_ashrrev_i32_e32 v20, 31, v19
	v_add_nc_u32_e32 v21, s6, v19
	s_delay_alu instid0(VALU_DEP_2) | instskip(NEXT) | instid1(VALU_DEP_2)
	v_lshlrev_b64_e32 v[17:18], 2, v[19:20]
	v_ashrrev_i32_e32 v22, 31, v21
	s_delay_alu instid0(VALU_DEP_2) | instskip(SKIP_1) | instid1(VALU_DEP_3)
	v_add_co_u32 v8, s2, s4, v17
	s_wait_alu 0xf1ff
	v_add_co_ci_u32_e64 v9, null, s5, v18, s2
	s_delay_alu instid0(VALU_DEP_3) | instskip(NEXT) | instid1(VALU_DEP_3)
	v_lshlrev_b64_e32 v[19:20], 2, v[21:22]
	v_add_co_u32 v8, s3, v8, v75
	s_wait_alu 0xf1ff
	s_delay_alu instid0(VALU_DEP_3) | instskip(SKIP_1) | instid1(VALU_DEP_2)
	v_add_co_ci_u32_e64 v9, null, 0, v9, s3
	s_wait_alu 0xfffd
	v_cndmask_b32_e32 v8, 0, v8, vcc_lo
	s_delay_alu instid0(VALU_DEP_2)
	v_cndmask_b32_e32 v9, s9, v9, vcc_lo
	v_cmp_gt_i32_e32 vcc_lo, s29, v80
	flat_load_b128 v[8:11], v[8:9]
	s_wait_loadcnt_dscnt 0x0
	ds_store_b128 v79, v[8:11]
	v_add_co_u32 v8, s2, s4, v19
	s_wait_alu 0xf1ff
	v_add_co_ci_u32_e64 v9, null, s5, v20, s2
	s_clause 0x1
	scratch_store_b32 off, v76, off
	scratch_store_b96 off, v[12:14], off offset:4
	v_add_co_u32 v8, s3, v8, v75
	s_wait_alu 0xf1ff
	v_add_co_ci_u32_e64 v9, null, 0, v9, s3
	s_wait_alu 0xfffd
	s_delay_alu instid0(VALU_DEP_2) | instskip(NEXT) | instid1(VALU_DEP_2)
	v_cndmask_b32_e32 v8, 0, v8, vcc_lo
	v_cndmask_b32_e32 v9, s9, v9, vcc_lo
	v_cmp_gt_i32_e32 vcc_lo, s29, v82
	flat_load_b128 v[8:11], v[8:9]
	s_wait_loadcnt_dscnt 0x0
	ds_store_b128 v81, v[8:11]
	v_add_nc_u32_e32 v8, s6, v21
	s_clause 0x1
	scratch_store_b32 off, v76, off
	scratch_store_b96 off, v[12:14], off offset:4
	v_cmp_nlt_f32_e64 s6, 0x42b17218, v2
	v_ashrrev_i32_e32 v9, 31, v8
	s_delay_alu instid0(VALU_DEP_1) | instskip(NEXT) | instid1(VALU_DEP_1)
	v_lshlrev_b64_e32 v[21:22], 2, v[8:9]
	v_add_co_u32 v8, s2, s4, v21
	s_wait_alu 0xf1ff
	s_delay_alu instid0(VALU_DEP_2) | instskip(SKIP_1) | instid1(VALU_DEP_3)
	v_add_co_ci_u32_e64 v9, null, s5, v22, s2
	v_cmp_nlt_f32_e64 s2, 0x42b17218, v0
	v_add_co_u32 v8, s3, v8, v75
	s_wait_alu 0xf1ff
	s_delay_alu instid0(VALU_DEP_3)
	v_add_co_ci_u32_e64 v9, null, 0, v9, s3
	v_cmp_ngt_f32_e64 s3, 0xc2ce8ed0, v1
	s_wait_alu 0xfffd
	v_cndmask_b32_e32 v8, 0, v8, vcc_lo
	v_cmp_nlt_f32_e64 s4, 0x42b17218, v1
	v_cndmask_b32_e32 v9, s9, v9, vcc_lo
	v_cmp_ngt_f32_e32 vcc_lo, 0xc2ce8ed0, v0
	v_cmp_ngt_f32_e64 s5, 0xc2ce8ed0, v2
	flat_load_b128 v[8:11], v[8:9]
	s_wait_loadcnt_dscnt 0x0
	ds_store_b128 v83, v[8:11]
	v_mul_f32_e32 v8, 0x3fb8aa3b, v0
	s_wait_storecnt_dscnt 0x0
	s_barrier_signal -1
	s_barrier_wait -1
	global_inv scope:SCOPE_SE
	v_fma_f32 v9, 0x3fb8aa3b, v0, -v8
	s_delay_alu instid0(VALU_DEP_1) | instskip(SKIP_1) | instid1(VALU_DEP_1)
	v_fmac_f32_e32 v9, 0x32a5705f, v0
	v_mul_f32_e32 v0, 0x3fb8aa3b, v1
	v_fma_f32 v10, 0x3fb8aa3b, v1, -v0
	s_delay_alu instid0(VALU_DEP_1) | instskip(SKIP_1) | instid1(VALU_DEP_1)
	v_fmac_f32_e32 v10, 0x32a5705f, v1
	v_mul_f32_e32 v1, 0x3fb8aa3b, v2
	v_fma_f32 v11, 0x3fb8aa3b, v2, -v1
	s_delay_alu instid0(VALU_DEP_1) | instskip(SKIP_1) | instid1(VALU_DEP_1)
	v_fmac_f32_e32 v11, 0x32a5705f, v2
	v_rndne_f32_e32 v2, v8
	v_sub_f32_e32 v8, v8, v2
	v_cvt_i32_f32_e32 v2, v2
	s_delay_alu instid0(VALU_DEP_2) | instskip(SKIP_1) | instid1(VALU_DEP_2)
	v_add_f32_e32 v8, v8, v9
	v_rndne_f32_e32 v9, v0
	v_exp_f32_e32 v8, v8
	s_delay_alu instid0(VALU_DEP_1) | instskip(NEXT) | instid1(VALU_DEP_1)
	v_sub_f32_e32 v0, v0, v9
	v_add_f32_e32 v0, v0, v10
	v_rndne_f32_e32 v10, v1
	s_delay_alu instid0(TRANS32_DEP_1) | instskip(NEXT) | instid1(VALU_DEP_3)
	v_ldexp_f32 v72, v8, v2
	v_exp_f32_e32 v0, v0
	v_cvt_i32_f32_e32 v2, v9
	s_wait_alu 0xfffd
	s_delay_alu instid0(VALU_DEP_2) | instskip(NEXT) | instid1(VALU_DEP_1)
	v_dual_sub_f32 v1, v1, v10 :: v_dual_cndmask_b32 v72, 0, v72
	v_add_f32_e32 v1, v1, v11
	s_delay_alu instid0(TRANS32_DEP_1) | instid1(VALU_DEP_3)
	v_ldexp_f32 v73, v0, v2
	v_mul_f32_e32 v0, 0x3fb8aa3b, v3
	s_delay_alu instid0(VALU_DEP_3) | instskip(SKIP_1) | instid1(VALU_DEP_2)
	v_exp_f32_e32 v1, v1
	s_wait_alu 0xf1ff
	v_cndmask_b32_e64 v73, 0, v73, s3
	s_delay_alu instid0(VALU_DEP_2) | instskip(SKIP_1) | instid1(VALU_DEP_3)
	v_fma_f32 v2, 0x3fb8aa3b, v3, -v0
	v_rndne_f32_e32 v8, v0
	v_cndmask_b32_e64 v73, 0x7f800000, v73, s4
	s_delay_alu instid0(VALU_DEP_3) | instskip(NEXT) | instid1(VALU_DEP_3)
	v_fmac_f32_e32 v2, 0x32a5705f, v3
	v_sub_f32_e32 v0, v0, v8
	s_delay_alu instid0(VALU_DEP_3) | instskip(NEXT) | instid1(VALU_DEP_2)
	v_cvt_f16_f32_e32 v85, v73
	v_add_f32_e32 v0, v0, v2
	v_cvt_i32_f32_e32 v2, v10
	s_delay_alu instid0(VALU_DEP_3) | instskip(NEXT) | instid1(VALU_DEP_3)
	v_and_b32_e32 v85, 0xffff, v85
	v_exp_f32_e32 v0, v0
	s_delay_alu instid0(VALU_DEP_2) | instskip(SKIP_1) | instid1(VALU_DEP_3)
	v_ldexp_f32 v74, v1, v2
	v_cvt_i32_f32_e32 v1, v8
	v_mul_u32_u24_e32 v85, 0x10001, v85
	s_delay_alu instid0(VALU_DEP_1)
	v_pk_mul_f16 v63, v63, v85
	v_pk_mul_f16 v60, v60, v85
	s_delay_alu instid0(TRANS32_DEP_1) | instid1(VALU_DEP_4)
	v_ldexp_f32 v0, v0, v1
	v_pk_mul_f16 v61, v61, v85
	s_delay_alu instid0(VALU_DEP_2) | instskip(NEXT) | instid1(VALU_DEP_1)
	v_cndmask_b32_e64 v0, 0, v0, s7
	v_cndmask_b32_e64 v68, 0x7f800000, v0, s8
	s_delay_alu instid0(VALU_DEP_1) | instskip(NEXT) | instid1(VALU_DEP_1)
	v_cvt_f16_f32_e32 v0, v68
	v_and_b32_e32 v0, 0xffff, v0
	s_delay_alu instid0(VALU_DEP_1) | instskip(NEXT) | instid1(VALU_DEP_1)
	v_mul_u32_u24_e32 v0, 0x10001, v0
	v_pk_mul_f16 v55, v55, v0
	v_pk_mul_f16 v56, v56, v0
	;; [unrolled: 1-line block ×4, first 2 shown]
	ds_load_b128 v[0:3], v37 offset:33792
	s_wait_dscnt 0x0
	v_lshrrev_b32_e32 v8, 16, v1
	v_and_b32_e32 v87, 0xffff, v0
	v_lshrrev_b32_e32 v0, 16, v0
	v_and_b32_e32 v1, 0xffff, v1
	s_delay_alu instid0(VALU_DEP_4)
	v_mul_u32_u24_e32 v84, 0x10001, v8
	ds_load_2addr_b64 v[8:11], v38 offset1:32
	v_mul_u32_u24_e32 v87, 0x10001, v87
	v_mul_u32_u24_e32 v0, 0x10001, v0
	;; [unrolled: 1-line block ×3, first 2 shown]
	s_wait_dscnt 0x0
	v_pk_fma_f16 v55, v8, v84, v55
	v_pk_fma_f16 v56, v9, v84, v56
	;; [unrolled: 1-line block ×4, first 2 shown]
	v_cndmask_b32_e64 v84, 0, v74, s5
	v_cndmask_b32_e64 v74, 0x7f800000, v72, s2
	v_pk_fma_f16 v63, v9, v0, v63
	v_pk_fma_f16 v60, v10, v0, v60
	;; [unrolled: 1-line block ×3, first 2 shown]
	v_cndmask_b32_e64 v72, 0x7f800000, v84, s6
	v_cvt_f16_f32_e32 v84, v74
	v_pk_mul_f16 v0, v8, v0
	s_or_b32 s2, s24, 32
	s_delay_alu instid0(VALU_DEP_3) | instskip(NEXT) | instid1(VALU_DEP_3)
	v_cvt_f16_f32_e32 v86, v72
	v_and_b32_e32 v84, 0xffff, v84
	s_delay_alu instid0(VALU_DEP_3)
	v_pk_fma_f16 v58, v58, v85, v0
	s_wait_alu 0xfffe
	s_ashr_i32 s3, s2, 31
	v_and_b32_e32 v86, 0xffff, v86
	v_mul_u32_u24_e32 v84, 0x10001, v84
	s_wait_alu 0xfffe
	s_mul_u64 s[2:3], s[2:3], s[14:15]
	s_wait_alu 0xfffe
	s_lshl_b64 s[2:3], s[2:3], 2
	v_mul_u32_u24_e32 v86, 0x10001, v86
	v_pk_mul_f16 v66, v66, v84
	v_pk_mul_f16 v64, v64, v84
	;; [unrolled: 1-line block ×3, first 2 shown]
	s_wait_alu 0xfffe
	s_add_nc_u64 s[4:5], s[26:27], s[2:3]
	v_pk_mul_f16 v57, v57, v86
	v_pk_mul_f16 v53, v53, v86
	;; [unrolled: 1-line block ×3, first 2 shown]
	v_pk_fma_f16 v66, v9, v87, v66
	v_pk_fma_f16 v64, v10, v87, v64
	;; [unrolled: 1-line block ×6, first 2 shown]
	v_pk_mul_f16 v1, v8, v1
	v_pk_mul_f16 v87, v8, v87
	v_lshrrev_b32_e32 v8, 16, v2
	v_lshrrev_b32_e32 v53, 16, v3
	v_and_b32_e32 v54, 0xffff, v2
	v_and_b32_e32 v57, 0xffff, v3
	v_pk_fma_f16 v50, v50, v86, v1
	ds_load_2addr_b64 v[0:3], v38 offset0:64 offset1:96
	v_mul_u32_u24_e32 v53, 0x10001, v53
	v_pk_fma_f16 v62, v62, v84, v87
	v_mul_u32_u24_e32 v8, 0x10001, v8
	s_sub_co_i32 s3, s29, 32
	s_wait_dscnt 0x0
	v_pk_fma_f16 v55, v0, v53, v55
	v_pk_fma_f16 v56, v1, v53, v56
	;; [unrolled: 1-line block ×4, first 2 shown]
	v_mul_u32_u24_e32 v53, 0x10001, v54
	v_pk_fma_f16 v60, v2, v8, v60
	v_pk_fma_f16 v61, v3, v8, v61
	;; [unrolled: 1-line block ×3, first 2 shown]
	s_delay_alu instid0(VALU_DEP_4)
	v_pk_fma_f16 v54, v1, v53, v66
	v_pk_fma_f16 v64, v2, v53, v64
	;; [unrolled: 1-line block ×5, first 2 shown]
	v_mul_u32_u24_e32 v8, 0x10001, v57
	s_delay_alu instid0(VALU_DEP_1)
	v_pk_fma_f16 v57, v1, v8, v9
	v_pk_fma_f16 v63, v2, v8, v10
	;; [unrolled: 1-line block ×4, first 2 shown]
	ds_load_b128 v[0:3], v37 offset:33808
	s_wait_dscnt 0x0
	v_lshrrev_b32_e32 v8, 16, v1
	s_delay_alu instid0(VALU_DEP_1)
	v_mul_u32_u24_e32 v84, 0x10001, v8
	ds_load_2addr_b64 v[8:11], v38 offset0:128 offset1:160
	s_wait_dscnt 0x0
	v_pk_fma_f16 v55, v8, v84, v55
	v_pk_fma_f16 v56, v9, v84, v56
	v_pk_fma_f16 v52, v10, v84, v52
	v_pk_fma_f16 v51, v11, v84, v51
	v_and_b32_e32 v84, 0xffff, v0
	v_lshrrev_b32_e32 v0, 16, v0
	s_delay_alu instid0(VALU_DEP_2) | instskip(NEXT) | instid1(VALU_DEP_2)
	v_mul_u32_u24_e32 v84, 0x10001, v84
	v_mul_u32_u24_e32 v0, 0x10001, v0
	s_delay_alu instid0(VALU_DEP_2) | instskip(NEXT) | instid1(VALU_DEP_2)
	v_pk_fma_f16 v54, v9, v84, v54
	v_pk_fma_f16 v62, v9, v0, v62
	;; [unrolled: 1-line block ×5, first 2 shown]
	v_and_b32_e32 v0, 0xffff, v1
	v_pk_fma_f16 v64, v10, v84, v64
	v_pk_fma_f16 v65, v11, v84, v65
	;; [unrolled: 1-line block ×3, first 2 shown]
	s_delay_alu instid0(VALU_DEP_4) | instskip(NEXT) | instid1(VALU_DEP_1)
	v_mul_u32_u24_e32 v0, 0x10001, v0
	v_pk_fma_f16 v9, v9, v0, v57
	v_pk_fma_f16 v10, v10, v0, v63
	;; [unrolled: 1-line block ×4, first 2 shown]
	v_lshrrev_b32_e32 v0, 16, v3
	v_lshrrev_b32_e32 v50, 16, v2
	v_and_b32_e32 v57, 0xffff, v2
	v_and_b32_e32 v63, 0xffff, v3
	s_delay_alu instid0(VALU_DEP_4) | instskip(SKIP_4) | instid1(VALU_DEP_2)
	v_mul_u32_u24_e32 v66, 0x10001, v0
	ds_load_2addr_b64 v[0:3], v38 offset0:192 offset1:224
	v_mul_u32_u24_e32 v57, 0x10001, v57
	v_mul_u32_u24_e32 v50, 0x10001, v50
	s_wait_dscnt 0x0
	v_pk_fma_f16 v54, v1, v57, v54
	v_pk_fma_f16 v64, v2, v57, v64
	;; [unrolled: 1-line block ×8, first 2 shown]
	v_mul_u32_u24_e32 v50, 0x10001, v63
	v_pk_fma_f16 v55, v0, v66, v55
	v_pk_fma_f16 v56, v1, v66, v56
	v_pk_fma_f16 v52, v2, v66, v52
	v_pk_fma_f16 v51, v3, v66, v51
	v_pk_fma_f16 v62, v1, v50, v9
	v_pk_fma_f16 v63, v2, v50, v10
	v_pk_fma_f16 v66, v3, v50, v11
	v_pk_fma_f16 v84, v0, v50, v8
	ds_load_b128 v[0:3], v37 offset:33824
	v_add_nc_u32_e32 v50, 0x800, v38
	s_wait_dscnt 0x0
	v_lshrrev_b32_e32 v8, 16, v1
	s_delay_alu instid0(VALU_DEP_1)
	v_mul_u32_u24_e32 v85, 0x10001, v8
	ds_load_2addr_b64 v[8:11], v50 offset1:32
	s_wait_dscnt 0x0
	v_pk_fma_f16 v55, v8, v85, v55
	v_pk_fma_f16 v56, v9, v85, v56
	;; [unrolled: 1-line block ×4, first 2 shown]
	v_and_b32_e32 v85, 0xffff, v0
	v_lshrrev_b32_e32 v0, 16, v0
	s_delay_alu instid0(VALU_DEP_2) | instskip(NEXT) | instid1(VALU_DEP_2)
	v_mul_u32_u24_e32 v85, 0x10001, v85
	v_mul_u32_u24_e32 v0, 0x10001, v0
	s_delay_alu instid0(VALU_DEP_2) | instskip(NEXT) | instid1(VALU_DEP_2)
	v_pk_fma_f16 v54, v9, v85, v54
	v_pk_fma_f16 v57, v9, v0, v57
	;; [unrolled: 1-line block ×5, first 2 shown]
	v_and_b32_e32 v0, 0xffff, v1
	v_pk_fma_f16 v64, v10, v85, v64
	v_pk_fma_f16 v65, v11, v85, v65
	;; [unrolled: 1-line block ×3, first 2 shown]
	s_delay_alu instid0(VALU_DEP_4) | instskip(NEXT) | instid1(VALU_DEP_1)
	v_mul_u32_u24_e32 v0, 0x10001, v0
	v_pk_fma_f16 v9, v9, v0, v62
	v_pk_fma_f16 v10, v10, v0, v63
	;; [unrolled: 1-line block ×4, first 2 shown]
	v_lshrrev_b32_e32 v0, 16, v3
	v_lshrrev_b32_e32 v62, 16, v2
	v_and_b32_e32 v63, 0xffff, v2
	v_and_b32_e32 v66, 0xffff, v3
	s_delay_alu instid0(VALU_DEP_4) | instskip(SKIP_4) | instid1(VALU_DEP_2)
	v_mul_u32_u24_e32 v84, 0x10001, v0
	ds_load_2addr_b64 v[0:3], v50 offset0:64 offset1:96
	v_mul_u32_u24_e32 v62, 0x10001, v62
	v_mul_u32_u24_e32 v63, 0x10001, v63
	s_wait_dscnt 0x0
	v_pk_fma_f16 v57, v1, v62, v57
	v_pk_fma_f16 v60, v2, v62, v60
	v_pk_fma_f16 v61, v3, v62, v61
	v_pk_fma_f16 v58, v0, v62, v58
	v_mul_u32_u24_e32 v62, 0x10001, v66
	v_pk_fma_f16 v55, v0, v84, v55
	v_pk_fma_f16 v56, v1, v84, v56
	v_pk_fma_f16 v52, v2, v84, v52
	v_pk_fma_f16 v51, v3, v84, v51
	v_pk_fma_f16 v54, v1, v63, v54
	v_pk_fma_f16 v64, v2, v63, v64
	v_pk_fma_f16 v65, v3, v63, v65
	v_pk_fma_f16 v53, v0, v63, v53
	v_pk_fma_f16 v63, v1, v62, v9
	v_pk_fma_f16 v66, v2, v62, v10
	v_pk_fma_f16 v84, v3, v62, v11
	v_pk_fma_f16 v62, v0, v62, v8
	ds_load_b128 v[0:3], v37 offset:33840
	s_wait_dscnt 0x0
	v_lshrrev_b32_e32 v8, 16, v1
	s_delay_alu instid0(VALU_DEP_1)
	v_mul_u32_u24_e32 v85, 0x10001, v8
	ds_load_2addr_b64 v[8:11], v50 offset0:128 offset1:160
	s_wait_dscnt 0x0
	v_pk_fma_f16 v55, v8, v85, v55
	v_pk_fma_f16 v56, v9, v85, v56
	;; [unrolled: 1-line block ×4, first 2 shown]
	v_and_b32_e32 v85, 0xffff, v0
	v_lshrrev_b32_e32 v0, 16, v0
	s_delay_alu instid0(VALU_DEP_2) | instskip(NEXT) | instid1(VALU_DEP_2)
	v_mul_u32_u24_e32 v85, 0x10001, v85
	v_mul_u32_u24_e32 v0, 0x10001, v0
	s_delay_alu instid0(VALU_DEP_2) | instskip(NEXT) | instid1(VALU_DEP_2)
	v_pk_fma_f16 v54, v9, v85, v54
	v_pk_fma_f16 v57, v9, v0, v57
	;; [unrolled: 1-line block ×5, first 2 shown]
	v_and_b32_e32 v0, 0xffff, v1
	v_pk_fma_f16 v64, v10, v85, v64
	v_pk_fma_f16 v65, v11, v85, v65
	;; [unrolled: 1-line block ×3, first 2 shown]
	s_delay_alu instid0(VALU_DEP_4) | instskip(NEXT) | instid1(VALU_DEP_1)
	v_mul_u32_u24_e32 v0, 0x10001, v0
	v_pk_fma_f16 v9, v9, v0, v63
	v_pk_fma_f16 v10, v10, v0, v66
	v_pk_fma_f16 v11, v11, v0, v84
	v_pk_fma_f16 v8, v8, v0, v62
	v_lshrrev_b32_e32 v0, 16, v3
	v_lshrrev_b32_e32 v62, 16, v2
	v_and_b32_e32 v63, 0xffff, v2
	v_and_b32_e32 v66, 0xffff, v3
	s_delay_alu instid0(VALU_DEP_4)
	v_mul_u32_u24_e32 v84, 0x10001, v0
	ds_load_2addr_b64 v[0:3], v50 offset0:192 offset1:224
	s_wait_dscnt 0x0
	v_pk_fma_f16 v87, v3, v84, v51
	v_mul_u32_u24_e32 v51, 0x10001, v63
	v_pk_fma_f16 v85, v0, v84, v55
	v_pk_fma_f16 v56, v1, v84, v56
	;; [unrolled: 1-line block ×3, first 2 shown]
	s_delay_alu instid0(VALU_DEP_4) | instskip(SKIP_4) | instid1(VALU_DEP_1)
	v_pk_fma_f16 v63, v1, v51, v54
	v_pk_fma_f16 v88, v2, v51, v64
	v_pk_fma_f16 v65, v3, v51, v65
	v_pk_fma_f16 v89, v0, v51, v53
	v_mul_u32_u24_e32 v51, 0x10001, v62
	v_pk_fma_f16 v90, v1, v51, v57
	v_pk_fma_f16 v91, v2, v51, v60
	;; [unrolled: 1-line block ×4, first 2 shown]
	v_mul_u32_u24_e32 v51, 0x10001, v66
	s_delay_alu instid0(VALU_DEP_1)
	v_pk_fma_f16 v53, v1, v51, v9
	v_pk_fma_f16 v54, v2, v51, v10
	;; [unrolled: 1-line block ×4, first 2 shown]
	ds_load_b128 v[0:3], v37 offset:33856
	v_add_nc_u32_e32 v51, 0x1000, v38
	s_wait_dscnt 0x0
	v_lshrrev_b32_e32 v8, 16, v1
	v_and_b32_e32 v1, 0xffff, v1
	s_delay_alu instid0(VALU_DEP_2)
	v_mul_u32_u24_e32 v57, 0x10001, v8
	ds_load_2addr_b64 v[8:11], v51 offset1:32
	v_mul_u32_u24_e32 v1, 0x10001, v1
	s_wait_dscnt 0x0
	v_pk_fma_f16 v84, v8, v57, v85
	v_pk_fma_f16 v64, v9, v57, v56
	;; [unrolled: 1-line block ×4, first 2 shown]
	v_and_b32_e32 v57, 0xffff, v0
	v_lshrrev_b32_e32 v0, 16, v0
	v_pk_fma_f16 v53, v9, v1, v53
	v_pk_fma_f16 v54, v10, v1, v54
	;; [unrolled: 1-line block ×3, first 2 shown]
	v_mul_u32_u24_e32 v62, 0x10001, v57
	v_mul_u32_u24_e32 v0, 0x10001, v0
	v_pk_fma_f16 v1, v8, v1, v52
	v_lshrrev_b32_e32 v52, 16, v2
	v_and_b32_e32 v2, 0xffff, v2
	v_pk_fma_f16 v57, v9, v62, v63
	v_pk_fma_f16 v58, v10, v62, v88
	;; [unrolled: 1-line block ×8, first 2 shown]
	v_lshrrev_b32_e32 v8, 16, v3
	v_mul_u32_u24_e32 v2, 0x10001, v2
	v_and_b32_e32 v3, 0xffff, v3
	s_delay_alu instid0(VALU_DEP_3)
	v_mul_u32_u24_e32 v85, 0x10001, v8
	ds_load_2addr_b64 v[8:11], v51 offset0:64 offset1:96
	s_wait_dscnt 0x0
	v_pk_fma_f16 v57, v9, v2, v57
	v_pk_fma_f16 v58, v10, v2, v58
	;; [unrolled: 1-line block ×4, first 2 shown]
	v_mul_u32_u24_e32 v2, 0x10001, v52
	v_pk_fma_f16 v84, v8, v85, v84
	v_pk_fma_f16 v64, v9, v85, v64
	;; [unrolled: 1-line block ×8, first 2 shown]
	v_mul_u32_u24_e32 v0, 0x10001, v3
	s_delay_alu instid0(VALU_DEP_1)
	v_pk_fma_f16 v53, v9, v0, v53
	v_pk_fma_f16 v54, v10, v0, v54
	;; [unrolled: 1-line block ×4, first 2 shown]
	ds_load_b128 v[0:3], v37 offset:33872
	s_wait_dscnt 0x0
	v_lshrrev_b32_e32 v8, 16, v1
	s_delay_alu instid0(VALU_DEP_1)
	v_mul_u32_u24_e32 v86, 0x10001, v8
	ds_load_2addr_b64 v[8:11], v51 offset0:128 offset1:160
	s_wait_dscnt 0x0
	v_pk_fma_f16 v84, v8, v86, v84
	v_pk_fma_f16 v64, v9, v86, v64
	;; [unrolled: 1-line block ×4, first 2 shown]
	v_and_b32_e32 v86, 0xffff, v0
	v_lshrrev_b32_e32 v0, 16, v0
	s_delay_alu instid0(VALU_DEP_2) | instskip(NEXT) | instid1(VALU_DEP_2)
	v_mul_u32_u24_e32 v86, 0x10001, v86
	v_mul_u32_u24_e32 v0, 0x10001, v0
	s_delay_alu instid0(VALU_DEP_2) | instskip(NEXT) | instid1(VALU_DEP_2)
	v_pk_fma_f16 v57, v9, v86, v57
	v_pk_fma_f16 v52, v9, v0, v52
	;; [unrolled: 1-line block ×5, first 2 shown]
	v_and_b32_e32 v0, 0xffff, v1
	v_pk_fma_f16 v58, v10, v86, v58
	v_pk_fma_f16 v61, v11, v86, v61
	v_pk_fma_f16 v62, v8, v86, v62
	s_delay_alu instid0(VALU_DEP_4) | instskip(NEXT) | instid1(VALU_DEP_1)
	v_mul_u32_u24_e32 v0, 0x10001, v0
	v_pk_fma_f16 v9, v9, v0, v53
	v_pk_fma_f16 v10, v10, v0, v54
	;; [unrolled: 1-line block ×4, first 2 shown]
	v_lshrrev_b32_e32 v0, 16, v3
	v_lshrrev_b32_e32 v53, 16, v2
	v_and_b32_e32 v54, 0xffff, v2
	v_and_b32_e32 v55, 0xffff, v3
	s_delay_alu instid0(VALU_DEP_4)
	v_mul_u32_u24_e32 v85, 0x10001, v0
	ds_load_2addr_b64 v[0:3], v51 offset0:192 offset1:224
	v_mul_u32_u24_e32 v53, 0x10001, v53
	v_mul_u32_u24_e32 v54, 0x10001, v54
	s_wait_dscnt 0x0
	v_pk_fma_f16 v84, v0, v85, v84
	v_pk_fma_f16 v64, v1, v85, v64
	;; [unrolled: 1-line block ×5, first 2 shown]
	v_mul_u32_u24_e32 v52, 0x10001, v55
	v_pk_fma_f16 v57, v1, v54, v57
	v_pk_fma_f16 v58, v2, v54, v58
	;; [unrolled: 1-line block ×9, first 2 shown]
	ds_load_b128 v[8:11], v37 offset:33888
	v_pk_fma_f16 v62, v0, v54, v62
	v_pk_fma_f16 v66, v0, v53, v66
	s_wait_dscnt 0x0
	v_lshrrev_b32_e32 v0, 16, v9
	s_delay_alu instid0(VALU_DEP_1)
	v_mul_u32_u24_e32 v87, 0x10001, v0
	v_add_nc_u32_e32 v0, 0x1800, v38
	ds_load_2addr_b64 v[52:55], v0 offset1:32
	s_wait_dscnt 0x0
	v_pk_fma_f16 v84, v52, v87, v84
	v_pk_fma_f16 v64, v53, v87, v64
	;; [unrolled: 1-line block ×4, first 2 shown]
	v_and_b32_e32 v87, 0xffff, v8
	v_lshrrev_b32_e32 v8, 16, v8
	s_delay_alu instid0(VALU_DEP_2) | instskip(NEXT) | instid1(VALU_DEP_2)
	v_mul_u32_u24_e32 v87, 0x10001, v87
	v_mul_u32_u24_e32 v8, 0x10001, v8
	s_delay_alu instid0(VALU_DEP_2) | instskip(NEXT) | instid1(VALU_DEP_2)
	v_pk_fma_f16 v62, v52, v87, v62
	v_pk_fma_f16 v85, v53, v8, v85
	;; [unrolled: 1-line block ×5, first 2 shown]
	v_and_b32_e32 v8, 0xffff, v9
	v_pk_fma_f16 v57, v53, v87, v57
	v_pk_fma_f16 v58, v54, v87, v58
	;; [unrolled: 1-line block ×3, first 2 shown]
	s_delay_alu instid0(VALU_DEP_4) | instskip(NEXT) | instid1(VALU_DEP_1)
	v_mul_u32_u24_e32 v8, 0x10001, v8
	v_pk_fma_f16 v1, v53, v8, v1
	v_pk_fma_f16 v2, v54, v8, v2
	;; [unrolled: 1-line block ×4, first 2 shown]
	v_lshrrev_b32_e32 v8, 16, v11
	v_lshrrev_b32_e32 v53, 16, v10
	v_and_b32_e32 v54, 0xffff, v10
	v_and_b32_e32 v55, 0xffff, v11
	s_delay_alu instid0(VALU_DEP_4) | instskip(SKIP_4) | instid1(VALU_DEP_2)
	v_mul_u32_u24_e32 v86, 0x10001, v8
	ds_load_2addr_b64 v[8:11], v0 offset0:64 offset1:96
	v_mul_u32_u24_e32 v53, 0x10001, v53
	v_mul_u32_u24_e32 v54, 0x10001, v54
	s_wait_dscnt 0x0
	v_pk_fma_f16 v85, v9, v53, v85
	v_pk_fma_f16 v63, v10, v53, v63
	;; [unrolled: 1-line block ×4, first 2 shown]
	v_mul_u32_u24_e32 v53, 0x10001, v55
	v_pk_fma_f16 v84, v8, v86, v84
	v_pk_fma_f16 v64, v9, v86, v64
	;; [unrolled: 1-line block ×12, first 2 shown]
	ds_load_b128 v[8:11], v37 offset:33904
	s_wait_dscnt 0x0
	v_lshrrev_b32_e32 v52, 16, v9
	s_delay_alu instid0(VALU_DEP_1)
	v_mul_u32_u24_e32 v87, 0x10001, v52
	ds_load_2addr_b64 v[52:55], v0 offset0:128 offset1:160
	s_wait_dscnt 0x0
	v_pk_fma_f16 v84, v52, v87, v84
	v_pk_fma_f16 v64, v53, v87, v64
	;; [unrolled: 1-line block ×4, first 2 shown]
	v_and_b32_e32 v87, 0xffff, v8
	v_lshrrev_b32_e32 v8, 16, v8
	s_delay_alu instid0(VALU_DEP_2) | instskip(NEXT) | instid1(VALU_DEP_2)
	v_mul_u32_u24_e32 v87, 0x10001, v87
	v_mul_u32_u24_e32 v8, 0x10001, v8
	s_delay_alu instid0(VALU_DEP_2) | instskip(NEXT) | instid1(VALU_DEP_2)
	v_pk_fma_f16 v62, v52, v87, v62
	v_pk_fma_f16 v85, v53, v8, v85
	;; [unrolled: 1-line block ×5, first 2 shown]
	v_and_b32_e32 v8, 0xffff, v9
	v_pk_fma_f16 v57, v53, v87, v57
	v_pk_fma_f16 v58, v54, v87, v58
	;; [unrolled: 1-line block ×3, first 2 shown]
	s_delay_alu instid0(VALU_DEP_4) | instskip(NEXT) | instid1(VALU_DEP_1)
	v_mul_u32_u24_e32 v8, 0x10001, v8
	v_pk_fma_f16 v1, v53, v8, v1
	v_pk_fma_f16 v2, v54, v8, v2
	;; [unrolled: 1-line block ×4, first 2 shown]
	v_lshrrev_b32_e32 v8, 16, v11
	v_lshrrev_b32_e32 v53, 16, v10
	v_and_b32_e32 v54, 0xffff, v10
	v_and_b32_e32 v55, 0xffff, v11
	s_delay_alu instid0(VALU_DEP_4) | instskip(SKIP_4) | instid1(VALU_DEP_2)
	v_mul_u32_u24_e32 v86, 0x10001, v8
	ds_load_2addr_b64 v[8:11], v0 offset0:192 offset1:224
	v_mul_u32_u24_e32 v53, 0x10001, v53
	v_mul_u32_u24_e32 v54, 0x10001, v54
	s_wait_dscnt 0x0
	v_pk_fma_f16 v85, v9, v53, v85
	v_pk_fma_f16 v63, v10, v53, v63
	v_pk_fma_f16 v65, v11, v53, v65
	v_pk_fma_f16 v66, v8, v53, v66
	v_mul_u32_u24_e32 v53, 0x10001, v55
	v_pk_fma_f16 v84, v8, v86, v84
	v_pk_fma_f16 v64, v9, v86, v64
	;; [unrolled: 1-line block ×12, first 2 shown]
	ds_load_b128 v[8:11], v37 offset:33920
	s_wait_dscnt 0x0
	v_lshrrev_b32_e32 v1, 16, v9
	s_delay_alu instid0(VALU_DEP_1)
	v_mul_u32_u24_e32 v88, 0x10001, v1
	v_add_nc_u32_e32 v1, 0x2000, v38
	ds_load_2addr_b64 v[52:55], v1 offset1:32
	s_wait_dscnt 0x0
	v_pk_fma_f16 v84, v52, v88, v84
	v_pk_fma_f16 v64, v53, v88, v64
	;; [unrolled: 1-line block ×4, first 2 shown]
	v_and_b32_e32 v88, 0xffff, v8
	v_lshrrev_b32_e32 v8, 16, v8
	s_delay_alu instid0(VALU_DEP_2) | instskip(NEXT) | instid1(VALU_DEP_2)
	v_mul_u32_u24_e32 v88, 0x10001, v88
	v_mul_u32_u24_e32 v8, 0x10001, v8
	s_delay_alu instid0(VALU_DEP_2) | instskip(NEXT) | instid1(VALU_DEP_2)
	v_pk_fma_f16 v57, v53, v88, v57
	v_pk_fma_f16 v85, v53, v8, v85
	;; [unrolled: 1-line block ×5, first 2 shown]
	v_and_b32_e32 v8, 0xffff, v9
	v_pk_fma_f16 v62, v52, v88, v62
	v_pk_fma_f16 v58, v54, v88, v58
	;; [unrolled: 1-line block ×3, first 2 shown]
	s_delay_alu instid0(VALU_DEP_4) | instskip(NEXT) | instid1(VALU_DEP_1)
	v_mul_u32_u24_e32 v8, 0x10001, v8
	v_pk_fma_f16 v53, v53, v8, v86
	v_pk_fma_f16 v2, v54, v8, v2
	;; [unrolled: 1-line block ×4, first 2 shown]
	v_lshrrev_b32_e32 v8, 16, v11
	v_lshrrev_b32_e32 v54, 16, v10
	v_and_b32_e32 v55, 0xffff, v10
	v_and_b32_e32 v86, 0xffff, v11
	s_delay_alu instid0(VALU_DEP_4) | instskip(SKIP_4) | instid1(VALU_DEP_2)
	v_mul_u32_u24_e32 v87, 0x10001, v8
	ds_load_2addr_b64 v[8:11], v1 offset0:64 offset1:96
	v_mul_u32_u24_e32 v54, 0x10001, v54
	v_mul_u32_u24_e32 v55, 0x10001, v55
	s_wait_dscnt 0x0
	v_pk_fma_f16 v85, v9, v54, v85
	v_pk_fma_f16 v63, v10, v54, v63
	;; [unrolled: 1-line block ×4, first 2 shown]
	v_mul_u32_u24_e32 v54, 0x10001, v86
	v_pk_fma_f16 v84, v8, v87, v84
	v_pk_fma_f16 v64, v9, v87, v64
	;; [unrolled: 1-line block ×12, first 2 shown]
	ds_load_b128 v[8:11], v37 offset:33936
	s_wait_dscnt 0x0
	v_lshrrev_b32_e32 v52, 16, v9
	s_delay_alu instid0(VALU_DEP_1)
	v_mul_u32_u24_e32 v88, 0x10001, v52
	ds_load_2addr_b64 v[52:55], v1 offset0:128 offset1:160
	s_wait_dscnt 0x0
	v_pk_fma_f16 v84, v52, v88, v84
	v_pk_fma_f16 v64, v53, v88, v64
	;; [unrolled: 1-line block ×4, first 2 shown]
	v_and_b32_e32 v88, 0xffff, v8
	v_lshrrev_b32_e32 v8, 16, v8
	s_delay_alu instid0(VALU_DEP_2) | instskip(NEXT) | instid1(VALU_DEP_2)
	v_mul_u32_u24_e32 v88, 0x10001, v88
	v_mul_u32_u24_e32 v8, 0x10001, v8
	s_delay_alu instid0(VALU_DEP_2) | instskip(NEXT) | instid1(VALU_DEP_2)
	v_pk_fma_f16 v57, v53, v88, v57
	v_pk_fma_f16 v85, v53, v8, v85
	;; [unrolled: 1-line block ×5, first 2 shown]
	v_and_b32_e32 v8, 0xffff, v9
	v_pk_fma_f16 v62, v52, v88, v62
	v_pk_fma_f16 v58, v54, v88, v58
	;; [unrolled: 1-line block ×3, first 2 shown]
	s_delay_alu instid0(VALU_DEP_4) | instskip(NEXT) | instid1(VALU_DEP_1)
	v_mul_u32_u24_e32 v8, 0x10001, v8
	v_pk_fma_f16 v53, v53, v8, v86
	v_pk_fma_f16 v2, v54, v8, v2
	;; [unrolled: 1-line block ×4, first 2 shown]
	v_lshrrev_b32_e32 v8, 16, v11
	v_lshrrev_b32_e32 v54, 16, v10
	v_and_b32_e32 v55, 0xffff, v10
	v_and_b32_e32 v86, 0xffff, v11
	s_delay_alu instid0(VALU_DEP_4) | instskip(SKIP_4) | instid1(VALU_DEP_2)
	v_mul_u32_u24_e32 v87, 0x10001, v8
	ds_load_2addr_b64 v[8:11], v1 offset0:192 offset1:224
	v_mul_u32_u24_e32 v54, 0x10001, v54
	v_mul_u32_u24_e32 v55, 0x10001, v55
	s_wait_dscnt 0x0
	v_pk_fma_f16 v85, v9, v54, v85
	v_pk_fma_f16 v63, v10, v54, v63
	;; [unrolled: 1-line block ×4, first 2 shown]
	v_mul_u32_u24_e32 v54, 0x10001, v86
	v_pk_fma_f16 v84, v8, v87, v84
	v_pk_fma_f16 v64, v9, v87, v64
	;; [unrolled: 1-line block ×12, first 2 shown]
	ds_load_b128 v[8:11], v37 offset:33952
	s_wait_dscnt 0x0
	v_lshrrev_b32_e32 v2, 16, v9
	s_delay_alu instid0(VALU_DEP_1)
	v_mul_u32_u24_e32 v89, 0x10001, v2
	v_add_nc_u32_e32 v2, 0x2800, v38
	ds_load_2addr_b64 v[52:55], v2 offset1:32
	s_wait_dscnt 0x0
	v_pk_fma_f16 v84, v52, v89, v84
	v_pk_fma_f16 v64, v53, v89, v64
	;; [unrolled: 1-line block ×4, first 2 shown]
	v_and_b32_e32 v89, 0xffff, v8
	v_lshrrev_b32_e32 v8, 16, v8
	s_delay_alu instid0(VALU_DEP_2) | instskip(NEXT) | instid1(VALU_DEP_2)
	v_mul_u32_u24_e32 v89, 0x10001, v89
	v_mul_u32_u24_e32 v8, 0x10001, v8
	s_delay_alu instid0(VALU_DEP_2) | instskip(NEXT) | instid1(VALU_DEP_2)
	v_pk_fma_f16 v57, v53, v89, v57
	v_pk_fma_f16 v85, v53, v8, v85
	;; [unrolled: 1-line block ×5, first 2 shown]
	v_and_b32_e32 v8, 0xffff, v9
	v_pk_fma_f16 v58, v54, v89, v58
	v_pk_fma_f16 v62, v52, v89, v62
	;; [unrolled: 1-line block ×3, first 2 shown]
	s_delay_alu instid0(VALU_DEP_4) | instskip(NEXT) | instid1(VALU_DEP_1)
	v_mul_u32_u24_e32 v8, 0x10001, v8
	v_pk_fma_f16 v53, v53, v8, v86
	v_pk_fma_f16 v54, v54, v8, v87
	;; [unrolled: 1-line block ×4, first 2 shown]
	v_lshrrev_b32_e32 v8, 16, v11
	v_lshrrev_b32_e32 v55, 16, v10
	v_and_b32_e32 v86, 0xffff, v10
	v_and_b32_e32 v87, 0xffff, v11
	s_delay_alu instid0(VALU_DEP_4) | instskip(SKIP_4) | instid1(VALU_DEP_2)
	v_mul_u32_u24_e32 v88, 0x10001, v8
	ds_load_2addr_b64 v[8:11], v2 offset0:64 offset1:96
	v_mul_u32_u24_e32 v55, 0x10001, v55
	v_mul_u32_u24_e32 v86, 0x10001, v86
	s_wait_dscnt 0x0
	v_pk_fma_f16 v85, v9, v55, v85
	v_pk_fma_f16 v63, v10, v55, v63
	;; [unrolled: 1-line block ×4, first 2 shown]
	v_mul_u32_u24_e32 v55, 0x10001, v87
	v_pk_fma_f16 v84, v8, v88, v84
	v_pk_fma_f16 v64, v9, v88, v64
	;; [unrolled: 1-line block ×12, first 2 shown]
	ds_load_b128 v[8:11], v37 offset:33968
	s_wait_dscnt 0x0
	v_lshrrev_b32_e32 v52, 16, v9
	s_delay_alu instid0(VALU_DEP_1)
	v_mul_u32_u24_e32 v89, 0x10001, v52
	ds_load_2addr_b64 v[52:55], v2 offset0:128 offset1:160
	s_wait_dscnt 0x0
	v_pk_fma_f16 v84, v52, v89, v84
	v_pk_fma_f16 v64, v53, v89, v64
	v_pk_fma_f16 v60, v54, v89, v60
	v_pk_fma_f16 v56, v55, v89, v56
	v_and_b32_e32 v89, 0xffff, v8
	v_lshrrev_b32_e32 v8, 16, v8
	s_delay_alu instid0(VALU_DEP_2) | instskip(NEXT) | instid1(VALU_DEP_2)
	v_mul_u32_u24_e32 v89, 0x10001, v89
	v_mul_u32_u24_e32 v8, 0x10001, v8
	s_delay_alu instid0(VALU_DEP_2) | instskip(NEXT) | instid1(VALU_DEP_2)
	v_pk_fma_f16 v57, v53, v89, v57
	v_pk_fma_f16 v85, v53, v8, v85
	;; [unrolled: 1-line block ×5, first 2 shown]
	v_and_b32_e32 v8, 0xffff, v9
	v_pk_fma_f16 v58, v54, v89, v58
	v_pk_fma_f16 v62, v52, v89, v62
	;; [unrolled: 1-line block ×3, first 2 shown]
	s_delay_alu instid0(VALU_DEP_4) | instskip(NEXT) | instid1(VALU_DEP_1)
	v_mul_u32_u24_e32 v8, 0x10001, v8
	v_pk_fma_f16 v53, v53, v8, v86
	v_pk_fma_f16 v54, v54, v8, v87
	;; [unrolled: 1-line block ×4, first 2 shown]
	v_lshrrev_b32_e32 v8, 16, v11
	v_lshrrev_b32_e32 v55, 16, v10
	v_and_b32_e32 v86, 0xffff, v10
	v_and_b32_e32 v87, 0xffff, v11
	s_delay_alu instid0(VALU_DEP_4) | instskip(SKIP_4) | instid1(VALU_DEP_2)
	v_mul_u32_u24_e32 v88, 0x10001, v8
	ds_load_2addr_b64 v[8:11], v2 offset0:192 offset1:224
	v_mul_u32_u24_e32 v55, 0x10001, v55
	v_mul_u32_u24_e32 v86, 0x10001, v86
	s_wait_dscnt 0x0
	v_pk_fma_f16 v85, v9, v55, v85
	v_pk_fma_f16 v63, v10, v55, v63
	;; [unrolled: 1-line block ×4, first 2 shown]
	v_mul_u32_u24_e32 v55, 0x10001, v87
	v_pk_fma_f16 v84, v8, v88, v84
	v_pk_fma_f16 v64, v9, v88, v64
	;; [unrolled: 1-line block ×12, first 2 shown]
	ds_load_b128 v[8:11], v37 offset:33984
	s_wait_dscnt 0x0
	v_lshrrev_b32_e32 v3, 16, v9
	s_delay_alu instid0(VALU_DEP_1)
	v_mul_u32_u24_e32 v90, 0x10001, v3
	v_add_nc_u32_e32 v3, 0x3000, v38
	ds_load_2addr_b64 v[52:55], v3 offset1:32
	s_wait_dscnt 0x0
	v_pk_fma_f16 v84, v52, v90, v84
	v_pk_fma_f16 v64, v53, v90, v64
	;; [unrolled: 1-line block ×4, first 2 shown]
	v_and_b32_e32 v90, 0xffff, v8
	v_lshrrev_b32_e32 v8, 16, v8
	s_delay_alu instid0(VALU_DEP_2) | instskip(NEXT) | instid1(VALU_DEP_2)
	v_mul_u32_u24_e32 v90, 0x10001, v90
	v_mul_u32_u24_e32 v8, 0x10001, v8
	s_delay_alu instid0(VALU_DEP_2) | instskip(NEXT) | instid1(VALU_DEP_2)
	v_pk_fma_f16 v57, v53, v90, v57
	v_pk_fma_f16 v85, v53, v8, v85
	;; [unrolled: 1-line block ×5, first 2 shown]
	v_and_b32_e32 v8, 0xffff, v9
	v_pk_fma_f16 v58, v54, v90, v58
	v_pk_fma_f16 v61, v55, v90, v61
	;; [unrolled: 1-line block ×3, first 2 shown]
	s_delay_alu instid0(VALU_DEP_4) | instskip(NEXT) | instid1(VALU_DEP_1)
	v_mul_u32_u24_e32 v8, 0x10001, v8
	v_pk_fma_f16 v53, v53, v8, v86
	v_pk_fma_f16 v54, v54, v8, v87
	;; [unrolled: 1-line block ×4, first 2 shown]
	v_lshrrev_b32_e32 v8, 16, v11
	v_lshrrev_b32_e32 v86, 16, v10
	v_and_b32_e32 v87, 0xffff, v10
	v_and_b32_e32 v88, 0xffff, v11
	s_delay_alu instid0(VALU_DEP_4) | instskip(SKIP_4) | instid1(VALU_DEP_2)
	v_mul_u32_u24_e32 v89, 0x10001, v8
	ds_load_2addr_b64 v[8:11], v3 offset0:64 offset1:96
	v_mul_u32_u24_e32 v86, 0x10001, v86
	v_mul_u32_u24_e32 v87, 0x10001, v87
	s_wait_dscnt 0x0
	v_pk_fma_f16 v85, v9, v86, v85
	v_pk_fma_f16 v63, v10, v86, v63
	;; [unrolled: 1-line block ×4, first 2 shown]
	v_mul_u32_u24_e32 v86, 0x10001, v88
	v_pk_fma_f16 v84, v8, v89, v84
	v_pk_fma_f16 v64, v9, v89, v64
	;; [unrolled: 1-line block ×12, first 2 shown]
	ds_load_b128 v[8:11], v37 offset:34000
	s_wait_dscnt 0x0
	v_lshrrev_b32_e32 v52, 16, v9
	s_delay_alu instid0(VALU_DEP_1)
	v_mul_u32_u24_e32 v90, 0x10001, v52
	ds_load_2addr_b64 v[52:55], v3 offset0:128 offset1:160
	s_wait_dscnt 0x0
	v_pk_fma_f16 v84, v52, v90, v84
	v_pk_fma_f16 v64, v53, v90, v64
	;; [unrolled: 1-line block ×4, first 2 shown]
	v_and_b32_e32 v90, 0xffff, v8
	v_lshrrev_b32_e32 v8, 16, v8
	s_delay_alu instid0(VALU_DEP_2) | instskip(NEXT) | instid1(VALU_DEP_2)
	v_mul_u32_u24_e32 v90, 0x10001, v90
	v_mul_u32_u24_e32 v8, 0x10001, v8
	s_delay_alu instid0(VALU_DEP_2) | instskip(NEXT) | instid1(VALU_DEP_2)
	v_pk_fma_f16 v57, v53, v90, v57
	v_pk_fma_f16 v85, v53, v8, v85
	;; [unrolled: 1-line block ×5, first 2 shown]
	v_and_b32_e32 v8, 0xffff, v9
	v_pk_fma_f16 v58, v54, v90, v58
	v_pk_fma_f16 v61, v55, v90, v61
	;; [unrolled: 1-line block ×3, first 2 shown]
	s_delay_alu instid0(VALU_DEP_4) | instskip(NEXT) | instid1(VALU_DEP_1)
	v_mul_u32_u24_e32 v8, 0x10001, v8
	v_pk_fma_f16 v53, v53, v8, v87
	v_pk_fma_f16 v54, v54, v8, v88
	;; [unrolled: 1-line block ×4, first 2 shown]
	v_lshrrev_b32_e32 v8, 16, v11
	v_lshrrev_b32_e32 v86, 16, v10
	v_and_b32_e32 v87, 0xffff, v10
	v_and_b32_e32 v88, 0xffff, v11
	s_delay_alu instid0(VALU_DEP_4)
	v_mul_u32_u24_e32 v89, 0x10001, v8
	ds_load_2addr_b64 v[8:11], v3 offset0:192 offset1:224
	s_wait_dscnt 0x0
	v_pk_fma_f16 v90, v10, v89, v60
	v_mul_u32_u24_e32 v60, 0x10001, v87
	v_pk_fma_f16 v84, v8, v89, v84
	v_pk_fma_f16 v64, v9, v89, v64
	;; [unrolled: 1-line block ×3, first 2 shown]
	s_delay_alu instid0(VALU_DEP_4) | instskip(SKIP_4) | instid1(VALU_DEP_1)
	v_pk_fma_f16 v57, v9, v60, v57
	v_pk_fma_f16 v58, v10, v60, v58
	;; [unrolled: 1-line block ×4, first 2 shown]
	v_mul_u32_u24_e32 v60, 0x10001, v86
	v_pk_fma_f16 v85, v9, v60, v85
	v_pk_fma_f16 v86, v10, v60, v63
	;; [unrolled: 1-line block ×4, first 2 shown]
	v_mul_u32_u24_e32 v60, 0x10001, v88
	s_delay_alu instid0(VALU_DEP_1)
	v_pk_fma_f16 v9, v9, v60, v53
	v_pk_fma_f16 v10, v10, v60, v54
	;; [unrolled: 1-line block ×4, first 2 shown]
	ds_load_b128 v[52:55], v37 offset:34016
	s_wait_dscnt 0x0
	v_lshrrev_b32_e32 v8, 16, v53
	s_delay_alu instid0(VALU_DEP_1)
	v_mul_u32_u24_e32 v91, 0x10001, v8
	v_add_nc_u32_e32 v8, 0x3800, v38
	ds_load_2addr_b64 v[60:63], v8 offset1:32
	s_wait_dscnt 0x0
	v_pk_fma_f16 v84, v60, v91, v84
	v_pk_fma_f16 v64, v61, v91, v64
	;; [unrolled: 1-line block ×4, first 2 shown]
	v_and_b32_e32 v91, 0xffff, v52
	v_lshrrev_b32_e32 v52, 16, v52
	s_delay_alu instid0(VALU_DEP_2) | instskip(NEXT) | instid1(VALU_DEP_2)
	v_mul_u32_u24_e32 v91, 0x10001, v91
	v_mul_u32_u24_e32 v52, 0x10001, v52
	s_delay_alu instid0(VALU_DEP_2) | instskip(NEXT) | instid1(VALU_DEP_2)
	v_pk_fma_f16 v89, v60, v91, v89
	v_pk_fma_f16 v85, v61, v52, v85
	;; [unrolled: 1-line block ×5, first 2 shown]
	v_and_b32_e32 v52, 0xffff, v53
	v_pk_fma_f16 v57, v61, v91, v57
	v_pk_fma_f16 v58, v62, v91, v58
	;; [unrolled: 1-line block ×3, first 2 shown]
	s_delay_alu instid0(VALU_DEP_4) | instskip(NEXT) | instid1(VALU_DEP_1)
	v_mul_u32_u24_e32 v52, 0x10001, v52
	v_pk_fma_f16 v9, v61, v52, v9
	v_pk_fma_f16 v10, v62, v52, v10
	;; [unrolled: 1-line block ×4, first 2 shown]
	v_lshrrev_b32_e32 v52, 16, v55
	v_lshrrev_b32_e32 v61, 16, v54
	v_and_b32_e32 v62, 0xffff, v54
	v_and_b32_e32 v63, 0xffff, v55
	s_delay_alu instid0(VALU_DEP_4) | instskip(SKIP_4) | instid1(VALU_DEP_2)
	v_mul_u32_u24_e32 v88, 0x10001, v52
	ds_load_2addr_b64 v[52:55], v8 offset0:64 offset1:96
	v_mul_u32_u24_e32 v61, 0x10001, v61
	v_mul_u32_u24_e32 v62, 0x10001, v62
	s_wait_dscnt 0x0
	v_pk_fma_f16 v85, v53, v61, v85
	v_pk_fma_f16 v86, v54, v61, v86
	;; [unrolled: 1-line block ×4, first 2 shown]
	v_mul_u32_u24_e32 v61, 0x10001, v63
	v_pk_fma_f16 v84, v52, v88, v84
	v_pk_fma_f16 v64, v53, v88, v64
	;; [unrolled: 1-line block ×12, first 2 shown]
	ds_load_b128 v[52:55], v37 offset:34032
	s_wait_dscnt 0x0
	v_lshrrev_b32_e32 v60, 16, v53
	s_delay_alu instid0(VALU_DEP_1)
	v_mul_u32_u24_e32 v91, 0x10001, v60
	ds_load_2addr_b64 v[60:63], v8 offset0:128 offset1:160
	s_wait_dscnt 0x0
	v_pk_fma_f16 v84, v60, v91, v84
	v_pk_fma_f16 v64, v61, v91, v64
	;; [unrolled: 1-line block ×4, first 2 shown]
	v_and_b32_e32 v91, 0xffff, v52
	v_lshrrev_b32_e32 v52, 16, v52
	s_delay_alu instid0(VALU_DEP_2) | instskip(NEXT) | instid1(VALU_DEP_2)
	v_mul_u32_u24_e32 v91, 0x10001, v91
	v_mul_u32_u24_e32 v52, 0x10001, v52
	s_delay_alu instid0(VALU_DEP_2) | instskip(NEXT) | instid1(VALU_DEP_2)
	v_pk_fma_f16 v88, v60, v91, v88
	v_pk_fma_f16 v85, v61, v52, v85
	;; [unrolled: 1-line block ×5, first 2 shown]
	v_and_b32_e32 v52, 0xffff, v53
	v_pk_fma_f16 v57, v61, v91, v57
	v_pk_fma_f16 v58, v62, v91, v58
	;; [unrolled: 1-line block ×3, first 2 shown]
	s_delay_alu instid0(VALU_DEP_4) | instskip(NEXT) | instid1(VALU_DEP_1)
	v_mul_u32_u24_e32 v52, 0x10001, v52
	v_pk_fma_f16 v9, v61, v52, v9
	v_pk_fma_f16 v10, v62, v52, v10
	;; [unrolled: 1-line block ×4, first 2 shown]
	v_lshrrev_b32_e32 v52, 16, v55
	v_lshrrev_b32_e32 v61, 16, v54
	v_and_b32_e32 v62, 0xffff, v54
	v_and_b32_e32 v63, 0xffff, v55
	s_delay_alu instid0(VALU_DEP_4)
	v_mul_u32_u24_e32 v89, 0x10001, v52
	ds_load_2addr_b64 v[52:55], v8 offset0:192 offset1:224
	v_mul_u32_u24_e32 v61, 0x10001, v61
	v_mul_u32_u24_e32 v63, 0x10001, v63
	;; [unrolled: 1-line block ×3, first 2 shown]
	s_wait_loadcnt_dscnt 0x0
	s_barrier_signal -1
	s_barrier_wait -1
	global_inv scope:SCOPE_SE
	s_clause 0x1
	scratch_store_b32 off, v76, off
	scratch_store_b96 off, v[12:14], off offset:4
	v_pk_fma_f16 v85, v53, v61, v85
	v_pk_fma_f16 v86, v54, v61, v86
	;; [unrolled: 1-line block ×5, first 2 shown]
	s_wait_alu 0xfffe
	v_add_co_u32 v9, vcc_lo, s4, v15
	v_pk_fma_f16 v57, v53, v62, v57
	v_pk_fma_f16 v58, v54, v62, v58
	;; [unrolled: 1-line block ×5, first 2 shown]
	s_wait_alu 0xfffd
	v_add_co_ci_u32_e64 v10, null, s5, v16, vcc_lo
	v_add_co_u32 v9, s2, v9, v75
	v_cmp_gt_i32_e32 vcc_lo, s3, v39
	s_wait_alu 0xf1ff
	s_delay_alu instid0(VALU_DEP_3)
	v_add_co_ci_u32_e64 v10, null, 0, v10, s2
	v_pk_fma_f16 v84, v52, v89, v84
	v_pk_fma_f16 v64, v53, v89, v64
	s_wait_alu 0xfffd
	v_cndmask_b32_e32 v9, 0, v9, vcc_lo
	v_cndmask_b32_e32 v10, s9, v10, vcc_lo
	v_pk_fma_f16 v90, v54, v89, v90
	v_pk_fma_f16 v56, v55, v89, v56
	v_pk_fma_f16 v89, v55, v63, v11
	v_pk_fma_f16 v60, v52, v63, v60
	flat_load_b128 v[52:55], v[9:10]
	v_add_co_u32 v9, vcc_lo, s4, v17
	s_wait_alu 0xfffd
	v_add_co_ci_u32_e64 v10, null, s5, v18, vcc_lo
	v_cmp_gt_i32_e32 vcc_lo, s3, v78
	s_delay_alu instid0(VALU_DEP_3) | instskip(SKIP_1) | instid1(VALU_DEP_3)
	v_add_co_u32 v9, s2, v9, v75
	s_wait_alu 0xf1ff
	v_add_co_ci_u32_e64 v10, null, 0, v10, s2
	s_wait_alu 0xfffd
	s_delay_alu instid0(VALU_DEP_2) | instskip(NEXT) | instid1(VALU_DEP_2)
	v_cndmask_b32_e32 v9, 0, v9, vcc_lo
	v_cndmask_b32_e32 v10, s9, v10, vcc_lo
	s_wait_loadcnt_dscnt 0x0
	ds_store_b128 v77, v[52:55]
	s_clause 0x1
	scratch_store_b32 off, v76, off
	scratch_store_b96 off, v[12:14], off offset:4
	flat_load_b128 v[15:18], v[9:10]
	v_add_co_u32 v9, vcc_lo, s4, v19
	s_wait_alu 0xfffd
	v_add_co_ci_u32_e64 v10, null, s5, v20, vcc_lo
	v_cmp_gt_i32_e32 vcc_lo, s3, v80
	s_delay_alu instid0(VALU_DEP_3) | instskip(SKIP_1) | instid1(VALU_DEP_3)
	v_add_co_u32 v9, s2, v9, v75
	s_wait_alu 0xf1ff
	v_add_co_ci_u32_e64 v10, null, 0, v10, s2
	s_wait_alu 0xfffd
	s_delay_alu instid0(VALU_DEP_2) | instskip(NEXT) | instid1(VALU_DEP_2)
	v_cndmask_b32_e32 v9, 0, v9, vcc_lo
	v_cndmask_b32_e32 v10, s9, v10, vcc_lo
	s_wait_loadcnt_dscnt 0x0
	ds_store_b128 v79, v[15:18]
	s_clause 0x1
	scratch_store_b32 off, v76, off
	scratch_store_b96 off, v[12:14], off offset:4
	flat_load_b128 v[15:18], v[9:10]
	v_add_co_u32 v9, vcc_lo, s4, v21
	s_wait_alu 0xfffd
	v_add_co_ci_u32_e64 v10, null, s5, v22, vcc_lo
	v_cmp_gt_i32_e32 vcc_lo, s3, v82
	s_delay_alu instid0(VALU_DEP_3) | instskip(SKIP_1) | instid1(VALU_DEP_3)
	v_add_co_u32 v9, s2, v9, v75
	s_wait_alu 0xf1ff
	v_add_co_ci_u32_e64 v10, null, 0, v10, s2
	s_clause 0x1
	scratch_store_b96 off, v[12:14], off offset:4
	scratch_store_b32 off, v76, off
	s_wait_alu 0xfffd
	v_cndmask_b32_e32 v9, 0, v9, vcc_lo
	v_cndmask_b32_e32 v10, s9, v10, vcc_lo
	s_wait_loadcnt_dscnt 0x0
	ds_store_b128 v81, v[15:18]
	flat_load_b128 v[9:12], v[9:10]
	s_wait_loadcnt_dscnt 0x0
	ds_store_b128 v83, v[9:12]
	s_wait_storecnt_dscnt 0x0
	s_barrier_signal -1
	s_barrier_wait -1
	global_inv scope:SCOPE_SE
	ds_load_b128 v[9:12], v37 offset:34048
	s_wait_dscnt 0x0
	v_and_b32_e32 v13, 0xffff, v9
	v_lshrrev_b32_e32 v9, 16, v9
	s_delay_alu instid0(VALU_DEP_2) | instskip(SKIP_3) | instid1(VALU_DEP_1)
	v_mul_u32_u24_e32 v17, 0x10001, v13
	ds_load_2addr_b64 v[13:16], v38 offset1:32
	v_mul_u32_u24_e32 v9, 0x10001, v9
	s_wait_dscnt 0x0
	v_pk_fma_f16 v21, v13, v9, v61
	v_pk_fma_f16 v22, v14, v9, v85
	;; [unrolled: 1-line block ×4, first 2 shown]
	v_and_b32_e32 v9, 0xffff, v10
	v_pk_fma_f16 v19, v14, v17, v57
	v_pk_fma_f16 v18, v13, v17, v62
	;; [unrolled: 1-line block ×4, first 2 shown]
	v_mul_u32_u24_e32 v9, 0x10001, v9
	v_lshrrev_b32_e32 v58, 16, v12
	s_delay_alu instid0(VALU_DEP_2)
	v_pk_fma_f16 v53, v13, v9, v60
	v_pk_fma_f16 v54, v14, v9, v66
	;; [unrolled: 1-line block ×4, first 2 shown]
	v_lshrrev_b32_e32 v9, 16, v10
	v_and_b32_e32 v60, 0xffff, v12
	s_delay_alu instid0(VALU_DEP_2) | instskip(NEXT) | instid1(VALU_DEP_1)
	v_mul_u32_u24_e32 v9, 0x10001, v9
	v_pk_fma_f16 v13, v13, v9, v84
	v_pk_fma_f16 v14, v14, v9, v64
	;; [unrolled: 1-line block ×4, first 2 shown]
	v_and_b32_e32 v9, 0xffff, v11
	v_lshrrev_b32_e32 v56, 16, v11
	s_delay_alu instid0(VALU_DEP_2) | instskip(SKIP_3) | instid1(VALU_DEP_1)
	v_mul_u32_u24_e32 v61, 0x10001, v9
	ds_load_2addr_b64 v[9:12], v38 offset0:64 offset1:96
	v_mul_u32_u24_e32 v56, 0x10001, v56
	s_wait_dscnt 0x0
	v_pk_fma_f16 v21, v9, v56, v21
	v_pk_fma_f16 v22, v10, v56, v22
	;; [unrolled: 1-line block ×4, first 2 shown]
	v_mul_u32_u24_e32 v56, 0x10001, v60
	v_pk_fma_f16 v18, v9, v61, v18
	v_pk_fma_f16 v19, v10, v61, v19
	;; [unrolled: 1-line block ×8, first 2 shown]
	v_mul_u32_u24_e32 v57, 0x10001, v58
	s_delay_alu instid0(VALU_DEP_1)
	v_pk_fma_f16 v58, v9, v57, v13
	v_pk_fma_f16 v60, v10, v57, v14
	;; [unrolled: 1-line block ×4, first 2 shown]
	ds_load_b128 v[9:12], v37 offset:34064
	s_wait_dscnt 0x0
	v_and_b32_e32 v13, 0xffff, v9
	v_lshrrev_b32_e32 v9, 16, v9
	s_delay_alu instid0(VALU_DEP_2) | instskip(SKIP_3) | instid1(VALU_DEP_1)
	v_mul_u32_u24_e32 v62, 0x10001, v13
	ds_load_2addr_b64 v[13:16], v38 offset0:128 offset1:160
	v_mul_u32_u24_e32 v9, 0x10001, v9
	s_wait_dscnt 0x0
	v_pk_fma_f16 v21, v13, v9, v21
	v_pk_fma_f16 v22, v14, v9, v22
	v_pk_fma_f16 v39, v15, v9, v39
	v_pk_fma_f16 v52, v16, v9, v52
	v_and_b32_e32 v9, 0xffff, v10
	v_pk_fma_f16 v18, v13, v62, v18
	v_pk_fma_f16 v19, v14, v62, v19
	;; [unrolled: 1-line block ×4, first 2 shown]
	v_mul_u32_u24_e32 v9, 0x10001, v9
	s_delay_alu instid0(VALU_DEP_1) | instskip(SKIP_4) | instid1(VALU_DEP_1)
	v_pk_fma_f16 v53, v13, v9, v53
	v_pk_fma_f16 v54, v14, v9, v54
	;; [unrolled: 1-line block ×4, first 2 shown]
	v_lshrrev_b32_e32 v9, 16, v10
	v_mul_u32_u24_e32 v9, 0x10001, v9
	s_delay_alu instid0(VALU_DEP_1)
	v_pk_fma_f16 v13, v13, v9, v58
	v_pk_fma_f16 v14, v14, v9, v60
	;; [unrolled: 1-line block ×4, first 2 shown]
	v_and_b32_e32 v9, 0xffff, v11
	v_lshrrev_b32_e32 v57, 16, v11
	v_lshrrev_b32_e32 v58, 16, v12
	v_and_b32_e32 v60, 0xffff, v12
	s_delay_alu instid0(VALU_DEP_4) | instskip(SKIP_3) | instid1(VALU_DEP_1)
	v_mul_u32_u24_e32 v61, 0x10001, v9
	ds_load_2addr_b64 v[9:12], v38 offset0:192 offset1:224
	v_mul_u32_u24_e32 v38, 0x10001, v57
	s_wait_dscnt 0x0
	v_pk_fma_f16 v21, v9, v38, v21
	v_pk_fma_f16 v22, v10, v38, v22
	v_pk_fma_f16 v39, v11, v38, v39
	v_pk_fma_f16 v38, v12, v38, v52
	v_mul_u32_u24_e32 v52, 0x10001, v60
	v_pk_fma_f16 v18, v9, v61, v18
	v_pk_fma_f16 v19, v10, v61, v19
	;; [unrolled: 1-line block ×8, first 2 shown]
	v_mul_u32_u24_e32 v56, 0x10001, v58
	s_delay_alu instid0(VALU_DEP_1)
	v_pk_fma_f16 v57, v9, v56, v13
	v_pk_fma_f16 v58, v10, v56, v14
	;; [unrolled: 1-line block ×4, first 2 shown]
	ds_load_b128 v[9:12], v37 offset:34080
	s_wait_dscnt 0x0
	v_and_b32_e32 v13, 0xffff, v9
	v_lshrrev_b32_e32 v9, 16, v9
	s_delay_alu instid0(VALU_DEP_2) | instskip(SKIP_3) | instid1(VALU_DEP_1)
	v_mul_u32_u24_e32 v61, 0x10001, v13
	ds_load_2addr_b64 v[13:16], v50 offset1:32
	v_mul_u32_u24_e32 v9, 0x10001, v9
	s_wait_dscnt 0x0
	v_pk_fma_f16 v21, v13, v9, v21
	v_pk_fma_f16 v22, v14, v9, v22
	;; [unrolled: 1-line block ×4, first 2 shown]
	v_and_b32_e32 v9, 0xffff, v10
	v_pk_fma_f16 v18, v13, v61, v18
	v_pk_fma_f16 v19, v14, v61, v19
	;; [unrolled: 1-line block ×4, first 2 shown]
	v_mul_u32_u24_e32 v9, 0x10001, v9
	s_delay_alu instid0(VALU_DEP_1) | instskip(SKIP_4) | instid1(VALU_DEP_1)
	v_pk_fma_f16 v53, v13, v9, v53
	v_pk_fma_f16 v54, v14, v9, v54
	;; [unrolled: 1-line block ×4, first 2 shown]
	v_lshrrev_b32_e32 v9, 16, v10
	v_mul_u32_u24_e32 v9, 0x10001, v9
	s_delay_alu instid0(VALU_DEP_1)
	v_pk_fma_f16 v13, v13, v9, v57
	v_pk_fma_f16 v14, v14, v9, v58
	;; [unrolled: 1-line block ×4, first 2 shown]
	v_and_b32_e32 v9, 0xffff, v11
	v_lshrrev_b32_e32 v56, 16, v11
	v_lshrrev_b32_e32 v57, 16, v12
	v_and_b32_e32 v58, 0xffff, v12
	s_delay_alu instid0(VALU_DEP_4) | instskip(SKIP_3) | instid1(VALU_DEP_1)
	v_mul_u32_u24_e32 v60, 0x10001, v9
	ds_load_2addr_b64 v[9:12], v50 offset0:64 offset1:96
	v_mul_u32_u24_e32 v56, 0x10001, v56
	s_wait_dscnt 0x0
	v_pk_fma_f16 v21, v9, v56, v21
	v_pk_fma_f16 v22, v10, v56, v22
	v_pk_fma_f16 v39, v11, v56, v39
	v_pk_fma_f16 v38, v12, v56, v38
	v_mul_u32_u24_e32 v56, 0x10001, v58
	v_pk_fma_f16 v18, v9, v60, v18
	v_pk_fma_f16 v19, v10, v60, v19
	;; [unrolled: 1-line block ×8, first 2 shown]
	v_mul_u32_u24_e32 v56, 0x10001, v57
	s_delay_alu instid0(VALU_DEP_1)
	v_pk_fma_f16 v57, v9, v56, v13
	v_pk_fma_f16 v58, v10, v56, v14
	;; [unrolled: 1-line block ×4, first 2 shown]
	ds_load_b128 v[9:12], v37 offset:34096
	s_wait_dscnt 0x0
	v_and_b32_e32 v13, 0xffff, v9
	v_lshrrev_b32_e32 v9, 16, v9
	s_delay_alu instid0(VALU_DEP_2) | instskip(SKIP_3) | instid1(VALU_DEP_1)
	v_mul_u32_u24_e32 v61, 0x10001, v13
	ds_load_2addr_b64 v[13:16], v50 offset0:128 offset1:160
	v_mul_u32_u24_e32 v9, 0x10001, v9
	s_wait_dscnt 0x0
	v_pk_fma_f16 v21, v13, v9, v21
	v_pk_fma_f16 v22, v14, v9, v22
	;; [unrolled: 1-line block ×4, first 2 shown]
	v_and_b32_e32 v9, 0xffff, v10
	v_pk_fma_f16 v18, v13, v61, v18
	v_pk_fma_f16 v19, v14, v61, v19
	;; [unrolled: 1-line block ×4, first 2 shown]
	v_mul_u32_u24_e32 v9, 0x10001, v9
	s_delay_alu instid0(VALU_DEP_1) | instskip(SKIP_4) | instid1(VALU_DEP_1)
	v_pk_fma_f16 v53, v13, v9, v53
	v_pk_fma_f16 v54, v14, v9, v54
	;; [unrolled: 1-line block ×4, first 2 shown]
	v_lshrrev_b32_e32 v9, 16, v10
	v_mul_u32_u24_e32 v9, 0x10001, v9
	s_delay_alu instid0(VALU_DEP_1)
	v_pk_fma_f16 v13, v13, v9, v57
	v_pk_fma_f16 v14, v14, v9, v58
	;; [unrolled: 1-line block ×4, first 2 shown]
	v_and_b32_e32 v9, 0xffff, v11
	v_lshrrev_b32_e32 v56, 16, v11
	v_lshrrev_b32_e32 v57, 16, v12
	v_and_b32_e32 v58, 0xffff, v12
	s_delay_alu instid0(VALU_DEP_4) | instskip(SKIP_3) | instid1(VALU_DEP_1)
	v_mul_u32_u24_e32 v60, 0x10001, v9
	ds_load_2addr_b64 v[9:12], v50 offset0:192 offset1:224
	v_mul_u32_u24_e32 v50, 0x10001, v56
	s_wait_dscnt 0x0
	v_pk_fma_f16 v21, v9, v50, v21
	v_pk_fma_f16 v22, v10, v50, v22
	;; [unrolled: 1-line block ×4, first 2 shown]
	v_mul_u32_u24_e32 v50, 0x10001, v58
	v_pk_fma_f16 v18, v9, v60, v18
	v_pk_fma_f16 v19, v10, v60, v19
	;; [unrolled: 1-line block ×8, first 2 shown]
	v_mul_u32_u24_e32 v52, 0x10001, v57
	s_delay_alu instid0(VALU_DEP_1)
	v_pk_fma_f16 v56, v9, v52, v13
	v_pk_fma_f16 v57, v10, v52, v14
	;; [unrolled: 1-line block ×4, first 2 shown]
	ds_load_b128 v[9:12], v37 offset:34112
	s_wait_dscnt 0x0
	v_and_b32_e32 v13, 0xffff, v9
	v_lshrrev_b32_e32 v9, 16, v9
	s_delay_alu instid0(VALU_DEP_2) | instskip(SKIP_3) | instid1(VALU_DEP_1)
	v_mul_u32_u24_e32 v60, 0x10001, v13
	ds_load_2addr_b64 v[13:16], v51 offset1:32
	v_mul_u32_u24_e32 v9, 0x10001, v9
	s_wait_dscnt 0x0
	v_pk_fma_f16 v21, v13, v9, v21
	v_pk_fma_f16 v22, v14, v9, v22
	;; [unrolled: 1-line block ×4, first 2 shown]
	v_and_b32_e32 v9, 0xffff, v10
	v_pk_fma_f16 v18, v13, v60, v18
	v_pk_fma_f16 v19, v14, v60, v19
	;; [unrolled: 1-line block ×4, first 2 shown]
	v_mul_u32_u24_e32 v9, 0x10001, v9
	s_delay_alu instid0(VALU_DEP_1) | instskip(SKIP_4) | instid1(VALU_DEP_1)
	v_pk_fma_f16 v53, v13, v9, v53
	v_pk_fma_f16 v54, v14, v9, v54
	;; [unrolled: 1-line block ×4, first 2 shown]
	v_lshrrev_b32_e32 v9, 16, v10
	v_mul_u32_u24_e32 v9, 0x10001, v9
	s_delay_alu instid0(VALU_DEP_1)
	v_pk_fma_f16 v13, v13, v9, v56
	v_pk_fma_f16 v14, v14, v9, v57
	;; [unrolled: 1-line block ×4, first 2 shown]
	v_and_b32_e32 v9, 0xffff, v11
	v_lshrrev_b32_e32 v52, 16, v11
	v_lshrrev_b32_e32 v56, 16, v12
	v_and_b32_e32 v57, 0xffff, v12
	s_delay_alu instid0(VALU_DEP_4) | instskip(SKIP_3) | instid1(VALU_DEP_1)
	v_mul_u32_u24_e32 v58, 0x10001, v9
	ds_load_2addr_b64 v[9:12], v51 offset0:64 offset1:96
	v_mul_u32_u24_e32 v52, 0x10001, v52
	s_wait_dscnt 0x0
	v_pk_fma_f16 v21, v9, v52, v21
	v_pk_fma_f16 v22, v10, v52, v22
	;; [unrolled: 1-line block ×4, first 2 shown]
	v_mul_u32_u24_e32 v52, 0x10001, v57
	v_pk_fma_f16 v18, v9, v58, v18
	v_pk_fma_f16 v19, v10, v58, v19
	;; [unrolled: 1-line block ×8, first 2 shown]
	v_mul_u32_u24_e32 v52, 0x10001, v56
	s_delay_alu instid0(VALU_DEP_1)
	v_pk_fma_f16 v56, v9, v52, v13
	v_pk_fma_f16 v57, v10, v52, v14
	;; [unrolled: 1-line block ×4, first 2 shown]
	ds_load_b128 v[9:12], v37 offset:34128
	s_wait_dscnt 0x0
	v_and_b32_e32 v13, 0xffff, v9
	v_lshrrev_b32_e32 v9, 16, v9
	s_delay_alu instid0(VALU_DEP_2) | instskip(SKIP_3) | instid1(VALU_DEP_1)
	v_mul_u32_u24_e32 v60, 0x10001, v13
	ds_load_2addr_b64 v[13:16], v51 offset0:128 offset1:160
	v_mul_u32_u24_e32 v9, 0x10001, v9
	s_wait_dscnt 0x0
	v_pk_fma_f16 v21, v13, v9, v21
	v_pk_fma_f16 v22, v14, v9, v22
	;; [unrolled: 1-line block ×4, first 2 shown]
	v_and_b32_e32 v9, 0xffff, v10
	v_pk_fma_f16 v18, v13, v60, v18
	v_pk_fma_f16 v19, v14, v60, v19
	;; [unrolled: 1-line block ×4, first 2 shown]
	v_mul_u32_u24_e32 v9, 0x10001, v9
	s_delay_alu instid0(VALU_DEP_1) | instskip(SKIP_4) | instid1(VALU_DEP_1)
	v_pk_fma_f16 v53, v13, v9, v53
	v_pk_fma_f16 v54, v14, v9, v54
	;; [unrolled: 1-line block ×4, first 2 shown]
	v_lshrrev_b32_e32 v9, 16, v10
	v_mul_u32_u24_e32 v9, 0x10001, v9
	s_delay_alu instid0(VALU_DEP_1)
	v_pk_fma_f16 v13, v13, v9, v56
	v_pk_fma_f16 v14, v14, v9, v57
	;; [unrolled: 1-line block ×4, first 2 shown]
	v_and_b32_e32 v9, 0xffff, v11
	v_lshrrev_b32_e32 v52, 16, v11
	v_lshrrev_b32_e32 v56, 16, v12
	v_and_b32_e32 v57, 0xffff, v12
	s_delay_alu instid0(VALU_DEP_4) | instskip(SKIP_3) | instid1(VALU_DEP_1)
	v_mul_u32_u24_e32 v58, 0x10001, v9
	ds_load_2addr_b64 v[9:12], v51 offset0:192 offset1:224
	v_mul_u32_u24_e32 v51, 0x10001, v52
	s_wait_dscnt 0x0
	v_pk_fma_f16 v21, v9, v51, v21
	v_pk_fma_f16 v22, v10, v51, v22
	;; [unrolled: 1-line block ×4, first 2 shown]
	v_mul_u32_u24_e32 v51, 0x10001, v57
	v_pk_fma_f16 v18, v9, v58, v18
	v_pk_fma_f16 v19, v10, v58, v19
	;; [unrolled: 1-line block ×8, first 2 shown]
	v_mul_u32_u24_e32 v51, 0x10001, v56
	s_delay_alu instid0(VALU_DEP_1)
	v_pk_fma_f16 v55, v9, v51, v13
	v_pk_fma_f16 v56, v10, v51, v14
	;; [unrolled: 1-line block ×4, first 2 shown]
	ds_load_b128 v[9:12], v37 offset:34144
	s_wait_dscnt 0x0
	v_and_b32_e32 v13, 0xffff, v9
	v_lshrrev_b32_e32 v9, 16, v9
	s_delay_alu instid0(VALU_DEP_2) | instskip(SKIP_3) | instid1(VALU_DEP_1)
	v_mul_u32_u24_e32 v58, 0x10001, v13
	ds_load_2addr_b64 v[13:16], v0 offset1:32
	v_mul_u32_u24_e32 v9, 0x10001, v9
	s_wait_dscnt 0x0
	v_pk_fma_f16 v21, v13, v9, v21
	v_pk_fma_f16 v22, v14, v9, v22
	;; [unrolled: 1-line block ×4, first 2 shown]
	v_and_b32_e32 v9, 0xffff, v10
	v_pk_fma_f16 v18, v13, v58, v18
	v_pk_fma_f16 v19, v14, v58, v19
	;; [unrolled: 1-line block ×4, first 2 shown]
	v_mul_u32_u24_e32 v9, 0x10001, v9
	s_delay_alu instid0(VALU_DEP_1) | instskip(SKIP_4) | instid1(VALU_DEP_1)
	v_pk_fma_f16 v52, v13, v9, v52
	v_pk_fma_f16 v53, v14, v9, v53
	;; [unrolled: 1-line block ×4, first 2 shown]
	v_lshrrev_b32_e32 v9, 16, v10
	v_mul_u32_u24_e32 v9, 0x10001, v9
	s_delay_alu instid0(VALU_DEP_1)
	v_pk_fma_f16 v13, v13, v9, v55
	v_pk_fma_f16 v14, v14, v9, v56
	;; [unrolled: 1-line block ×4, first 2 shown]
	v_and_b32_e32 v9, 0xffff, v11
	v_lshrrev_b32_e32 v51, 16, v11
	v_lshrrev_b32_e32 v55, 16, v12
	v_and_b32_e32 v56, 0xffff, v12
	s_delay_alu instid0(VALU_DEP_4) | instskip(SKIP_3) | instid1(VALU_DEP_1)
	v_mul_u32_u24_e32 v57, 0x10001, v9
	ds_load_2addr_b64 v[9:12], v0 offset0:64 offset1:96
	v_mul_u32_u24_e32 v51, 0x10001, v51
	s_wait_dscnt 0x0
	v_pk_fma_f16 v21, v9, v51, v21
	v_pk_fma_f16 v22, v10, v51, v22
	;; [unrolled: 1-line block ×4, first 2 shown]
	v_mul_u32_u24_e32 v51, 0x10001, v56
	v_pk_fma_f16 v18, v9, v57, v18
	v_pk_fma_f16 v19, v10, v57, v19
	;; [unrolled: 1-line block ×8, first 2 shown]
	v_mul_u32_u24_e32 v51, 0x10001, v55
	s_delay_alu instid0(VALU_DEP_1)
	v_pk_fma_f16 v55, v9, v51, v13
	v_pk_fma_f16 v56, v10, v51, v14
	;; [unrolled: 1-line block ×4, first 2 shown]
	ds_load_b128 v[9:12], v37 offset:34160
	s_wait_dscnt 0x0
	v_and_b32_e32 v13, 0xffff, v9
	v_lshrrev_b32_e32 v9, 16, v9
	s_delay_alu instid0(VALU_DEP_2) | instskip(SKIP_3) | instid1(VALU_DEP_1)
	v_mul_u32_u24_e32 v58, 0x10001, v13
	ds_load_2addr_b64 v[13:16], v0 offset0:128 offset1:160
	v_mul_u32_u24_e32 v9, 0x10001, v9
	s_wait_dscnt 0x0
	v_pk_fma_f16 v21, v13, v9, v21
	v_pk_fma_f16 v22, v14, v9, v22
	;; [unrolled: 1-line block ×4, first 2 shown]
	v_and_b32_e32 v9, 0xffff, v10
	v_pk_fma_f16 v18, v13, v58, v18
	v_pk_fma_f16 v19, v14, v58, v19
	;; [unrolled: 1-line block ×4, first 2 shown]
	v_mul_u32_u24_e32 v9, 0x10001, v9
	s_delay_alu instid0(VALU_DEP_1) | instskip(SKIP_4) | instid1(VALU_DEP_1)
	v_pk_fma_f16 v52, v13, v9, v52
	v_pk_fma_f16 v53, v14, v9, v53
	;; [unrolled: 1-line block ×4, first 2 shown]
	v_lshrrev_b32_e32 v9, 16, v10
	v_mul_u32_u24_e32 v9, 0x10001, v9
	s_delay_alu instid0(VALU_DEP_1)
	v_pk_fma_f16 v13, v13, v9, v55
	v_pk_fma_f16 v14, v14, v9, v56
	;; [unrolled: 1-line block ×4, first 2 shown]
	v_and_b32_e32 v9, 0xffff, v11
	v_lshrrev_b32_e32 v51, 16, v11
	v_lshrrev_b32_e32 v55, 16, v12
	v_and_b32_e32 v56, 0xffff, v12
	s_delay_alu instid0(VALU_DEP_4)
	v_mul_u32_u24_e32 v57, 0x10001, v9
	ds_load_2addr_b64 v[9:12], v0 offset0:192 offset1:224
	s_wait_dscnt 0x0
	v_pk_fma_f16 v0, v9, v57, v18
	v_pk_fma_f16 v18, v10, v57, v19
	v_pk_fma_f16 v19, v11, v57, v20
	v_mul_u32_u24_e32 v20, 0x10001, v51
	v_pk_fma_f16 v17, v12, v57, v17
	s_delay_alu instid0(VALU_DEP_2) | instskip(SKIP_4) | instid1(VALU_DEP_1)
	v_pk_fma_f16 v21, v9, v20, v21
	v_pk_fma_f16 v22, v10, v20, v22
	;; [unrolled: 1-line block ×4, first 2 shown]
	v_mul_u32_u24_e32 v38, 0x10001, v56
	v_pk_fma_f16 v51, v9, v38, v52
	v_pk_fma_f16 v52, v10, v38, v53
	;; [unrolled: 1-line block ×4, first 2 shown]
	v_mul_u32_u24_e32 v50, 0x10001, v55
	s_delay_alu instid0(VALU_DEP_1)
	v_pk_fma_f16 v54, v9, v50, v13
	v_pk_fma_f16 v55, v10, v50, v14
	;; [unrolled: 1-line block ×4, first 2 shown]
	ds_load_b128 v[9:12], v37 offset:34176
	s_wait_dscnt 0x0
	v_and_b32_e32 v13, 0xffff, v9
	v_lshrrev_b32_e32 v9, 16, v9
	s_delay_alu instid0(VALU_DEP_2) | instskip(SKIP_3) | instid1(VALU_DEP_1)
	v_mul_u32_u24_e32 v57, 0x10001, v13
	ds_load_2addr_b64 v[13:16], v1 offset1:32
	v_mul_u32_u24_e32 v9, 0x10001, v9
	s_wait_dscnt 0x0
	v_pk_fma_f16 v21, v13, v9, v21
	v_pk_fma_f16 v22, v14, v9, v22
	;; [unrolled: 1-line block ×4, first 2 shown]
	v_and_b32_e32 v9, 0xffff, v10
	v_pk_fma_f16 v0, v13, v57, v0
	v_pk_fma_f16 v18, v14, v57, v18
	;; [unrolled: 1-line block ×4, first 2 shown]
	v_mul_u32_u24_e32 v9, 0x10001, v9
	s_delay_alu instid0(VALU_DEP_1) | instskip(SKIP_4) | instid1(VALU_DEP_1)
	v_pk_fma_f16 v51, v13, v9, v51
	v_pk_fma_f16 v52, v14, v9, v52
	;; [unrolled: 1-line block ×4, first 2 shown]
	v_lshrrev_b32_e32 v9, 16, v10
	v_mul_u32_u24_e32 v9, 0x10001, v9
	s_delay_alu instid0(VALU_DEP_1)
	v_pk_fma_f16 v13, v13, v9, v54
	v_pk_fma_f16 v14, v14, v9, v55
	;; [unrolled: 1-line block ×4, first 2 shown]
	v_and_b32_e32 v9, 0xffff, v11
	v_lshrrev_b32_e32 v50, 16, v11
	v_lshrrev_b32_e32 v54, 16, v12
	v_and_b32_e32 v55, 0xffff, v12
	s_delay_alu instid0(VALU_DEP_4) | instskip(SKIP_3) | instid1(VALU_DEP_1)
	v_mul_u32_u24_e32 v56, 0x10001, v9
	ds_load_2addr_b64 v[9:12], v1 offset0:64 offset1:96
	v_mul_u32_u24_e32 v50, 0x10001, v50
	s_wait_dscnt 0x0
	v_pk_fma_f16 v21, v9, v50, v21
	v_pk_fma_f16 v22, v10, v50, v22
	;; [unrolled: 1-line block ×4, first 2 shown]
	v_mul_u32_u24_e32 v50, 0x10001, v55
	v_pk_fma_f16 v0, v9, v56, v0
	v_pk_fma_f16 v18, v10, v56, v18
	;; [unrolled: 1-line block ×8, first 2 shown]
	v_mul_u32_u24_e32 v50, 0x10001, v54
	s_delay_alu instid0(VALU_DEP_1)
	v_pk_fma_f16 v54, v9, v50, v13
	v_pk_fma_f16 v55, v10, v50, v14
	;; [unrolled: 1-line block ×4, first 2 shown]
	ds_load_b128 v[9:12], v37 offset:34192
	s_wait_dscnt 0x0
	v_and_b32_e32 v13, 0xffff, v9
	v_lshrrev_b32_e32 v9, 16, v9
	s_delay_alu instid0(VALU_DEP_2) | instskip(SKIP_3) | instid1(VALU_DEP_1)
	v_mul_u32_u24_e32 v57, 0x10001, v13
	ds_load_2addr_b64 v[13:16], v1 offset0:128 offset1:160
	v_mul_u32_u24_e32 v9, 0x10001, v9
	s_wait_dscnt 0x0
	v_pk_fma_f16 v21, v13, v9, v21
	v_pk_fma_f16 v22, v14, v9, v22
	;; [unrolled: 1-line block ×4, first 2 shown]
	v_and_b32_e32 v9, 0xffff, v10
	v_pk_fma_f16 v0, v13, v57, v0
	v_pk_fma_f16 v18, v14, v57, v18
	;; [unrolled: 1-line block ×4, first 2 shown]
	v_mul_u32_u24_e32 v9, 0x10001, v9
	s_delay_alu instid0(VALU_DEP_1) | instskip(SKIP_4) | instid1(VALU_DEP_1)
	v_pk_fma_f16 v51, v13, v9, v51
	v_pk_fma_f16 v52, v14, v9, v52
	;; [unrolled: 1-line block ×4, first 2 shown]
	v_lshrrev_b32_e32 v9, 16, v10
	v_mul_u32_u24_e32 v9, 0x10001, v9
	s_delay_alu instid0(VALU_DEP_1)
	v_pk_fma_f16 v13, v13, v9, v54
	v_pk_fma_f16 v14, v14, v9, v55
	v_pk_fma_f16 v15, v15, v9, v56
	v_pk_fma_f16 v16, v16, v9, v50
	v_and_b32_e32 v9, 0xffff, v11
	v_lshrrev_b32_e32 v50, 16, v11
	v_lshrrev_b32_e32 v54, 16, v12
	v_and_b32_e32 v55, 0xffff, v12
	s_delay_alu instid0(VALU_DEP_4)
	v_mul_u32_u24_e32 v56, 0x10001, v9
	ds_load_2addr_b64 v[9:12], v1 offset0:192 offset1:224
	s_wait_dscnt 0x0
	v_pk_fma_f16 v1, v10, v56, v18
	v_pk_fma_f16 v18, v11, v56, v19
	v_mul_u32_u24_e32 v19, 0x10001, v50
	v_pk_fma_f16 v0, v9, v56, v0
	v_pk_fma_f16 v17, v12, v56, v17
	s_delay_alu instid0(VALU_DEP_3) | instskip(SKIP_4) | instid1(VALU_DEP_1)
	v_pk_fma_f16 v21, v9, v19, v21
	v_pk_fma_f16 v22, v10, v19, v22
	;; [unrolled: 1-line block ×4, first 2 shown]
	v_mul_u32_u24_e32 v20, 0x10001, v55
	v_pk_fma_f16 v50, v9, v20, v51
	v_pk_fma_f16 v51, v10, v20, v52
	;; [unrolled: 1-line block ×4, first 2 shown]
	v_mul_u32_u24_e32 v38, 0x10001, v54
	s_delay_alu instid0(VALU_DEP_1)
	v_pk_fma_f16 v53, v9, v38, v13
	v_pk_fma_f16 v54, v10, v38, v14
	;; [unrolled: 1-line block ×4, first 2 shown]
	ds_load_b128 v[9:12], v37 offset:34208
	s_wait_dscnt 0x0
	v_and_b32_e32 v13, 0xffff, v9
	v_lshrrev_b32_e32 v9, 16, v9
	s_delay_alu instid0(VALU_DEP_2) | instskip(SKIP_3) | instid1(VALU_DEP_1)
	v_mul_u32_u24_e32 v56, 0x10001, v13
	ds_load_2addr_b64 v[13:16], v2 offset1:32
	v_mul_u32_u24_e32 v9, 0x10001, v9
	s_wait_dscnt 0x0
	v_pk_fma_f16 v21, v13, v9, v21
	v_pk_fma_f16 v22, v14, v9, v22
	;; [unrolled: 1-line block ×4, first 2 shown]
	v_and_b32_e32 v9, 0xffff, v10
	v_pk_fma_f16 v0, v13, v56, v0
	v_pk_fma_f16 v1, v14, v56, v1
	;; [unrolled: 1-line block ×4, first 2 shown]
	v_mul_u32_u24_e32 v9, 0x10001, v9
	s_delay_alu instid0(VALU_DEP_1) | instskip(SKIP_4) | instid1(VALU_DEP_1)
	v_pk_fma_f16 v50, v13, v9, v50
	v_pk_fma_f16 v51, v14, v9, v51
	v_pk_fma_f16 v52, v15, v9, v52
	v_pk_fma_f16 v20, v16, v9, v20
	v_lshrrev_b32_e32 v9, 16, v10
	v_mul_u32_u24_e32 v9, 0x10001, v9
	s_delay_alu instid0(VALU_DEP_1)
	v_pk_fma_f16 v13, v13, v9, v53
	v_pk_fma_f16 v14, v14, v9, v54
	;; [unrolled: 1-line block ×4, first 2 shown]
	v_and_b32_e32 v9, 0xffff, v11
	v_lshrrev_b32_e32 v38, 16, v11
	v_lshrrev_b32_e32 v53, 16, v12
	v_and_b32_e32 v54, 0xffff, v12
	s_delay_alu instid0(VALU_DEP_4) | instskip(SKIP_3) | instid1(VALU_DEP_1)
	v_mul_u32_u24_e32 v55, 0x10001, v9
	ds_load_2addr_b64 v[9:12], v2 offset0:64 offset1:96
	v_mul_u32_u24_e32 v38, 0x10001, v38
	s_wait_dscnt 0x0
	v_pk_fma_f16 v21, v9, v38, v21
	v_pk_fma_f16 v22, v10, v38, v22
	;; [unrolled: 1-line block ×4, first 2 shown]
	v_mul_u32_u24_e32 v38, 0x10001, v54
	v_pk_fma_f16 v0, v9, v55, v0
	v_pk_fma_f16 v1, v10, v55, v1
	;; [unrolled: 1-line block ×8, first 2 shown]
	v_mul_u32_u24_e32 v38, 0x10001, v53
	s_delay_alu instid0(VALU_DEP_1)
	v_pk_fma_f16 v53, v9, v38, v13
	v_pk_fma_f16 v54, v10, v38, v14
	;; [unrolled: 1-line block ×4, first 2 shown]
	ds_load_b128 v[9:12], v37 offset:34224
	s_wait_dscnt 0x0
	v_and_b32_e32 v13, 0xffff, v9
	v_lshrrev_b32_e32 v9, 16, v9
	s_delay_alu instid0(VALU_DEP_2) | instskip(SKIP_3) | instid1(VALU_DEP_1)
	v_mul_u32_u24_e32 v56, 0x10001, v13
	ds_load_2addr_b64 v[13:16], v2 offset0:128 offset1:160
	v_mul_u32_u24_e32 v9, 0x10001, v9
	s_wait_dscnt 0x0
	v_pk_fma_f16 v21, v13, v9, v21
	v_pk_fma_f16 v22, v14, v9, v22
	;; [unrolled: 1-line block ×4, first 2 shown]
	v_and_b32_e32 v9, 0xffff, v10
	v_pk_fma_f16 v0, v13, v56, v0
	v_pk_fma_f16 v1, v14, v56, v1
	;; [unrolled: 1-line block ×4, first 2 shown]
	v_mul_u32_u24_e32 v9, 0x10001, v9
	s_delay_alu instid0(VALU_DEP_1) | instskip(SKIP_4) | instid1(VALU_DEP_1)
	v_pk_fma_f16 v50, v13, v9, v50
	v_pk_fma_f16 v51, v14, v9, v51
	;; [unrolled: 1-line block ×4, first 2 shown]
	v_lshrrev_b32_e32 v9, 16, v10
	v_mul_u32_u24_e32 v9, 0x10001, v9
	s_delay_alu instid0(VALU_DEP_1)
	v_pk_fma_f16 v13, v13, v9, v53
	v_pk_fma_f16 v14, v14, v9, v54
	;; [unrolled: 1-line block ×4, first 2 shown]
	v_and_b32_e32 v9, 0xffff, v11
	v_lshrrev_b32_e32 v38, 16, v11
	v_lshrrev_b32_e32 v53, 16, v12
	v_and_b32_e32 v54, 0xffff, v12
	s_delay_alu instid0(VALU_DEP_4)
	v_mul_u32_u24_e32 v55, 0x10001, v9
	ds_load_2addr_b64 v[9:12], v2 offset0:192 offset1:224
	s_wait_dscnt 0x0
	v_pk_fma_f16 v2, v11, v55, v18
	v_mul_u32_u24_e32 v18, 0x10001, v38
	v_pk_fma_f16 v0, v9, v55, v0
	v_pk_fma_f16 v1, v10, v55, v1
	;; [unrolled: 1-line block ×3, first 2 shown]
	s_delay_alu instid0(VALU_DEP_4) | instskip(SKIP_4) | instid1(VALU_DEP_1)
	v_pk_fma_f16 v21, v9, v18, v21
	v_pk_fma_f16 v22, v10, v18, v22
	;; [unrolled: 1-line block ×4, first 2 shown]
	v_mul_u32_u24_e32 v19, 0x10001, v54
	v_pk_fma_f16 v39, v9, v19, v50
	v_pk_fma_f16 v50, v10, v19, v51
	;; [unrolled: 1-line block ×4, first 2 shown]
	v_mul_u32_u24_e32 v20, 0x10001, v53
	s_delay_alu instid0(VALU_DEP_1)
	v_pk_fma_f16 v52, v9, v20, v13
	v_pk_fma_f16 v53, v10, v20, v14
	;; [unrolled: 1-line block ×4, first 2 shown]
	ds_load_b128 v[9:12], v37 offset:34240
	s_wait_dscnt 0x0
	v_and_b32_e32 v13, 0xffff, v9
	v_lshrrev_b32_e32 v9, 16, v9
	s_delay_alu instid0(VALU_DEP_2) | instskip(SKIP_3) | instid1(VALU_DEP_1)
	v_mul_u32_u24_e32 v55, 0x10001, v13
	ds_load_2addr_b64 v[13:16], v3 offset1:32
	v_mul_u32_u24_e32 v9, 0x10001, v9
	s_wait_dscnt 0x0
	v_pk_fma_f16 v21, v13, v9, v21
	v_pk_fma_f16 v22, v14, v9, v22
	;; [unrolled: 1-line block ×4, first 2 shown]
	v_and_b32_e32 v9, 0xffff, v10
	v_pk_fma_f16 v0, v13, v55, v0
	v_pk_fma_f16 v1, v14, v55, v1
	;; [unrolled: 1-line block ×4, first 2 shown]
	v_mul_u32_u24_e32 v9, 0x10001, v9
	s_delay_alu instid0(VALU_DEP_1) | instskip(SKIP_4) | instid1(VALU_DEP_1)
	v_pk_fma_f16 v39, v13, v9, v39
	v_pk_fma_f16 v50, v14, v9, v50
	;; [unrolled: 1-line block ×4, first 2 shown]
	v_lshrrev_b32_e32 v9, 16, v10
	v_mul_u32_u24_e32 v9, 0x10001, v9
	s_delay_alu instid0(VALU_DEP_1)
	v_pk_fma_f16 v13, v13, v9, v52
	v_pk_fma_f16 v14, v14, v9, v53
	;; [unrolled: 1-line block ×4, first 2 shown]
	v_and_b32_e32 v9, 0xffff, v11
	v_lshrrev_b32_e32 v20, 16, v11
	v_lshrrev_b32_e32 v52, 16, v12
	v_and_b32_e32 v53, 0xffff, v12
	s_delay_alu instid0(VALU_DEP_4) | instskip(SKIP_3) | instid1(VALU_DEP_1)
	v_mul_u32_u24_e32 v54, 0x10001, v9
	ds_load_2addr_b64 v[9:12], v3 offset0:64 offset1:96
	v_mul_u32_u24_e32 v20, 0x10001, v20
	s_wait_dscnt 0x0
	v_pk_fma_f16 v21, v9, v20, v21
	v_pk_fma_f16 v22, v10, v20, v22
	;; [unrolled: 1-line block ×4, first 2 shown]
	v_mul_u32_u24_e32 v20, 0x10001, v53
	v_pk_fma_f16 v0, v9, v54, v0
	v_pk_fma_f16 v1, v10, v54, v1
	;; [unrolled: 1-line block ×8, first 2 shown]
	v_mul_u32_u24_e32 v20, 0x10001, v52
	s_delay_alu instid0(VALU_DEP_1)
	v_pk_fma_f16 v52, v9, v20, v13
	v_pk_fma_f16 v53, v10, v20, v14
	;; [unrolled: 1-line block ×4, first 2 shown]
	ds_load_b128 v[9:12], v37 offset:34256
	s_wait_dscnt 0x0
	v_and_b32_e32 v13, 0xffff, v9
	s_delay_alu instid0(VALU_DEP_1)
	v_mul_u32_u24_e32 v55, 0x10001, v13
	ds_load_2addr_b64 v[13:16], v3 offset0:128 offset1:160
	s_wait_dscnt 0x0
	v_pk_fma_f16 v56, v13, v55, v0
	v_lshrrev_b32_e32 v0, 16, v9
	v_pk_fma_f16 v57, v14, v55, v1
	v_pk_fma_f16 v58, v15, v55, v2
	;; [unrolled: 1-line block ×3, first 2 shown]
	s_delay_alu instid0(VALU_DEP_4) | instskip(NEXT) | instid1(VALU_DEP_1)
	v_mul_u32_u24_e32 v0, 0x10001, v0
	v_pk_fma_f16 v9, v13, v0, v21
	v_pk_fma_f16 v21, v14, v0, v22
	;; [unrolled: 1-line block ×4, first 2 shown]
	v_and_b32_e32 v0, 0xffff, v10
	s_delay_alu instid0(VALU_DEP_1) | instskip(NEXT) | instid1(VALU_DEP_1)
	v_mul_u32_u24_e32 v0, 0x10001, v0
	v_pk_fma_f16 v38, v13, v0, v39
	v_pk_fma_f16 v39, v14, v0, v50
	;; [unrolled: 1-line block ×4, first 2 shown]
	v_lshrrev_b32_e32 v0, 16, v10
	s_delay_alu instid0(VALU_DEP_1) | instskip(NEXT) | instid1(VALU_DEP_1)
	v_mul_u32_u24_e32 v0, 0x10001, v0
	v_pk_fma_f16 v10, v13, v0, v52
	v_pk_fma_f16 v13, v14, v0, v53
	v_pk_fma_f16 v14, v15, v0, v54
	v_pk_fma_f16 v15, v16, v0, v20
	v_and_b32_e32 v0, 0xffff, v11
	v_lshrrev_b32_e32 v11, 16, v11
	v_lshrrev_b32_e32 v16, 16, v12
	v_and_b32_e32 v12, 0xffff, v12
	s_delay_alu instid0(VALU_DEP_4)
	v_mul_u32_u24_e32 v20, 0x10001, v0
	ds_load_2addr_b64 v[0:3], v3 offset0:192 offset1:224
	v_mul_u32_u24_e32 v11, 0x10001, v11
	s_wait_dscnt 0x0
	v_pk_fma_f16 v51, v0, v20, v56
	v_pk_fma_f16 v52, v1, v20, v57
	;; [unrolled: 1-line block ×5, first 2 shown]
	v_mul_u32_u24_e32 v9, 0x10001, v12
	v_pk_fma_f16 v21, v1, v11, v21
	v_pk_fma_f16 v22, v2, v11, v22
	;; [unrolled: 1-line block ×3, first 2 shown]
	s_delay_alu instid0(VALU_DEP_4) | instskip(SKIP_4) | instid1(VALU_DEP_1)
	v_pk_fma_f16 v38, v0, v9, v38
	v_pk_fma_f16 v39, v1, v9, v39
	;; [unrolled: 1-line block ×4, first 2 shown]
	v_mul_u32_u24_e32 v9, 0x10001, v16
	v_pk_fma_f16 v16, v0, v9, v10
	v_pk_fma_f16 v13, v1, v9, v13
	;; [unrolled: 1-line block ×4, first 2 shown]
	ds_load_b128 v[0:3], v37 offset:34272
	s_wait_dscnt 0x0
	v_and_b32_e32 v9, 0xffff, v0
	v_lshrrev_b32_e32 v0, 16, v0
	s_delay_alu instid0(VALU_DEP_2) | instskip(SKIP_3) | instid1(VALU_DEP_1)
	v_mul_u32_u24_e32 v54, 0x10001, v9
	ds_load_2addr_b64 v[9:12], v8 offset1:32
	v_mul_u32_u24_e32 v0, 0x10001, v0
	s_wait_dscnt 0x0
	v_pk_fma_f16 v20, v9, v0, v20
	v_pk_fma_f16 v21, v10, v0, v21
	v_pk_fma_f16 v22, v11, v0, v22
	v_pk_fma_f16 v18, v12, v0, v18
	v_and_b32_e32 v0, 0xffff, v1
	v_pk_fma_f16 v51, v9, v54, v51
	v_pk_fma_f16 v52, v10, v54, v52
	;; [unrolled: 1-line block ×4, first 2 shown]
	v_mul_u32_u24_e32 v0, 0x10001, v0
	s_delay_alu instid0(VALU_DEP_1) | instskip(SKIP_4) | instid1(VALU_DEP_1)
	v_pk_fma_f16 v38, v9, v0, v38
	v_pk_fma_f16 v39, v10, v0, v39
	;; [unrolled: 1-line block ×4, first 2 shown]
	v_lshrrev_b32_e32 v0, 16, v1
	v_mul_u32_u24_e32 v0, 0x10001, v0
	s_delay_alu instid0(VALU_DEP_1)
	v_pk_fma_f16 v9, v9, v0, v16
	v_pk_fma_f16 v10, v10, v0, v13
	;; [unrolled: 1-line block ×4, first 2 shown]
	v_and_b32_e32 v0, 0xffff, v2
	v_lshrrev_b32_e32 v13, 16, v2
	v_lshrrev_b32_e32 v14, 16, v3
	v_and_b32_e32 v15, 0xffff, v3
	s_delay_alu instid0(VALU_DEP_4)
	v_mul_u32_u24_e32 v16, 0x10001, v0
	ds_load_2addr_b64 v[0:3], v8 offset0:64 offset1:96
	v_mul_u32_u24_e32 v13, 0x10001, v13
	v_mul_u32_u24_e32 v15, 0x10001, v15
	;; [unrolled: 1-line block ×3, first 2 shown]
	s_wait_dscnt 0x0
	v_pk_fma_f16 v51, v0, v16, v51
	v_pk_fma_f16 v52, v1, v16, v52
	;; [unrolled: 1-line block ×16, first 2 shown]
	ds_load_b128 v[0:3], v37 offset:34288
	s_wait_dscnt 0x0
	v_and_b32_e32 v9, 0xffff, v0
	v_lshrrev_b32_e32 v0, 16, v0
	s_delay_alu instid0(VALU_DEP_2) | instskip(SKIP_3) | instid1(VALU_DEP_1)
	v_mul_u32_u24_e32 v37, 0x10001, v9
	ds_load_2addr_b64 v[9:12], v8 offset0:128 offset1:160
	v_mul_u32_u24_e32 v0, 0x10001, v0
	s_wait_dscnt 0x0
	v_pk_fma_f16 v17, v9, v0, v17
	v_pk_fma_f16 v20, v10, v0, v20
	;; [unrolled: 1-line block ×4, first 2 shown]
	v_and_b32_e32 v0, 0xffff, v1
	v_pk_fma_f16 v51, v9, v37, v51
	v_pk_fma_f16 v52, v10, v37, v52
	;; [unrolled: 1-line block ×4, first 2 shown]
	v_mul_u32_u24_e32 v0, 0x10001, v0
	s_delay_alu instid0(VALU_DEP_1)
	v_pk_fma_f16 v18, v9, v0, v18
	v_pk_fma_f16 v22, v10, v0, v22
	;; [unrolled: 1-line block ×4, first 2 shown]
	v_lshrrev_b32_e32 v0, 16, v1
	v_and_b32_e32 v38, 0xffff, v3
	s_delay_alu instid0(VALU_DEP_2) | instskip(NEXT) | instid1(VALU_DEP_1)
	v_mul_u32_u24_e32 v0, 0x10001, v0
	v_pk_fma_f16 v9, v9, v0, v19
	v_pk_fma_f16 v10, v10, v0, v39
	;; [unrolled: 1-line block ×4, first 2 shown]
	v_and_b32_e32 v0, 0xffff, v2
	v_lshrrev_b32_e32 v14, 16, v2
	v_lshrrev_b32_e32 v19, 16, v3
	s_delay_alu instid0(VALU_DEP_3)
	v_mul_u32_u24_e32 v39, 0x10001, v0
	ds_load_2addr_b64 v[0:3], v8 offset0:192 offset1:224
	v_mul_u32_u24_e32 v8, 0x10001, v14
	s_wait_loadcnt_dscnt 0x0
	s_barrier_signal -1
	s_barrier_wait -1
	global_inv scope:SCOPE_SE
	v_pk_fma_f16 v58, v0, v8, v17
	v_pk_fma_f16 v63, v1, v8, v20
	;; [unrolled: 1-line block ×4, first 2 shown]
	v_mul_u32_u24_e32 v8, 0x10001, v38
	v_pk_fma_f16 v64, v2, v39, v53
	v_pk_fma_f16 v62, v0, v39, v51
	;; [unrolled: 1-line block ×8, first 2 shown]
	v_mul_u32_u24_e32 v8, 0x10001, v19
	s_delay_alu instid0(VALU_DEP_1)
	v_pk_fma_f16 v55, v0, v8, v9
	v_pk_fma_f16 v56, v1, v8, v10
	;; [unrolled: 1-line block ×4, first 2 shown]
	v_add_f32_e32 v0, v46, v67
	v_dual_add_f32 v1, v45, v59 :: v_dual_add_f32 v2, v40, v49
	s_delay_alu instid0(VALU_DEP_2) | instskip(NEXT) | instid1(VALU_DEP_2)
	v_dual_add_f32 v3, v47, v48 :: v_dual_fmac_f32 v0, v44, v74
	v_dual_fmac_f32 v1, v43, v73 :: v_dual_fmac_f32 v2, v42, v72
	s_delay_alu instid0(VALU_DEP_2) | instskip(NEXT) | instid1(VALU_DEP_2)
	v_dual_fmac_f32 v3, v41, v68 :: v_dual_mov_b32 v44, v0
	v_dual_mov_b32 v43, v1 :: v_dual_mov_b32 v42, v2
	s_delay_alu instid0(VALU_DEP_2)
	v_dual_mov_b32 v41, v3 :: v_dual_mov_b32 v0, v4
	v_dual_mov_b32 v1, v5 :: v_dual_mov_b32 v2, v6
	v_mov_b32_e32 v3, v7
.LBB42_72:
	v_cmp_lt_i32_e32 vcc_lo, v71, v70
	s_cmp_eq_u64 s[12:13], 0
	s_cselect_b32 s2, -1, 0
	s_cmp_lg_u32 s10, 0
	s_wait_alu 0xfffd
	v_cndmask_b32_e32 v4, v36, v71, vcc_lo
	v_cmp_lt_i32_e32 vcc_lo, v69, v70
	s_cselect_b32 s3, -1, 0
	s_wait_alu 0xfffe
	s_or_b32 s2, s3, s2
	v_lshlrev_b32_e32 v4, 2, v4
	ds_bpermute_b32 v5, v4, v44
	s_wait_dscnt 0x0
	v_add_f32_e32 v5, v44, v5
	ds_bpermute_b32 v7, v4, v42
	s_wait_alu 0xfffd
	v_cndmask_b32_e32 v8, v36, v69, vcc_lo
	ds_bpermute_b32 v6, v4, v43
	ds_bpermute_b32 v4, v4, v41
	v_cmp_lt_i32_e32 vcc_lo, v25, v70
	s_wait_alu 0xfffd
	v_cndmask_b32_e32 v12, v36, v25, vcc_lo
	v_cmp_lt_i32_e32 vcc_lo, v24, v70
	s_wait_dscnt 0x2
	s_delay_alu instid0(VALU_DEP_2)
	v_dual_add_f32 v7, v42, v7 :: v_dual_lshlrev_b32 v12, 2, v12
	v_lshlrev_b32_e32 v8, 2, v8
	ds_bpermute_b32 v11, v8, v7
	s_wait_dscnt 0x0
	v_add_f32_e32 v7, v7, v11
	ds_bpermute_b32 v9, v8, v5
	v_add_f32_e32 v4, v41, v4
	s_wait_dscnt 0x0
	v_dual_add_f32 v5, v5, v9 :: v_dual_add_f32 v6, v43, v6
	ds_bpermute_b32 v10, v8, v6
	ds_bpermute_b32 v8, v8, v4
	s_wait_dscnt 0x0
	v_add_f32_e32 v4, v4, v8
	ds_bpermute_b32 v8, v12, v5
	ds_bpermute_b32 v11, v12, v4
	s_wait_dscnt 0x1
	v_dual_add_f32 v5, v5, v8 :: v_dual_add_f32 v6, v6, v10
	ds_bpermute_b32 v10, v12, v7
	s_wait_dscnt 0x1
	v_add_f32_e32 v4, v4, v11
	ds_bpermute_b32 v9, v12, v6
	s_wait_alu 0xfffd
	v_cndmask_b32_e32 v12, v36, v24, vcc_lo
	v_cmp_lt_i32_e32 vcc_lo, v23, v70
	s_delay_alu instid0(VALU_DEP_2)
	v_lshlrev_b32_e32 v12, 2, v12
	ds_bpermute_b32 v8, v12, v5
	ds_bpermute_b32 v11, v12, v4
	s_wait_dscnt 0x2
	v_dual_add_f32 v7, v7, v10 :: v_dual_add_f32 v6, v6, v9
	ds_bpermute_b32 v10, v12, v7
	ds_bpermute_b32 v9, v12, v6
	s_wait_alu 0xfffd
	v_cndmask_b32_e32 v12, v36, v23, vcc_lo
	s_wait_alu 0xfffe
	s_and_b32 vcc_lo, exec_lo, s2
	s_delay_alu instid0(VALU_DEP_1)
	v_lshlrev_b32_e32 v12, 2, v12
	s_wait_dscnt 0x2
	v_dual_add_f32 v5, v5, v8 :: v_dual_add_f32 v8, v4, v11
	ds_bpermute_b32 v4, v12, v5
	ds_bpermute_b32 v11, v12, v8
	s_wait_dscnt 0x2
	v_dual_add_f32 v7, v7, v10 :: v_dual_add_f32 v6, v6, v9
	ds_bpermute_b32 v10, v12, v7
	ds_bpermute_b32 v9, v12, v6
	s_wait_dscnt 0x0
	v_dual_add_f32 v4, v5, v4 :: v_dual_add_f32 v5, v6, v9
	v_dual_add_f32 v6, v7, v10 :: v_dual_add_f32 v7, v8, v11
	s_wait_alu 0xfffe
	s_cbranch_vccnz .LBB42_75
; %bb.73:
	v_dual_mov_b32 v8, 0 :: v_dual_max_num_f32 v9, v0, v0
	s_lshl_b64 s[2:3], s[34:35], 2
	v_dual_max_num_f32 v14, v2, v2 :: v_dual_max_num_f32 v15, v3, v3
	s_wait_alu 0xfffe
	s_add_nc_u64 s[2:3], s[12:13], s[2:3]
	v_max_num_f32_e32 v11, v1, v1
	global_load_b32 v8, v8, s[2:3]
	s_wait_loadcnt 0x0
	v_max_num_f32_e32 v10, v8, v8
	s_delay_alu instid0(VALU_DEP_1) | instskip(NEXT) | instid1(VALU_DEP_1)
	v_max_num_f32_e32 v15, v15, v10
	v_dual_max_num_f32 v12, v9, v10 :: v_dual_sub_f32 v3, v3, v15
	s_delay_alu instid0(VALU_DEP_1) | instskip(SKIP_1) | instid1(VALU_DEP_2)
	v_dual_max_num_f32 v13, v11, v10 :: v_dual_sub_f32 v0, v0, v12
	v_dual_max_num_f32 v14, v14, v10 :: v_dual_sub_f32 v9, v8, v12
	v_sub_f32_e32 v1, v1, v13
	v_sub_f32_e32 v10, v8, v13
	s_delay_alu instid0(VALU_DEP_3) | instskip(SKIP_2) | instid1(VALU_DEP_4)
	v_sub_f32_e32 v2, v2, v14
	v_sub_f32_e32 v11, v8, v14
	v_dual_sub_f32 v16, v8, v15 :: v_dual_mul_f32 v17, 0x3fb8aa3b, v9
	v_dual_mul_f32 v18, 0x3fb8aa3b, v1 :: v_dual_mul_f32 v19, 0x3fb8aa3b, v10
	v_mul_f32_e32 v8, 0x3fb8aa3b, v0
	s_delay_alu instid0(VALU_DEP_4) | instskip(NEXT) | instid1(VALU_DEP_3)
	v_dual_mul_f32 v20, 0x3fb8aa3b, v2 :: v_dual_mul_f32 v21, 0x3fb8aa3b, v11
	v_rndne_f32_e32 v39, v18
	s_delay_alu instid0(VALU_DEP_4)
	v_fma_f32 v40, 0x3fb8aa3b, v10, -v19
	v_rndne_f32_e32 v41, v19
	v_fma_f32 v24, 0x3fb8aa3b, v0, -v8
	v_rndne_f32_e32 v25, v8
	;; [unrolled: 2-line block ×4, first 2 shown]
	v_dual_sub_f32 v18, v18, v39 :: v_dual_sub_f32 v19, v19, v41
	v_fmac_f32_e32 v40, 0x32a5705f, v10
	v_fma_f32 v44, 0x3fb8aa3b, v11, -v21
	v_dual_fmac_f32 v24, 0x32a5705f, v0 :: v_dual_sub_f32 v17, v17, v37
	v_sub_f32_e32 v21, v21, v45
	s_delay_alu instid0(VALU_DEP_4) | instskip(SKIP_3) | instid1(VALU_DEP_4)
	v_dual_fmac_f32 v36, 0x32a5705f, v9 :: v_dual_add_f32 v19, v19, v40
	v_sub_f32_e32 v8, v8, v25
	v_cvt_i32_f32_e32 v25, v25
	v_cvt_i32_f32_e32 v37, v37
	v_add_f32_e32 v17, v17, v36
	v_cmp_ngt_f32_e32 vcc_lo, 0xc2ce8ed0, v0
	v_add_f32_e32 v8, v8, v24
	v_cvt_i32_f32_e32 v39, v39
	v_exp_f32_e32 v19, v19
	v_exp_f32_e32 v17, v17
	v_dual_mul_f32 v22, 0x3fb8aa3b, v3 :: v_dual_mul_f32 v23, 0x3fb8aa3b, v16
	v_exp_f32_e32 v8, v8
	v_cvt_i32_f32_e32 v41, v41
	v_fma_f32 v42, 0x3fb8aa3b, v2, -v20
	v_rndne_f32_e32 v43, v20
	v_fma_f32 v48, 0x3fb8aa3b, v16, -v23
	v_rndne_f32_e32 v49, v23
	s_delay_alu instid0(TRANS32_DEP_3) | instskip(NEXT) | instid1(TRANS32_DEP_2)
	v_ldexp_f32 v19, v19, v41
	v_ldexp_f32 v17, v17, v37
	v_fmac_f32_e32 v42, 0x32a5705f, v2
	v_fma_f32 v46, 0x3fb8aa3b, v3, -v22
	v_ldexp_f32 v8, v8, v25
	v_sub_f32_e32 v23, v23, v49
	v_rndne_f32_e32 v47, v22
	v_cvt_i32_f32_e32 v45, v45
	v_cvt_i32_f32_e32 v36, v49
	s_wait_alu 0xfffd
	v_cndmask_b32_e32 v8, 0, v8, vcc_lo
	v_cmp_ngt_f32_e32 vcc_lo, 0xc2ce8ed0, v9
	v_fmac_f32_e32 v44, 0x32a5705f, v11
	v_cvt_i32_f32_e32 v24, v47
	s_wait_alu 0xfffd
	v_cndmask_b32_e32 v17, 0, v17, vcc_lo
	s_delay_alu instid0(VALU_DEP_3) | instskip(SKIP_1) | instid1(VALU_DEP_2)
	v_dual_fmac_f32 v38, 0x32a5705f, v1 :: v_dual_add_f32 v21, v21, v44
	v_cmp_ngt_f32_e32 vcc_lo, 0xc2ce8ed0, v1
	v_add_f32_e32 v18, v18, v38
	s_delay_alu instid0(VALU_DEP_3) | instskip(NEXT) | instid1(VALU_DEP_1)
	v_exp_f32_e32 v21, v21
	v_exp_f32_e32 v18, v18
	s_delay_alu instid0(TRANS32_DEP_2) | instskip(NEXT) | instid1(TRANS32_DEP_1)
	v_ldexp_f32 v21, v21, v45
	v_ldexp_f32 v18, v18, v39
	s_wait_alu 0xfffd
	s_delay_alu instid0(VALU_DEP_1)
	v_cndmask_b32_e32 v18, 0, v18, vcc_lo
	v_cmp_ngt_f32_e32 vcc_lo, 0xc2ce8ed0, v10
	v_fmac_f32_e32 v48, 0x32a5705f, v16
	v_sub_f32_e32 v22, v22, v47
	s_wait_alu 0xfffd
	v_cndmask_b32_e32 v19, 0, v19, vcc_lo
	s_delay_alu instid0(VALU_DEP_3) | instskip(SKIP_2) | instid1(VALU_DEP_3)
	v_dual_sub_f32 v20, v20, v43 :: v_dual_add_f32 v23, v23, v48
	v_cvt_i32_f32_e32 v43, v43
	v_cmp_ngt_f32_e32 vcc_lo, 0xc2ce8ed0, v2
	v_add_f32_e32 v20, v20, v42
	s_delay_alu instid0(VALU_DEP_4) | instskip(NEXT) | instid1(VALU_DEP_1)
	v_exp_f32_e32 v23, v23
	v_exp_f32_e32 v20, v20
	s_delay_alu instid0(TRANS32_DEP_2) | instskip(NEXT) | instid1(TRANS32_DEP_1)
	v_ldexp_f32 v23, v23, v36
	v_ldexp_f32 v20, v20, v43
	s_wait_alu 0xfffd
	s_delay_alu instid0(VALU_DEP_1) | instskip(SKIP_3) | instid1(VALU_DEP_1)
	v_cndmask_b32_e32 v20, 0, v20, vcc_lo
	v_cmp_ngt_f32_e32 vcc_lo, 0xc2ce8ed0, v11
	s_wait_alu 0xfffd
	v_dual_fmac_f32 v46, 0x32a5705f, v3 :: v_dual_cndmask_b32 v21, 0, v21
	v_add_f32_e32 v22, v22, v46
	v_cmp_ngt_f32_e32 vcc_lo, 0xc2ce8ed0, v3
	s_delay_alu instid0(VALU_DEP_2) | instskip(NEXT) | instid1(TRANS32_DEP_1)
	v_exp_f32_e32 v22, v22
	v_ldexp_f32 v22, v22, v24
	s_wait_alu 0xfffd
	s_delay_alu instid0(VALU_DEP_1)
	v_cndmask_b32_e32 v22, 0, v22, vcc_lo
	v_cmp_ngt_f32_e32 vcc_lo, 0xc2ce8ed0, v16
	s_wait_alu 0xfffd
	v_cndmask_b32_e32 v23, 0, v23, vcc_lo
	v_cmp_nlt_f32_e32 vcc_lo, 0x42b17218, v0
	s_wait_alu 0xfffd
	v_cndmask_b32_e32 v0, 0x7f800000, v8, vcc_lo
	v_cmp_nlt_f32_e32 vcc_lo, 0x42b17218, v9
	;; [unrolled: 3-line block ×3, first 2 shown]
	s_wait_alu 0xfffd
	s_delay_alu instid0(VALU_DEP_2)
	v_dual_fmac_f32 v8, v4, v0 :: v_dual_cndmask_b32 v1, 0x7f800000, v18
	v_cmp_nlt_f32_e32 vcc_lo, 0x42b17218, v10
	s_wait_alu 0xfffd
	v_cndmask_b32_e32 v9, 0x7f800000, v19, vcc_lo
	v_cmp_nlt_f32_e32 vcc_lo, 0x42b17218, v2
	s_wait_alu 0xfffd
	s_delay_alu instid0(VALU_DEP_2)
	v_dual_fmac_f32 v9, v5, v1 :: v_dual_cndmask_b32 v2, 0x7f800000, v20
	v_cmp_nlt_f32_e32 vcc_lo, 0x42b17218, v11
	v_cvt_f16_f32_e32 v1, v1
	s_wait_alu 0xfffd
	v_cndmask_b32_e32 v10, 0x7f800000, v21, vcc_lo
	v_cmp_nlt_f32_e32 vcc_lo, 0x42b17218, v3
	s_delay_alu instid0(VALU_DEP_2)
	v_dual_fmac_f32 v10, v6, v2 :: v_dual_and_b32 v1, 0xffff, v1
	s_wait_alu 0xfffd
	v_cndmask_b32_e32 v3, 0x7f800000, v22, vcc_lo
	v_cmp_nlt_f32_e32 vcc_lo, 0x42b17218, v16
	v_cvt_f16_f32_e32 v2, v2
	v_mul_u32_u24_e32 v1, 0x10001, v1
	s_delay_alu instid0(VALU_DEP_4)
	v_cvt_f16_f32_e32 v4, v3
	s_wait_alu 0xfffd
	v_cndmask_b32_e32 v11, 0x7f800000, v23, vcc_lo
	v_and_b32_e32 v2, 0xffff, v2
	v_pk_mul_f16 v58, v58, v1
	v_pk_mul_f16 v63, v63, v1
	;; [unrolled: 1-line block ×3, first 2 shown]
	v_fmac_f32_e32 v11, v7, v3
	v_dual_mov_b32 v4, v8 :: v_dual_and_b32 v3, 0xffff, v4
	v_mul_u32_u24_e32 v2, 0x10001, v2
	v_pk_mul_f16 v61, v61, v1
	s_delay_alu instid0(VALU_DEP_4)
	v_mov_b32_e32 v7, v11
	v_cvt_f16_f32_e32 v0, v0
	v_mul_u32_u24_e32 v3, 0x10001, v3
	v_pk_mul_f16 v50, v50, v2
	v_pk_mul_f16 v57, v57, v2
	;; [unrolled: 1-line block ×3, first 2 shown]
	v_and_b32_e32 v0, 0xffff, v0
	v_pk_mul_f16 v54, v54, v2
	v_pk_mul_f16 v55, v55, v3
	;; [unrolled: 1-line block ×4, first 2 shown]
	v_mul_u32_u24_e32 v0, 0x10001, v0
	v_pk_mul_f16 v51, v51, v3
	v_dual_mov_b32 v5, v9 :: v_dual_mov_b32 v6, v10
	s_delay_alu instid0(VALU_DEP_3)
	v_pk_mul_f16 v62, v62, v0
	v_pk_mul_f16 v66, v66, v0
	;; [unrolled: 1-line block ×4, first 2 shown]
	v_dual_mov_b32 v0, v12 :: v_dual_mov_b32 v1, v13
	v_dual_mov_b32 v2, v14 :: v_dual_mov_b32 v3, v15
	s_mov_b32 s2, exec_lo
	v_cmpx_gt_i32_e64 s22, v34
	s_cbranch_execnz .LBB42_76
.LBB42_74:
	s_nop 0
	s_sendmsg sendmsg(MSG_DEALLOC_VGPRS)
	s_endpgm
.LBB42_75:
	s_delay_alu instid0(VALU_DEP_2) | instskip(NEXT) | instid1(VALU_DEP_2)
	v_dual_mov_b32 v8, v4 :: v_dual_mov_b32 v9, v5
	v_dual_mov_b32 v10, v6 :: v_dual_mov_b32 v11, v7
	s_mov_b32 s2, exec_lo
	v_cmpx_gt_i32_e64 s22, v34
	s_cbranch_execz .LBB42_74
.LBB42_76:
	s_load_b32 s1, s[0:1], 0xd4
	v_mov_b32_e32 v14, 1.0
	s_wait_kmcnt 0x0
	s_cmp_lg_u32 s1, 1
	s_cselect_b32 s4, -1, 0
	s_cmp_eq_u32 s1, 1
	s_cselect_b32 s3, -1, 0
	s_wait_alu 0xfffe
	s_and_b32 vcc_lo, exec_lo, s4
	s_wait_alu 0xfffe
	s_cbranch_vccnz .LBB42_78
; %bb.77:
	v_div_scale_f32 v12, null, v8, v8, 1.0
	s_delay_alu instid0(VALU_DEP_1) | instskip(NEXT) | instid1(TRANS32_DEP_1)
	v_rcp_f32_e32 v13, v12
	v_fma_f32 v14, -v12, v13, 1.0
	s_delay_alu instid0(VALU_DEP_1) | instskip(SKIP_1) | instid1(VALU_DEP_1)
	v_fmac_f32_e32 v13, v14, v13
	v_div_scale_f32 v14, vcc_lo, 1.0, v8, 1.0
	v_mul_f32_e32 v15, v14, v13
	s_delay_alu instid0(VALU_DEP_1) | instskip(NEXT) | instid1(VALU_DEP_1)
	v_fma_f32 v16, -v12, v15, v14
	v_fmac_f32_e32 v15, v16, v13
	s_delay_alu instid0(VALU_DEP_1) | instskip(SKIP_1) | instid1(VALU_DEP_1)
	v_fma_f32 v12, -v12, v15, v14
	s_wait_alu 0xfffd
	v_div_fmas_f32 v12, v12, v13, v15
	s_delay_alu instid0(VALU_DEP_1)
	v_div_fixup_f32 v14, v12, v8, 1.0
.LBB42_78:
	s_mul_i32 s2, s36, s22
	v_cvt_f32_f16_e32 v15, v66
	s_wait_alu 0xfffe
	s_add_co_i32 s2, s2, s11
	v_lshrrev_b32_e32 v16, 16, v62
	s_wait_alu 0xfffe
	v_add_nc_u32_e32 v8, s2, v33
	v_cvt_f32_f16_e32 v18, v62
	v_dual_mul_f32 v17, v14, v15 :: v_dual_mov_b32 v24, 0
	v_lshrrev_b32_e32 v19, 16, v65
	s_delay_alu instid0(VALU_DEP_4)
	v_mad_co_u64_u32 v[12:13], null, v8, s23, s[34:35]
	v_lshrrev_b32_e32 v8, 16, v66
	v_lshrrev_b32_e32 v20, 16, v64
	v_cvt_f32_f16_e32 v22, v64
	v_cvt_f32_f16_e32 v16, v16
	v_mul_f32_e32 v15, v14, v18
	v_cvt_f32_f16_e32 v8, v8
	v_mad_co_u64_u32 v[12:13], null, s1, v12, s[10:11]
	v_cvt_f32_f16_e32 v13, v65
	v_cvt_f32_f16_e32 v25, v19
	v_mul_f32_e32 v19, v14, v22
	v_mul_f32_e32 v16, v14, v16
	v_cmp_eq_u32_e32 vcc_lo, 0, v35
	v_mul_f32_e32 v21, v14, v13
	v_lshl_add_u32 v23, v12, 8, v28
	v_cvt_f32_f16_e32 v13, v20
	v_mul_f32_e32 v22, v14, v25
	v_mul_f32_e32 v18, v14, v8
	s_delay_alu instid0(VALU_DEP_4) | instskip(NEXT) | instid1(VALU_DEP_4)
	v_lshlrev_b64_e32 v[33:34], 2, v[23:24]
	v_dual_mul_f32 v20, v14, v13 :: v_dual_add_nc_u32 v23, 0x80, v23
	s_delay_alu instid0(VALU_DEP_1) | instskip(NEXT) | instid1(VALU_DEP_3)
	v_lshlrev_b64_e32 v[13:14], 2, v[23:24]
	v_add_co_u32 v23, s0, s16, v33
	s_wait_alu 0xf1ff
	s_delay_alu instid0(VALU_DEP_4) | instskip(NEXT) | instid1(VALU_DEP_3)
	v_add_co_ci_u32_e64 v24, null, s17, v34, s0
	v_add_co_u32 v13, s0, s16, v13
	s_wait_alu 0xf1ff
	v_add_co_ci_u32_e64 v14, null, s17, v14, s0
	s_and_b32 s0, vcc_lo, s4
	s_clause 0x1
	global_store_b128 v[23:24], v[15:18], off
	global_store_b128 v[13:14], v[19:22], off
	s_wait_alu 0xfffe
	s_and_saveexec_b32 s4, s0
	s_cbranch_execz .LBB42_80
; %bb.79:
	v_ashrrev_i32_e32 v13, 31, v12
	v_dual_mov_b32 v14, v0 :: v_dual_mov_b32 v15, v4
	s_delay_alu instid0(VALU_DEP_2) | instskip(NEXT) | instid1(VALU_DEP_1)
	v_lshlrev_b64_e32 v[12:13], 3, v[12:13]
	v_add_co_u32 v12, vcc_lo, s18, v12
	s_wait_alu 0xfffd
	s_delay_alu instid0(VALU_DEP_2)
	v_add_co_ci_u32_e64 v13, null, s19, v13, vcc_lo
	global_store_b64 v[12:13], v[14:15], off
.LBB42_80:
	s_wait_alu 0xfffe
	s_or_b32 exec_lo, exec_lo, s4
	v_cmp_gt_i32_e32 vcc_lo, s22, v32
	s_and_b32 exec_lo, exec_lo, vcc_lo
	s_cbranch_execz .LBB42_74
; %bb.81:
	v_cndmask_b32_e64 v12, 0, 1, s3
	v_mov_b32_e32 v0, 1.0
	s_and_not1_b32 vcc_lo, exec_lo, s3
	s_wait_alu 0xfffe
	s_cbranch_vccnz .LBB42_83
; %bb.82:
	v_div_scale_f32 v0, null, v9, v9, 1.0
	s_delay_alu instid0(VALU_DEP_1) | instskip(NEXT) | instid1(TRANS32_DEP_1)
	v_rcp_f32_e32 v4, v0
	v_fma_f32 v8, -v0, v4, 1.0
	s_delay_alu instid0(VALU_DEP_1) | instskip(SKIP_1) | instid1(VALU_DEP_1)
	v_fmac_f32_e32 v4, v8, v4
	v_div_scale_f32 v8, vcc_lo, 1.0, v9, 1.0
	v_mul_f32_e32 v13, v8, v4
	s_delay_alu instid0(VALU_DEP_1) | instskip(NEXT) | instid1(VALU_DEP_1)
	v_fma_f32 v14, -v0, v13, v8
	v_fmac_f32_e32 v13, v14, v4
	s_delay_alu instid0(VALU_DEP_1) | instskip(SKIP_1) | instid1(VALU_DEP_1)
	v_fma_f32 v0, -v0, v13, v8
	s_wait_alu 0xfffd
	v_div_fmas_f32 v0, v0, v4, v13
	s_delay_alu instid0(VALU_DEP_1)
	v_div_fixup_f32 v0, v0, v9, 1.0
.LBB42_83:
	v_cvt_f32_f16_e32 v13, v63
	v_add_nc_u32_e32 v4, s2, v30
	v_cvt_f32_f16_e32 v16, v58
	v_mov_b32_e32 v22, 0
	v_lshrrev_b32_e32 v14, 16, v58
	v_mul_f32_e32 v15, v0, v13
	v_mad_co_u64_u32 v[8:9], null, v4, s23, s[34:35]
	v_lshrrev_b32_e32 v4, 16, v63
	v_mul_f32_e32 v13, v0, v16
	v_lshrrev_b32_e32 v17, 16, v61
	v_lshrrev_b32_e32 v18, 16, v60
	v_cvt_f32_f16_e32 v14, v14
	v_cvt_f32_f16_e32 v4, v4
	v_mad_co_u64_u32 v[8:9], null, s1, v8, s[10:11]
	v_cvt_f32_f16_e32 v9, v61
	v_cvt_f32_f16_e32 v20, v60
	;; [unrolled: 1-line block ×3, first 2 shown]
	v_mul_f32_e32 v14, v0, v14
	v_mul_f32_e32 v16, v0, v4
	;; [unrolled: 1-line block ×3, first 2 shown]
	v_lshl_add_u32 v21, v8, 8, v28
	v_cvt_f32_f16_e32 v9, v18
	v_mul_f32_e32 v17, v0, v20
	v_mul_f32_e32 v20, v0, v25
	s_delay_alu instid0(VALU_DEP_4) | instskip(SKIP_2) | instid1(VALU_DEP_2)
	v_lshlrev_b64_e32 v[23:24], 2, v[21:22]
	v_add_nc_u32_e32 v21, 0x80, v21
	v_mul_f32_e32 v18, v0, v9
	v_lshlrev_b64_e32 v[21:22], 2, v[21:22]
	s_delay_alu instid0(VALU_DEP_4) | instskip(SKIP_2) | instid1(VALU_DEP_3)
	v_add_co_u32 v23, vcc_lo, s16, v23
	s_wait_alu 0xfffd
	v_add_co_ci_u32_e64 v24, null, s17, v24, vcc_lo
	v_add_co_u32 v21, vcc_lo, s16, v21
	s_wait_alu 0xfffd
	v_add_co_ci_u32_e64 v22, null, s17, v22, vcc_lo
	s_clause 0x1
	global_store_b128 v[23:24], v[13:16], off
	global_store_b128 v[21:22], v[17:20], off
	s_and_saveexec_b32 s3, s0
	s_cbranch_execz .LBB42_85
; %bb.84:
	v_ashrrev_i32_e32 v9, 31, v8
	v_mov_b32_e32 v4, v1
	s_delay_alu instid0(VALU_DEP_2) | instskip(NEXT) | instid1(VALU_DEP_1)
	v_lshlrev_b64_e32 v[8:9], 3, v[8:9]
	v_add_co_u32 v8, vcc_lo, s18, v8
	s_wait_alu 0xfffd
	s_delay_alu instid0(VALU_DEP_2)
	v_add_co_ci_u32_e64 v9, null, s19, v9, vcc_lo
	global_store_b64 v[8:9], v[4:5], off
.LBB42_85:
	s_wait_alu 0xfffe
	s_or_b32 exec_lo, exec_lo, s3
	v_cmp_gt_i32_e32 vcc_lo, s22, v31
	s_and_b32 exec_lo, exec_lo, vcc_lo
	s_cbranch_execz .LBB42_74
; %bb.86:
	v_cmp_ne_u32_e32 vcc_lo, 1, v12
	v_mov_b32_e32 v4, 1.0
	s_cbranch_vccnz .LBB42_88
; %bb.87:
	v_div_scale_f32 v0, null, v10, v10, 1.0
	s_delay_alu instid0(VALU_DEP_1) | instskip(NEXT) | instid1(TRANS32_DEP_1)
	v_rcp_f32_e32 v1, v0
	v_fma_f32 v4, -v0, v1, 1.0
	s_delay_alu instid0(VALU_DEP_1) | instskip(SKIP_1) | instid1(VALU_DEP_1)
	v_fmac_f32_e32 v1, v4, v1
	v_div_scale_f32 v4, vcc_lo, 1.0, v10, 1.0
	v_mul_f32_e32 v5, v4, v1
	s_delay_alu instid0(VALU_DEP_1) | instskip(NEXT) | instid1(VALU_DEP_1)
	v_fma_f32 v8, -v0, v5, v4
	v_fmac_f32_e32 v5, v8, v1
	s_delay_alu instid0(VALU_DEP_1) | instskip(SKIP_1) | instid1(VALU_DEP_1)
	v_fma_f32 v0, -v0, v5, v4
	s_wait_alu 0xfffd
	v_div_fmas_f32 v0, v0, v1, v5
	s_delay_alu instid0(VALU_DEP_1)
	v_div_fixup_f32 v4, v0, v10, 1.0
.LBB42_88:
	v_dual_mov_b32 v9, 0 :: v_dual_add_nc_u32 v0, s2, v29
	v_cvt_f32_f16_e32 v8, v57
	v_lshrrev_b32_e32 v5, 16, v57
	v_lshrrev_b32_e32 v10, 16, v50
	s_delay_alu instid0(VALU_DEP_4)
	v_mad_co_u64_u32 v[0:1], null, v0, s23, s[34:35]
	v_cvt_f32_f16_e32 v13, v50
	v_lshrrev_b32_e32 v14, 16, v54
	v_lshrrev_b32_e32 v16, 16, v53
	v_mul_f32_e32 v15, v4, v8
	v_cvt_f32_f16_e32 v17, v53
	v_cvt_f32_f16_e32 v5, v5
	v_mad_co_u64_u32 v[0:1], null, s1, v0, s[10:11]
	v_cvt_f32_f16_e32 v1, v54
	v_cvt_f32_f16_e32 v10, v10
	;; [unrolled: 1-line block ×3, first 2 shown]
	v_mul_f32_e32 v17, v4, v17
	s_delay_alu instid0(VALU_DEP_4)
	v_mul_f32_e32 v19, v4, v1
	v_lshl_add_u32 v8, v0, 8, v28
	v_mul_f32_e32 v13, v4, v13
	v_cvt_f32_f16_e32 v1, v16
	v_mul_f32_e32 v16, v4, v5
	v_mul_f32_e32 v14, v4, v10
	v_lshlrev_b64_e32 v[21:22], 2, v[8:9]
	v_add_nc_u32_e32 v8, 0x80, v8
	v_mul_f32_e32 v20, v4, v18
	v_mul_f32_e32 v18, v4, v1
	s_delay_alu instid0(VALU_DEP_3) | instskip(SKIP_3) | instid1(VALU_DEP_3)
	v_lshlrev_b64_e32 v[4:5], 2, v[8:9]
	v_add_co_u32 v8, vcc_lo, s16, v21
	s_wait_alu 0xfffd
	v_add_co_ci_u32_e64 v9, null, s17, v22, vcc_lo
	v_add_co_u32 v4, vcc_lo, s16, v4
	s_wait_alu 0xfffd
	v_add_co_ci_u32_e64 v5, null, s17, v5, vcc_lo
	s_clause 0x1
	global_store_b128 v[8:9], v[13:16], off
	global_store_b128 v[4:5], v[17:20], off
	s_and_saveexec_b32 s3, s0
	s_cbranch_execz .LBB42_90
; %bb.89:
	v_ashrrev_i32_e32 v1, 31, v0
	v_mov_b32_e32 v5, v2
	s_delay_alu instid0(VALU_DEP_2) | instskip(NEXT) | instid1(VALU_DEP_1)
	v_lshlrev_b64_e32 v[0:1], 3, v[0:1]
	v_add_co_u32 v0, vcc_lo, s18, v0
	s_wait_alu 0xfffd
	s_delay_alu instid0(VALU_DEP_2)
	v_add_co_ci_u32_e64 v1, null, s19, v1, vcc_lo
	global_store_b64 v[0:1], v[5:6], off
.LBB42_90:
	s_wait_alu 0xfffe
	s_or_b32 exec_lo, exec_lo, s3
	v_cmp_gt_i32_e32 vcc_lo, s22, v27
	s_and_b32 exec_lo, exec_lo, vcc_lo
	s_cbranch_execz .LBB42_74
; %bb.91:
	v_cmp_ne_u32_e32 vcc_lo, 1, v12
	v_mov_b32_e32 v2, 1.0
	s_cbranch_vccnz .LBB42_93
; %bb.92:
	v_div_scale_f32 v0, null, v11, v11, 1.0
	s_delay_alu instid0(VALU_DEP_1) | instskip(NEXT) | instid1(TRANS32_DEP_1)
	v_rcp_f32_e32 v1, v0
	v_fma_f32 v2, -v0, v1, 1.0
	s_delay_alu instid0(VALU_DEP_1) | instskip(SKIP_1) | instid1(VALU_DEP_1)
	v_fmac_f32_e32 v1, v2, v1
	v_div_scale_f32 v2, vcc_lo, 1.0, v11, 1.0
	v_mul_f32_e32 v4, v2, v1
	s_delay_alu instid0(VALU_DEP_1) | instskip(NEXT) | instid1(VALU_DEP_1)
	v_fma_f32 v5, -v0, v4, v2
	v_fmac_f32_e32 v4, v5, v1
	s_delay_alu instid0(VALU_DEP_1) | instskip(SKIP_1) | instid1(VALU_DEP_1)
	v_fma_f32 v0, -v0, v4, v2
	s_wait_alu 0xfffd
	v_div_fmas_f32 v0, v0, v1, v4
	s_delay_alu instid0(VALU_DEP_1)
	v_div_fixup_f32 v2, v0, v11, 1.0
.LBB42_93:
	v_dual_mov_b32 v5, 0 :: v_dual_add_nc_u32 v0, s2, v26
	v_lshrrev_b32_e32 v4, 16, v56
	v_cvt_f32_f16_e32 v6, v56
	v_lshrrev_b32_e32 v8, 16, v55
	s_delay_alu instid0(VALU_DEP_4)
	v_mad_co_u64_u32 v[0:1], null, v0, s23, s[34:35]
	v_lshrrev_b32_e32 v11, 16, v51
	v_lshrrev_b32_e32 v12, 16, v52
	v_cvt_f32_f16_e32 v15, v4
	v_cvt_f32_f16_e32 v9, v55
	;; [unrolled: 1-line block ×3, first 2 shown]
	v_mul_f32_e32 v10, v2, v6
	v_mad_co_u64_u32 v[0:1], null, s1, v0, s[10:11]
	v_cvt_f32_f16_e32 v1, v51
	v_cvt_f32_f16_e32 v6, v8
	;; [unrolled: 1-line block ×3, first 2 shown]
	v_mul_f32_e32 v8, v2, v9
	v_mul_f32_e32 v11, v2, v15
	;; [unrolled: 1-line block ×3, first 2 shown]
	v_lshl_add_u32 v4, v0, 8, v28
	v_cvt_f32_f16_e32 v1, v12
	v_mul_f32_e32 v12, v2, v13
	v_mul_f32_e32 v9, v2, v6
	;; [unrolled: 1-line block ×3, first 2 shown]
	v_lshlrev_b64_e32 v[16:17], 2, v[4:5]
	v_dual_mul_f32 v13, v2, v1 :: v_dual_add_nc_u32 v4, 0x80, v4
	s_delay_alu instid0(VALU_DEP_1) | instskip(NEXT) | instid1(VALU_DEP_3)
	v_lshlrev_b64_e32 v[1:2], 2, v[4:5]
	v_add_co_u32 v4, vcc_lo, s16, v16
	s_wait_alu 0xfffd
	s_delay_alu instid0(VALU_DEP_4) | instskip(NEXT) | instid1(VALU_DEP_3)
	v_add_co_ci_u32_e64 v5, null, s17, v17, vcc_lo
	v_add_co_u32 v1, vcc_lo, s16, v1
	s_wait_alu 0xfffd
	v_add_co_ci_u32_e64 v2, null, s17, v2, vcc_lo
	s_clause 0x1
	global_store_b128 v[4:5], v[8:11], off
	global_store_b128 v[1:2], v[12:15], off
	s_and_b32 exec_lo, exec_lo, s0
	s_cbranch_execz .LBB42_74
; %bb.94:
	v_ashrrev_i32_e32 v1, 31, v0
	v_mov_b32_e32 v6, v3
	s_delay_alu instid0(VALU_DEP_2) | instskip(NEXT) | instid1(VALU_DEP_1)
	v_lshlrev_b64_e32 v[0:1], 3, v[0:1]
	v_add_co_u32 v0, vcc_lo, s18, v0
	s_wait_alu 0xfffd
	s_delay_alu instid0(VALU_DEP_2)
	v_add_co_ci_u32_e64 v1, null, s19, v1, vcc_lo
	global_store_b64 v[0:1], v[6:7], off
	s_nop 0
	s_sendmsg sendmsg(MSG_DEALLOC_VGPRS)
	s_endpgm
	.section	.rodata,"a",@progbits
	.p2align	6, 0x0
	.amdhsa_kernel _ZL15flash_attn_tileILi256ELi256ELi32ELi1ELb0EEvPKcS1_S1_S1_S1_PKiPfP15HIP_vector_typeIfLj2EEffffjfiS5_IjLj3EEiiiiiiiiiiiliiliiiiil
		.amdhsa_group_segment_fixed_size 37888
		.amdhsa_private_segment_fixed_size 32
		.amdhsa_kernarg_size 464
		.amdhsa_user_sgpr_count 2
		.amdhsa_user_sgpr_dispatch_ptr 0
		.amdhsa_user_sgpr_queue_ptr 0
		.amdhsa_user_sgpr_kernarg_segment_ptr 1
		.amdhsa_user_sgpr_dispatch_id 0
		.amdhsa_user_sgpr_private_segment_size 0
		.amdhsa_wavefront_size32 1
		.amdhsa_uses_dynamic_stack 0
		.amdhsa_enable_private_segment 1
		.amdhsa_system_sgpr_workgroup_id_x 1
		.amdhsa_system_sgpr_workgroup_id_y 1
		.amdhsa_system_sgpr_workgroup_id_z 1
		.amdhsa_system_sgpr_workgroup_info 0
		.amdhsa_system_vgpr_workitem_id 1
		.amdhsa_next_free_vgpr 217
		.amdhsa_next_free_sgpr 48
		.amdhsa_reserve_vcc 1
		.amdhsa_float_round_mode_32 0
		.amdhsa_float_round_mode_16_64 0
		.amdhsa_float_denorm_mode_32 3
		.amdhsa_float_denorm_mode_16_64 3
		.amdhsa_fp16_overflow 0
		.amdhsa_workgroup_processor_mode 1
		.amdhsa_memory_ordered 1
		.amdhsa_forward_progress 1
		.amdhsa_inst_pref_size 255
		.amdhsa_round_robin_scheduling 0
		.amdhsa_exception_fp_ieee_invalid_op 0
		.amdhsa_exception_fp_denorm_src 0
		.amdhsa_exception_fp_ieee_div_zero 0
		.amdhsa_exception_fp_ieee_overflow 0
		.amdhsa_exception_fp_ieee_underflow 0
		.amdhsa_exception_fp_ieee_inexact 0
		.amdhsa_exception_int_div_zero 0
	.end_amdhsa_kernel
	.section	.text._ZL15flash_attn_tileILi256ELi256ELi32ELi1ELb0EEvPKcS1_S1_S1_S1_PKiPfP15HIP_vector_typeIfLj2EEffffjfiS5_IjLj3EEiiiiiiiiiiiliiliiiiil,"axG",@progbits,_ZL15flash_attn_tileILi256ELi256ELi32ELi1ELb0EEvPKcS1_S1_S1_S1_PKiPfP15HIP_vector_typeIfLj2EEffffjfiS5_IjLj3EEiiiiiiiiiiiliiliiiiil,comdat
.Lfunc_end42:
	.size	_ZL15flash_attn_tileILi256ELi256ELi32ELi1ELb0EEvPKcS1_S1_S1_S1_PKiPfP15HIP_vector_typeIfLj2EEffffjfiS5_IjLj3EEiiiiiiiiiiiliiliiiiil, .Lfunc_end42-_ZL15flash_attn_tileILi256ELi256ELi32ELi1ELb0EEvPKcS1_S1_S1_S1_PKiPfP15HIP_vector_typeIfLj2EEffffjfiS5_IjLj3EEiiiiiiiiiiiliiliiiiil
                                        ; -- End function
	.set _ZL15flash_attn_tileILi256ELi256ELi32ELi1ELb0EEvPKcS1_S1_S1_S1_PKiPfP15HIP_vector_typeIfLj2EEffffjfiS5_IjLj3EEiiiiiiiiiiiliiliiiiil.num_vgpr, 197
	.set _ZL15flash_attn_tileILi256ELi256ELi32ELi1ELb0EEvPKcS1_S1_S1_S1_PKiPfP15HIP_vector_typeIfLj2EEffffjfiS5_IjLj3EEiiiiiiiiiiiliiliiiiil.num_agpr, 0
	.set _ZL15flash_attn_tileILi256ELi256ELi32ELi1ELb0EEvPKcS1_S1_S1_S1_PKiPfP15HIP_vector_typeIfLj2EEffffjfiS5_IjLj3EEiiiiiiiiiiiliiliiiiil.numbered_sgpr, 48
	.set _ZL15flash_attn_tileILi256ELi256ELi32ELi1ELb0EEvPKcS1_S1_S1_S1_PKiPfP15HIP_vector_typeIfLj2EEffffjfiS5_IjLj3EEiiiiiiiiiiiliiliiiiil.num_named_barrier, 0
	.set _ZL15flash_attn_tileILi256ELi256ELi32ELi1ELb0EEvPKcS1_S1_S1_S1_PKiPfP15HIP_vector_typeIfLj2EEffffjfiS5_IjLj3EEiiiiiiiiiiiliiliiiiil.private_seg_size, 32
	.set _ZL15flash_attn_tileILi256ELi256ELi32ELi1ELb0EEvPKcS1_S1_S1_S1_PKiPfP15HIP_vector_typeIfLj2EEffffjfiS5_IjLj3EEiiiiiiiiiiiliiliiiiil.uses_vcc, 1
	.set _ZL15flash_attn_tileILi256ELi256ELi32ELi1ELb0EEvPKcS1_S1_S1_S1_PKiPfP15HIP_vector_typeIfLj2EEffffjfiS5_IjLj3EEiiiiiiiiiiiliiliiiiil.uses_flat_scratch, 1
	.set _ZL15flash_attn_tileILi256ELi256ELi32ELi1ELb0EEvPKcS1_S1_S1_S1_PKiPfP15HIP_vector_typeIfLj2EEffffjfiS5_IjLj3EEiiiiiiiiiiiliiliiiiil.has_dyn_sized_stack, 0
	.set _ZL15flash_attn_tileILi256ELi256ELi32ELi1ELb0EEvPKcS1_S1_S1_S1_PKiPfP15HIP_vector_typeIfLj2EEffffjfiS5_IjLj3EEiiiiiiiiiiiliiliiiiil.has_recursion, 0
	.set _ZL15flash_attn_tileILi256ELi256ELi32ELi1ELb0EEvPKcS1_S1_S1_S1_PKiPfP15HIP_vector_typeIfLj2EEffffjfiS5_IjLj3EEiiiiiiiiiiiliiliiiiil.has_indirect_call, 0
	.section	.AMDGPU.csdata,"",@progbits
; Kernel info:
; codeLenInByte = 48780
; TotalNumSgprs: 50
; NumVgprs: 197
; ScratchSize: 32
; MemoryBound: 0
; FloatMode: 240
; IeeeMode: 1
; LDSByteSize: 37888 bytes/workgroup (compile time only)
; SGPRBlocks: 0
; VGPRBlocks: 27
; NumSGPRsForWavesPerEU: 50
; NumVGPRsForWavesPerEU: 217
; Occupancy: 6
; WaveLimiterHint : 1
; COMPUTE_PGM_RSRC2:SCRATCH_EN: 1
; COMPUTE_PGM_RSRC2:USER_SGPR: 2
; COMPUTE_PGM_RSRC2:TRAP_HANDLER: 0
; COMPUTE_PGM_RSRC2:TGID_X_EN: 1
; COMPUTE_PGM_RSRC2:TGID_Y_EN: 1
; COMPUTE_PGM_RSRC2:TGID_Z_EN: 1
; COMPUTE_PGM_RSRC2:TIDIG_COMP_CNT: 1
	.section	.text._ZL25flash_attn_mask_to_KV_maxILi32EEvPK7__half2Piiii,"axG",@progbits,_ZL25flash_attn_mask_to_KV_maxILi32EEvPK7__half2Piiii,comdat
	.globl	_ZL25flash_attn_mask_to_KV_maxILi32EEvPK7__half2Piiii ; -- Begin function _ZL25flash_attn_mask_to_KV_maxILi32EEvPK7__half2Piiii
	.p2align	8
	.type	_ZL25flash_attn_mask_to_KV_maxILi32EEvPK7__half2Piiii,@function
_ZL25flash_attn_mask_to_KV_maxILi32EEvPK7__half2Piiii: ; @_ZL25flash_attn_mask_to_KV_maxILi32EEvPK7__half2Piiii
; %bb.0:
	s_load_b64 s[8:9], s[0:1], 0x0
	s_mov_b32 s2, exec_lo
	v_cmpx_gt_u32_e32 32, v0
; %bb.1:
	v_dual_mov_b32 v2, 1 :: v_dual_lshlrev_b32 v1, 2, v0
	ds_store_b32 v1, v2
; %bb.2:
	s_or_b32 exec_lo, exec_lo, s2
	s_clause 0x2
	s_load_b96 s[4:6], s[0:1], 0x10
	s_load_b64 s[2:3], s[0:1], 0x8
	s_load_b32 s1, s[0:1], 0x20
	v_dual_mov_b32 v2, 0 :: v_dual_and_b32 v1, 31, v0
	v_lshrrev_b32_e32 v5, 3, v0
	s_wait_dscnt 0x0
	s_barrier_signal -1
	s_delay_alu instid0(VALU_DEP_2)
	v_lshlrev_b32_e32 v6, 2, v1
	s_barrier_wait -1
	global_inv scope:SCOPE_SE
	s_wait_kmcnt 0x0
	s_mul_i32 s0, ttmp9, s5
	s_mul_i32 s6, s6, ttmp7
	s_lshl_b32 s0, s0, 5
	s_delay_alu instid0(SALU_CYCLE_1) | instskip(SKIP_2) | instid1(SALU_CYCLE_1)
	s_add_co_i32 s6, s6, s0
	v_cmp_eq_u32_e64 s0, 0, v1
	s_ashr_i32 s7, s6, 31
	s_lshl_b64 s[6:7], s[6:7], 2
	s_delay_alu instid0(SALU_CYCLE_1)
	s_add_nc_u64 s[6:7], s[8:9], s[6:7]
	s_lshl_b32 s8, s4, 8
	s_branch .LBB43_4
.LBB43_3:                               ;   in Loop: Header=BB43_4 Depth=1
	s_wait_alu 0xfffe
	s_or_b32 exec_lo, exec_lo, s9
	s_wait_dscnt 0x0
	s_barrier_signal -1
	s_barrier_wait -1
	global_inv scope:SCOPE_SE
	ds_load_b32 v1, v6
	s_wait_loadcnt_dscnt 0x0
	s_barrier_signal -1
	s_barrier_wait -1
	global_inv scope:SCOPE_SE
	v_cmp_ne_u32_e32 vcc_lo, 0, v1
	s_cmp_lg_u32 vcc_lo, exec_lo
	s_cselect_b32 s9, -1, 0
	s_wait_alu 0xfffe
	s_and_b32 vcc_lo, exec_lo, s9
	s_wait_alu 0xfffe
	s_cbranch_vccnz .LBB43_132
.LBB43_4:                               ; =>This Inner Loop Header: Depth=1
	s_mov_b32 s4, s8
	s_addk_co_i32 s8, 0xff00
	s_wait_alu 0xfffe
	s_cmp_lt_i32 s8, 0
	s_cbranch_scc1 .LBB43_131
; %bb.5:                                ;   in Loop: Header=BB43_4 Depth=1
	s_lshr_b32 s9, s8, 1
	s_wait_alu 0xfffe
	v_add_nc_u32_e32 v1, s9, v0
	s_delay_alu instid0(VALU_DEP_1) | instskip(NEXT) | instid1(VALU_DEP_1)
	v_lshlrev_b64_e32 v[3:4], 2, v[1:2]
	v_add_co_u32 v3, vcc_lo, s6, v3
	s_wait_alu 0xfffd
	s_delay_alu instid0(VALU_DEP_2) | instskip(SKIP_4) | instid1(VALU_DEP_2)
	v_add_co_ci_u32_e64 v4, null, s7, v4, vcc_lo
	global_load_b32 v3, v[3:4], off
	s_wait_loadcnt 0x0
	v_lshrrev_b32_e32 v4, 16, v3
	v_cmp_class_f16_e64 s9, v3, 0x204
	v_cmp_class_f16_e64 s10, v4, 0x204
	s_and_b32 s11, s9, s10
	s_mov_b32 s10, 0
	s_wait_alu 0xfffe
	s_and_saveexec_b32 s9, s11
	s_cbranch_execz .LBB43_129
; %bb.6:                                ;   in Loop: Header=BB43_4 Depth=1
	v_add_nc_u32_e32 v3, s5, v1
	s_mov_b32 s11, 0
	s_delay_alu instid0(VALU_DEP_1) | instskip(NEXT) | instid1(VALU_DEP_1)
	v_ashrrev_i32_e32 v4, 31, v3
	v_lshlrev_b64_e32 v[7:8], 2, v[3:4]
	s_delay_alu instid0(VALU_DEP_1) | instskip(SKIP_1) | instid1(VALU_DEP_2)
	v_add_co_u32 v7, vcc_lo, s6, v7
	s_wait_alu 0xfffd
	v_add_co_ci_u32_e64 v8, null, s7, v8, vcc_lo
	global_load_b32 v1, v[7:8], off
	s_wait_loadcnt 0x0
	v_cmp_class_f16_e64 s12, v1, 0x204
	s_and_saveexec_b32 s10, s12
	s_cbranch_execz .LBB43_128
; %bb.7:                                ;   in Loop: Header=BB43_4 Depth=1
	v_lshrrev_b32_e32 v1, 16, v1
	s_mov_b32 s12, 0
	s_delay_alu instid0(VALU_DEP_1)
	v_cmp_class_f16_e64 s13, v1, 0x204
	s_and_saveexec_b32 s11, s13
	s_cbranch_execz .LBB43_127
; %bb.8:                                ;   in Loop: Header=BB43_4 Depth=1
	v_add_nc_u32_e32 v3, s5, v3
	s_mov_b32 s13, 0
	s_delay_alu instid0(VALU_DEP_1) | instskip(NEXT) | instid1(VALU_DEP_1)
	v_ashrrev_i32_e32 v4, 31, v3
	v_lshlrev_b64_e32 v[7:8], 2, v[3:4]
	s_delay_alu instid0(VALU_DEP_1) | instskip(SKIP_1) | instid1(VALU_DEP_2)
	v_add_co_u32 v7, vcc_lo, s6, v7
	s_wait_alu 0xfffd
	v_add_co_ci_u32_e64 v8, null, s7, v8, vcc_lo
	global_load_b32 v1, v[7:8], off
	s_wait_loadcnt 0x0
	v_cmp_class_f16_e64 s14, v1, 0x204
	s_and_saveexec_b32 s12, s14
	s_cbranch_execz .LBB43_126
; %bb.9:                                ;   in Loop: Header=BB43_4 Depth=1
	v_lshrrev_b32_e32 v1, 16, v1
	s_mov_b32 s14, 0
	s_delay_alu instid0(VALU_DEP_1)
	v_cmp_class_f16_e64 s15, v1, 0x204
	s_and_saveexec_b32 s13, s15
	s_cbranch_execz .LBB43_125
; %bb.10:                               ;   in Loop: Header=BB43_4 Depth=1
	v_add_nc_u32_e32 v3, s5, v3
	s_mov_b32 s15, 0
	s_delay_alu instid0(VALU_DEP_1) | instskip(NEXT) | instid1(VALU_DEP_1)
	v_ashrrev_i32_e32 v4, 31, v3
	v_lshlrev_b64_e32 v[7:8], 2, v[3:4]
	s_delay_alu instid0(VALU_DEP_1) | instskip(SKIP_1) | instid1(VALU_DEP_2)
	v_add_co_u32 v7, vcc_lo, s6, v7
	s_wait_alu 0xfffd
	v_add_co_ci_u32_e64 v8, null, s7, v8, vcc_lo
	global_load_b32 v1, v[7:8], off
	s_wait_loadcnt 0x0
	v_cmp_class_f16_e64 s16, v1, 0x204
	s_and_saveexec_b32 s14, s16
	s_cbranch_execz .LBB43_124
; %bb.11:                               ;   in Loop: Header=BB43_4 Depth=1
	v_lshrrev_b32_e32 v1, 16, v1
	s_mov_b32 s16, 0
	s_delay_alu instid0(VALU_DEP_1)
	v_cmp_class_f16_e64 s17, v1, 0x204
	s_and_saveexec_b32 s15, s17
	s_cbranch_execz .LBB43_123
; %bb.12:                               ;   in Loop: Header=BB43_4 Depth=1
	v_add_nc_u32_e32 v3, s5, v3
	s_mov_b32 s17, 0
	s_delay_alu instid0(VALU_DEP_1) | instskip(NEXT) | instid1(VALU_DEP_1)
	v_ashrrev_i32_e32 v4, 31, v3
	v_lshlrev_b64_e32 v[7:8], 2, v[3:4]
	s_delay_alu instid0(VALU_DEP_1) | instskip(SKIP_1) | instid1(VALU_DEP_2)
	v_add_co_u32 v7, vcc_lo, s6, v7
	s_wait_alu 0xfffd
	v_add_co_ci_u32_e64 v8, null, s7, v8, vcc_lo
	global_load_b32 v1, v[7:8], off
	s_wait_loadcnt 0x0
	v_cmp_class_f16_e64 s18, v1, 0x204
	s_and_saveexec_b32 s16, s18
	s_cbranch_execz .LBB43_122
; %bb.13:                               ;   in Loop: Header=BB43_4 Depth=1
	;; [unrolled: 22-line block ×28, first 2 shown]
	v_lshrrev_b32_e32 v1, 16, v1
	s_mov_b32 s71, 0
	s_delay_alu instid0(VALU_DEP_1)
	v_cmp_class_f16_e64 s72, v1, 0x204
	s_and_saveexec_b32 s70, s72
	s_cbranch_execz .LBB43_69
; %bb.66:                               ;   in Loop: Header=BB43_4 Depth=1
	v_add_nc_u32_e32 v3, s5, v3
	s_delay_alu instid0(VALU_DEP_1) | instskip(NEXT) | instid1(VALU_DEP_1)
	v_ashrrev_i32_e32 v4, 31, v3
	v_lshlrev_b64_e32 v[3:4], 2, v[3:4]
	s_delay_alu instid0(VALU_DEP_1) | instskip(SKIP_1) | instid1(VALU_DEP_2)
	v_add_co_u32 v3, vcc_lo, s6, v3
	s_wait_alu 0xfffd
	v_add_co_ci_u32_e64 v4, null, s7, v4, vcc_lo
	global_load_b32 v1, v[3:4], off
	s_wait_loadcnt 0x0
	v_cmp_class_f16_e64 s73, v1, 0x204
	s_and_saveexec_b32 s72, s73
; %bb.67:                               ;   in Loop: Header=BB43_4 Depth=1
	v_lshrrev_b32_e32 v1, 16, v1
	s_delay_alu instid0(VALU_DEP_1)
	v_cmp_class_f16_e64 s71, v1, 0x204
	s_and_b32 s71, s71, exec_lo
; %bb.68:                               ;   in Loop: Header=BB43_4 Depth=1
	s_or_b32 exec_lo, exec_lo, s72
	s_delay_alu instid0(SALU_CYCLE_1)
	s_and_b32 s71, s71, exec_lo
.LBB43_69:                              ;   in Loop: Header=BB43_4 Depth=1
	s_or_b32 exec_lo, exec_lo, s70
	s_delay_alu instid0(SALU_CYCLE_1)
	s_and_b32 s70, s71, exec_lo
.LBB43_70:                              ;   in Loop: Header=BB43_4 Depth=1
	s_or_b32 exec_lo, exec_lo, s69
	s_delay_alu instid0(SALU_CYCLE_1)
	s_and_b32 s69, s70, exec_lo
.LBB43_71:                              ;   in Loop: Header=BB43_4 Depth=1
	s_or_b32 exec_lo, exec_lo, s68
	s_delay_alu instid0(SALU_CYCLE_1)
	s_and_b32 s68, s69, exec_lo
.LBB43_72:                              ;   in Loop: Header=BB43_4 Depth=1
	s_or_b32 exec_lo, exec_lo, s67
	s_delay_alu instid0(SALU_CYCLE_1)
	s_and_b32 s67, s68, exec_lo
.LBB43_73:                              ;   in Loop: Header=BB43_4 Depth=1
	s_or_b32 exec_lo, exec_lo, s66
	s_delay_alu instid0(SALU_CYCLE_1)
	s_and_b32 s66, s67, exec_lo
.LBB43_74:                              ;   in Loop: Header=BB43_4 Depth=1
	s_or_b32 exec_lo, exec_lo, s65
	s_delay_alu instid0(SALU_CYCLE_1)
	s_and_b32 s65, s66, exec_lo
.LBB43_75:                              ;   in Loop: Header=BB43_4 Depth=1
	s_or_b32 exec_lo, exec_lo, s64
	s_delay_alu instid0(SALU_CYCLE_1)
	s_and_b32 s64, s65, exec_lo
.LBB43_76:                              ;   in Loop: Header=BB43_4 Depth=1
	s_or_b32 exec_lo, exec_lo, s63
	s_delay_alu instid0(SALU_CYCLE_1)
	s_and_b32 s63, s64, exec_lo
.LBB43_77:                              ;   in Loop: Header=BB43_4 Depth=1
	s_or_b32 exec_lo, exec_lo, s62
	s_delay_alu instid0(SALU_CYCLE_1)
	s_and_b32 s62, s63, exec_lo
.LBB43_78:                              ;   in Loop: Header=BB43_4 Depth=1
	s_or_b32 exec_lo, exec_lo, s61
	s_delay_alu instid0(SALU_CYCLE_1)
	s_and_b32 s61, s62, exec_lo
.LBB43_79:                              ;   in Loop: Header=BB43_4 Depth=1
	s_or_b32 exec_lo, exec_lo, s60
	s_delay_alu instid0(SALU_CYCLE_1)
	s_and_b32 s60, s61, exec_lo
.LBB43_80:                              ;   in Loop: Header=BB43_4 Depth=1
	s_or_b32 exec_lo, exec_lo, s59
	s_delay_alu instid0(SALU_CYCLE_1)
	s_and_b32 s59, s60, exec_lo
.LBB43_81:                              ;   in Loop: Header=BB43_4 Depth=1
	s_or_b32 exec_lo, exec_lo, s58
	s_delay_alu instid0(SALU_CYCLE_1)
	s_and_b32 s58, s59, exec_lo
.LBB43_82:                              ;   in Loop: Header=BB43_4 Depth=1
	s_or_b32 exec_lo, exec_lo, s57
	s_delay_alu instid0(SALU_CYCLE_1)
	s_and_b32 s57, s58, exec_lo
.LBB43_83:                              ;   in Loop: Header=BB43_4 Depth=1
	s_or_b32 exec_lo, exec_lo, s56
	s_delay_alu instid0(SALU_CYCLE_1)
	s_and_b32 s56, s57, exec_lo
.LBB43_84:                              ;   in Loop: Header=BB43_4 Depth=1
	s_or_b32 exec_lo, exec_lo, s55
	s_delay_alu instid0(SALU_CYCLE_1)
	s_and_b32 s55, s56, exec_lo
.LBB43_85:                              ;   in Loop: Header=BB43_4 Depth=1
	s_or_b32 exec_lo, exec_lo, s54
	s_delay_alu instid0(SALU_CYCLE_1)
	s_and_b32 s54, s55, exec_lo
.LBB43_86:                              ;   in Loop: Header=BB43_4 Depth=1
	s_or_b32 exec_lo, exec_lo, s53
	s_delay_alu instid0(SALU_CYCLE_1)
	s_and_b32 s53, s54, exec_lo
.LBB43_87:                              ;   in Loop: Header=BB43_4 Depth=1
	s_or_b32 exec_lo, exec_lo, s52
	s_delay_alu instid0(SALU_CYCLE_1)
	s_and_b32 s52, s53, exec_lo
.LBB43_88:                              ;   in Loop: Header=BB43_4 Depth=1
	s_or_b32 exec_lo, exec_lo, s51
	s_delay_alu instid0(SALU_CYCLE_1)
	s_and_b32 s51, s52, exec_lo
.LBB43_89:                              ;   in Loop: Header=BB43_4 Depth=1
	s_or_b32 exec_lo, exec_lo, s50
	s_delay_alu instid0(SALU_CYCLE_1)
	s_and_b32 s50, s51, exec_lo
.LBB43_90:                              ;   in Loop: Header=BB43_4 Depth=1
	s_or_b32 exec_lo, exec_lo, s49
	s_delay_alu instid0(SALU_CYCLE_1)
	s_and_b32 s49, s50, exec_lo
.LBB43_91:                              ;   in Loop: Header=BB43_4 Depth=1
	s_or_b32 exec_lo, exec_lo, s48
	s_delay_alu instid0(SALU_CYCLE_1)
	s_and_b32 s48, s49, exec_lo
.LBB43_92:                              ;   in Loop: Header=BB43_4 Depth=1
	s_or_b32 exec_lo, exec_lo, s47
	s_delay_alu instid0(SALU_CYCLE_1)
	s_and_b32 s47, s48, exec_lo
.LBB43_93:                              ;   in Loop: Header=BB43_4 Depth=1
	s_or_b32 exec_lo, exec_lo, s46
	s_delay_alu instid0(SALU_CYCLE_1)
	s_and_b32 s46, s47, exec_lo
.LBB43_94:                              ;   in Loop: Header=BB43_4 Depth=1
	s_or_b32 exec_lo, exec_lo, s45
	s_delay_alu instid0(SALU_CYCLE_1)
	s_and_b32 s45, s46, exec_lo
.LBB43_95:                              ;   in Loop: Header=BB43_4 Depth=1
	s_or_b32 exec_lo, exec_lo, s44
	s_delay_alu instid0(SALU_CYCLE_1)
	s_and_b32 s44, s45, exec_lo
.LBB43_96:                              ;   in Loop: Header=BB43_4 Depth=1
	s_or_b32 exec_lo, exec_lo, s43
	s_delay_alu instid0(SALU_CYCLE_1)
	s_and_b32 s43, s44, exec_lo
.LBB43_97:                              ;   in Loop: Header=BB43_4 Depth=1
	s_or_b32 exec_lo, exec_lo, s42
	s_delay_alu instid0(SALU_CYCLE_1)
	s_and_b32 s42, s43, exec_lo
.LBB43_98:                              ;   in Loop: Header=BB43_4 Depth=1
	s_or_b32 exec_lo, exec_lo, s41
	s_delay_alu instid0(SALU_CYCLE_1)
	s_and_b32 s41, s42, exec_lo
.LBB43_99:                              ;   in Loop: Header=BB43_4 Depth=1
	s_or_b32 exec_lo, exec_lo, s40
	s_delay_alu instid0(SALU_CYCLE_1)
	s_and_b32 s40, s41, exec_lo
.LBB43_100:                             ;   in Loop: Header=BB43_4 Depth=1
	s_or_b32 exec_lo, exec_lo, s39
	s_delay_alu instid0(SALU_CYCLE_1)
	s_and_b32 s39, s40, exec_lo
.LBB43_101:                             ;   in Loop: Header=BB43_4 Depth=1
	s_or_b32 exec_lo, exec_lo, s38
	s_delay_alu instid0(SALU_CYCLE_1)
	s_and_b32 s38, s39, exec_lo
.LBB43_102:                             ;   in Loop: Header=BB43_4 Depth=1
	s_or_b32 exec_lo, exec_lo, s37
	s_delay_alu instid0(SALU_CYCLE_1)
	s_and_b32 s37, s38, exec_lo
.LBB43_103:                             ;   in Loop: Header=BB43_4 Depth=1
	s_or_b32 exec_lo, exec_lo, s36
	s_delay_alu instid0(SALU_CYCLE_1)
	s_and_b32 s36, s37, exec_lo
.LBB43_104:                             ;   in Loop: Header=BB43_4 Depth=1
	s_or_b32 exec_lo, exec_lo, s35
	s_delay_alu instid0(SALU_CYCLE_1)
	s_and_b32 s35, s36, exec_lo
.LBB43_105:                             ;   in Loop: Header=BB43_4 Depth=1
	s_or_b32 exec_lo, exec_lo, s34
	s_delay_alu instid0(SALU_CYCLE_1)
	s_and_b32 s34, s35, exec_lo
.LBB43_106:                             ;   in Loop: Header=BB43_4 Depth=1
	s_or_b32 exec_lo, exec_lo, s33
	s_delay_alu instid0(SALU_CYCLE_1)
	s_and_b32 s33, s34, exec_lo
.LBB43_107:                             ;   in Loop: Header=BB43_4 Depth=1
	s_or_b32 exec_lo, exec_lo, s31
	s_delay_alu instid0(SALU_CYCLE_1)
	s_and_b32 s31, s33, exec_lo
.LBB43_108:                             ;   in Loop: Header=BB43_4 Depth=1
	s_or_b32 exec_lo, exec_lo, s30
	s_delay_alu instid0(SALU_CYCLE_1)
	s_and_b32 s30, s31, exec_lo
.LBB43_109:                             ;   in Loop: Header=BB43_4 Depth=1
	s_or_b32 exec_lo, exec_lo, s29
	s_delay_alu instid0(SALU_CYCLE_1)
	s_and_b32 s29, s30, exec_lo
.LBB43_110:                             ;   in Loop: Header=BB43_4 Depth=1
	s_or_b32 exec_lo, exec_lo, s28
	s_delay_alu instid0(SALU_CYCLE_1)
	s_and_b32 s28, s29, exec_lo
.LBB43_111:                             ;   in Loop: Header=BB43_4 Depth=1
	s_or_b32 exec_lo, exec_lo, s27
	s_delay_alu instid0(SALU_CYCLE_1)
	s_and_b32 s27, s28, exec_lo
.LBB43_112:                             ;   in Loop: Header=BB43_4 Depth=1
	s_or_b32 exec_lo, exec_lo, s26
	s_delay_alu instid0(SALU_CYCLE_1)
	s_and_b32 s26, s27, exec_lo
.LBB43_113:                             ;   in Loop: Header=BB43_4 Depth=1
	s_or_b32 exec_lo, exec_lo, s25
	s_delay_alu instid0(SALU_CYCLE_1)
	s_and_b32 s25, s26, exec_lo
.LBB43_114:                             ;   in Loop: Header=BB43_4 Depth=1
	s_or_b32 exec_lo, exec_lo, s24
	s_delay_alu instid0(SALU_CYCLE_1)
	s_and_b32 s24, s25, exec_lo
.LBB43_115:                             ;   in Loop: Header=BB43_4 Depth=1
	s_or_b32 exec_lo, exec_lo, s23
	s_delay_alu instid0(SALU_CYCLE_1)
	s_and_b32 s23, s24, exec_lo
.LBB43_116:                             ;   in Loop: Header=BB43_4 Depth=1
	s_or_b32 exec_lo, exec_lo, s22
	s_delay_alu instid0(SALU_CYCLE_1)
	s_and_b32 s22, s23, exec_lo
.LBB43_117:                             ;   in Loop: Header=BB43_4 Depth=1
	s_or_b32 exec_lo, exec_lo, s21
	s_delay_alu instid0(SALU_CYCLE_1)
	s_and_b32 s21, s22, exec_lo
.LBB43_118:                             ;   in Loop: Header=BB43_4 Depth=1
	s_or_b32 exec_lo, exec_lo, s20
	s_delay_alu instid0(SALU_CYCLE_1)
	s_and_b32 s20, s21, exec_lo
.LBB43_119:                             ;   in Loop: Header=BB43_4 Depth=1
	s_or_b32 exec_lo, exec_lo, s19
	s_delay_alu instid0(SALU_CYCLE_1)
	s_and_b32 s19, s20, exec_lo
.LBB43_120:                             ;   in Loop: Header=BB43_4 Depth=1
	s_or_b32 exec_lo, exec_lo, s18
	s_delay_alu instid0(SALU_CYCLE_1)
	s_and_b32 s18, s19, exec_lo
.LBB43_121:                             ;   in Loop: Header=BB43_4 Depth=1
	s_or_b32 exec_lo, exec_lo, s17
	s_delay_alu instid0(SALU_CYCLE_1)
	s_and_b32 s17, s18, exec_lo
.LBB43_122:                             ;   in Loop: Header=BB43_4 Depth=1
	s_or_b32 exec_lo, exec_lo, s16
	s_delay_alu instid0(SALU_CYCLE_1)
	s_and_b32 s16, s17, exec_lo
.LBB43_123:                             ;   in Loop: Header=BB43_4 Depth=1
	s_or_b32 exec_lo, exec_lo, s15
	s_delay_alu instid0(SALU_CYCLE_1)
	s_and_b32 s15, s16, exec_lo
.LBB43_124:                             ;   in Loop: Header=BB43_4 Depth=1
	s_or_b32 exec_lo, exec_lo, s14
	s_delay_alu instid0(SALU_CYCLE_1)
	s_and_b32 s14, s15, exec_lo
.LBB43_125:                             ;   in Loop: Header=BB43_4 Depth=1
	s_or_b32 exec_lo, exec_lo, s13
	s_delay_alu instid0(SALU_CYCLE_1)
	s_and_b32 s13, s14, exec_lo
.LBB43_126:                             ;   in Loop: Header=BB43_4 Depth=1
	s_or_b32 exec_lo, exec_lo, s12
	s_delay_alu instid0(SALU_CYCLE_1)
	s_and_b32 s12, s13, exec_lo
.LBB43_127:                             ;   in Loop: Header=BB43_4 Depth=1
	s_wait_alu 0xfffe
	s_or_b32 exec_lo, exec_lo, s11
	s_delay_alu instid0(SALU_CYCLE_1)
	s_and_b32 s11, s12, exec_lo
.LBB43_128:                             ;   in Loop: Header=BB43_4 Depth=1
	s_wait_alu 0xfffe
	s_or_b32 exec_lo, exec_lo, s10
	s_delay_alu instid0(SALU_CYCLE_1)
	s_and_b32 s10, s11, exec_lo
.LBB43_129:                             ;   in Loop: Header=BB43_4 Depth=1
	s_wait_alu 0xfffe
	s_or_b32 exec_lo, exec_lo, s9
	v_cndmask_b32_e64 v1, 0, 1, s10
	s_mov_b32 s11, exec_lo
	s_delay_alu instid0(VALU_DEP_1)
	v_cmp_ne_u32_e32 vcc_lo, 0, v1
	s_and_saveexec_b32 s9, s0
	s_cbranch_execz .LBB43_3
; %bb.130:                              ;   in Loop: Header=BB43_4 Depth=1
	s_wait_alu 0xfffe
	s_cmp_eq_u32 vcc_lo, s11
	s_cselect_b32 s10, -1, 0
	s_wait_alu 0xfffe
	v_cndmask_b32_e64 v1, 0, 1, s10
	ds_store_b32 v5, v1
	s_branch .LBB43_3
.LBB43_131:                             ;   in Loop: Header=BB43_4 Depth=1
	s_cbranch_execz .LBB43_4
.LBB43_132:
	s_mov_b32 s0, exec_lo
	v_cmpx_eq_u32_e32 0, v0
	s_cbranch_execz .LBB43_134
; %bb.133:
	s_mul_i32 s0, s1, ttmp7
	v_dual_mov_b32 v0, 0 :: v_dual_mov_b32 v1, s4
	s_add_co_i32 s0, s0, ttmp9
	s_delay_alu instid0(SALU_CYCLE_1) | instskip(NEXT) | instid1(SALU_CYCLE_1)
	s_ashr_i32 s1, s0, 31
	s_lshl_b64 s[0:1], s[0:1], 2
	s_delay_alu instid0(SALU_CYCLE_1)
	s_add_nc_u64 s[0:1], s[2:3], s[0:1]
	global_store_b32 v0, v1, s[0:1]
.LBB43_134:
	s_endpgm
	.section	.rodata,"a",@progbits
	.p2align	6, 0x0
	.amdhsa_kernel _ZL25flash_attn_mask_to_KV_maxILi32EEvPK7__half2Piiii
		.amdhsa_group_segment_fixed_size 128
		.amdhsa_private_segment_fixed_size 0
		.amdhsa_kernarg_size 288
		.amdhsa_user_sgpr_count 2
		.amdhsa_user_sgpr_dispatch_ptr 0
		.amdhsa_user_sgpr_queue_ptr 0
		.amdhsa_user_sgpr_kernarg_segment_ptr 1
		.amdhsa_user_sgpr_dispatch_id 0
		.amdhsa_user_sgpr_private_segment_size 0
		.amdhsa_wavefront_size32 1
		.amdhsa_uses_dynamic_stack 0
		.amdhsa_enable_private_segment 0
		.amdhsa_system_sgpr_workgroup_id_x 1
		.amdhsa_system_sgpr_workgroup_id_y 1
		.amdhsa_system_sgpr_workgroup_id_z 0
		.amdhsa_system_sgpr_workgroup_info 0
		.amdhsa_system_vgpr_workitem_id 0
		.amdhsa_next_free_vgpr 9
		.amdhsa_next_free_sgpr 74
		.amdhsa_reserve_vcc 1
		.amdhsa_float_round_mode_32 0
		.amdhsa_float_round_mode_16_64 0
		.amdhsa_float_denorm_mode_32 3
		.amdhsa_float_denorm_mode_16_64 3
		.amdhsa_fp16_overflow 0
		.amdhsa_workgroup_processor_mode 1
		.amdhsa_memory_ordered 1
		.amdhsa_forward_progress 1
		.amdhsa_inst_pref_size 37
		.amdhsa_round_robin_scheduling 0
		.amdhsa_exception_fp_ieee_invalid_op 0
		.amdhsa_exception_fp_denorm_src 0
		.amdhsa_exception_fp_ieee_div_zero 0
		.amdhsa_exception_fp_ieee_overflow 0
		.amdhsa_exception_fp_ieee_underflow 0
		.amdhsa_exception_fp_ieee_inexact 0
		.amdhsa_exception_int_div_zero 0
	.end_amdhsa_kernel
	.section	.text._ZL25flash_attn_mask_to_KV_maxILi32EEvPK7__half2Piiii,"axG",@progbits,_ZL25flash_attn_mask_to_KV_maxILi32EEvPK7__half2Piiii,comdat
.Lfunc_end43:
	.size	_ZL25flash_attn_mask_to_KV_maxILi32EEvPK7__half2Piiii, .Lfunc_end43-_ZL25flash_attn_mask_to_KV_maxILi32EEvPK7__half2Piiii
                                        ; -- End function
	.set _ZL25flash_attn_mask_to_KV_maxILi32EEvPK7__half2Piiii.num_vgpr, 9
	.set _ZL25flash_attn_mask_to_KV_maxILi32EEvPK7__half2Piiii.num_agpr, 0
	.set _ZL25flash_attn_mask_to_KV_maxILi32EEvPK7__half2Piiii.numbered_sgpr, 74
	.set _ZL25flash_attn_mask_to_KV_maxILi32EEvPK7__half2Piiii.num_named_barrier, 0
	.set _ZL25flash_attn_mask_to_KV_maxILi32EEvPK7__half2Piiii.private_seg_size, 0
	.set _ZL25flash_attn_mask_to_KV_maxILi32EEvPK7__half2Piiii.uses_vcc, 1
	.set _ZL25flash_attn_mask_to_KV_maxILi32EEvPK7__half2Piiii.uses_flat_scratch, 0
	.set _ZL25flash_attn_mask_to_KV_maxILi32EEvPK7__half2Piiii.has_dyn_sized_stack, 0
	.set _ZL25flash_attn_mask_to_KV_maxILi32EEvPK7__half2Piiii.has_recursion, 0
	.set _ZL25flash_attn_mask_to_KV_maxILi32EEvPK7__half2Piiii.has_indirect_call, 0
	.section	.AMDGPU.csdata,"",@progbits
; Kernel info:
; codeLenInByte = 4720
; TotalNumSgprs: 76
; NumVgprs: 9
; ScratchSize: 0
; MemoryBound: 0
; FloatMode: 240
; IeeeMode: 1
; LDSByteSize: 128 bytes/workgroup (compile time only)
; SGPRBlocks: 0
; VGPRBlocks: 1
; NumSGPRsForWavesPerEU: 76
; NumVGPRsForWavesPerEU: 9
; Occupancy: 16
; WaveLimiterHint : 0
; COMPUTE_PGM_RSRC2:SCRATCH_EN: 0
; COMPUTE_PGM_RSRC2:USER_SGPR: 2
; COMPUTE_PGM_RSRC2:TRAP_HANDLER: 0
; COMPUTE_PGM_RSRC2:TGID_X_EN: 1
; COMPUTE_PGM_RSRC2:TGID_Y_EN: 1
; COMPUTE_PGM_RSRC2:TGID_Z_EN: 0
; COMPUTE_PGM_RSRC2:TIDIG_COMP_CNT: 0
	.section	.text._ZL33flash_attn_stream_k_fixup_uniformILi256ELi32ELi1EEvPfPK15HIP_vector_typeIfLj2EEiiiiiiS1_IjLj3EES5_S5_,"axG",@progbits,_ZL33flash_attn_stream_k_fixup_uniformILi256ELi32ELi1EEvPfPK15HIP_vector_typeIfLj2EEiiiiiiS1_IjLj3EES5_S5_,comdat
	.globl	_ZL33flash_attn_stream_k_fixup_uniformILi256ELi32ELi1EEvPfPK15HIP_vector_typeIfLj2EEiiiiiiS1_IjLj3EES5_S5_ ; -- Begin function _ZL33flash_attn_stream_k_fixup_uniformILi256ELi32ELi1EEvPfPK15HIP_vector_typeIfLj2EEiiiiiiS1_IjLj3EES5_S5_
	.p2align	8
	.type	_ZL33flash_attn_stream_k_fixup_uniformILi256ELi32ELi1EEvPfPK15HIP_vector_typeIfLj2EEiiiiiiS1_IjLj3EES5_S5_,@function
_ZL33flash_attn_stream_k_fixup_uniformILi256ELi32ELi1EEvPfPK15HIP_vector_typeIfLj2EEiiiiiiS1_IjLj3EES5_S5_: ; @_ZL33flash_attn_stream_k_fixup_uniformILi256ELi32ELi1EEvPfPK15HIP_vector_typeIfLj2EEiiiiiiS1_IjLj3EES5_S5_
; %bb.0:
	s_clause 0x1
	s_load_b256 s[4:11], s[0:1], 0x1c
	s_load_b128 s[12:15], s[0:1], 0x3c
	s_wait_kmcnt 0x0
	s_mul_hi_u32 s2, s7, ttmp9
	s_delay_alu instid0(SALU_CYCLE_1) | instskip(NEXT) | instid1(SALU_CYCLE_1)
	s_add_co_i32 s2, ttmp9, s2
	s_lshr_b32 s2, s2, s8
	s_delay_alu instid0(SALU_CYCLE_1) | instskip(SKIP_2) | instid1(SALU_CYCLE_1)
	s_mul_i32 s3, s2, s9
	s_load_b64 s[8:9], s[0:1], 0x10
	s_sub_co_i32 s7, ttmp9, s3
	s_mul_hi_u32 s3, s7, s10
	s_delay_alu instid0(SALU_CYCLE_1) | instskip(NEXT) | instid1(SALU_CYCLE_1)
	s_add_co_i32 s3, s7, s3
	s_lshr_b32 s3, s3, s11
	s_delay_alu instid0(SALU_CYCLE_1) | instskip(NEXT) | instid1(SALU_CYCLE_1)
	s_mul_i32 s10, s3, s12
	s_sub_co_i32 s7, s7, s10
	s_delay_alu instid0(SALU_CYCLE_1) | instskip(NEXT) | instid1(SALU_CYCLE_1)
	s_mul_hi_u32 s10, s7, s13
	s_add_co_i32 s10, s7, s10
	s_delay_alu instid0(SALU_CYCLE_1) | instskip(NEXT) | instid1(SALU_CYCLE_1)
	s_lshr_b32 s11, s10, s14
	s_mul_i32 s10, s11, s15
	s_delay_alu instid0(SALU_CYCLE_1) | instskip(SKIP_2) | instid1(SALU_CYCLE_1)
	s_sub_co_i32 s12, s7, s10
	s_and_b32 s7, ttmp7, 0xffff
	s_lshl_b32 s10, s12, 5
	s_add_co_i32 s13, s10, s7
	s_lshr_b32 s10, ttmp7, 16
	s_wait_kmcnt 0x0
	s_cmp_lt_i32 s13, s8
	s_cselect_b32 s13, -1, 0
	s_add_co_i32 s14, s11, s10
	s_delay_alu instid0(SALU_CYCLE_1) | instskip(SKIP_1) | instid1(SALU_CYCLE_1)
	s_cmp_lt_i32 s14, s5
	s_cselect_b32 s14, -1, 0
	s_and_b32 s13, s13, s14
	s_delay_alu instid0(SALU_CYCLE_1)
	s_and_not1_b32 vcc_lo, exec_lo, s13
	s_cbranch_vccnz .LBB44_6
; %bb.1:
	s_mul_i32 s2, s2, s8
	s_mul_i32 s5, s3, s5
	s_add_co_i32 s2, s2, s7
	s_delay_alu instid0(SALU_CYCLE_1) | instskip(NEXT) | instid1(SALU_CYCLE_1)
	s_mul_i32 s2, s2, s9
	s_add_co_i32 s8, s2, s10
	s_load_b128 s[0:3], s[0:1], 0x0
	s_add_co_i32 s5, s8, s5
	s_mul_i32 s8, s9, s12
	s_add_co_i32 s5, s5, s11
	s_lshl_b32 s8, s8, 13
	s_lshl_b32 s5, s5, 8
	s_add_co_i32 s9, s7, s10
	s_add_co_i32 s8, s8, s5
	s_delay_alu instid0(SALU_CYCLE_1) | instskip(SKIP_3) | instid1(SALU_CYCLE_1)
	v_or_b32_e32 v1, s8, v0
	s_mul_i32 s8, s6, ttmp9
	s_wait_alu 0xfffe
	s_add_co_i32 s5, s8, s6
	s_add_co_i32 s7, s5, -2
	v_ashrrev_i32_e32 v2, 31, v1
	s_delay_alu instid0(VALU_DEP_1) | instskip(SKIP_1) | instid1(VALU_DEP_1)
	v_lshlrev_b64_e32 v[1:2], 2, v[1:2]
	s_wait_kmcnt 0x0
	v_add_co_u32 v1, vcc_lo, s0, v1
	s_delay_alu instid0(VALU_DEP_1)
	v_add_co_ci_u32_e64 v2, null, s1, v2, vcc_lo
	s_lshl_b32 s0, s5, 5
	s_wait_alu 0xfffe
	s_add_co_i32 s0, s9, s0
	global_load_b32 v5, v[1:2], off
	s_wait_alu 0xfffe
	s_sub_co_i32 s0, s0, 32
	s_wait_alu 0xfffe
	s_ashr_i32 s1, s0, 31
	s_wait_alu 0xfffe
	s_lshl_b64 s[0:1], s[0:1], 3
	s_cmp_lt_i32 s7, s8
	s_wait_alu 0xfffe
	s_add_nc_u64 s[0:1], s[2:3], s[0:1]
	s_load_b32 s10, s[0:1], 0x4
	s_cbranch_scc1 .LBB44_4
; %bb.2:
	s_load_b32 s0, s[0:1], 0x0
	s_add_co_i32 s7, ttmp9, 1
	s_wait_kmcnt 0x0
	v_mov_b32_e32 v6, s10
	s_mul_i32 s1, s6, s7
	s_lshl_b32 s7, s9, 8
	s_wait_alu 0xfffe
	s_lshl_b32 s11, s1, 13
	s_lshl_b32 s6, s4, 7
	s_wait_alu 0xfffe
	s_add_co_i32 s11, s7, s11
	s_lshl_b32 s1, s1, 5
	s_wait_alu 0xfffe
	v_or_b32_e32 v0, s11, v0
	s_ashr_i32 s7, s6, 31
	s_add_co_i32 s1, s9, s1
	s_lshl_b32 s4, s4, 5
	s_lshl_b64 s[6:7], s[6:7], 2
	v_add_nc_u32_e32 v3, 0xffffc000, v0
	s_wait_alu 0xfffe
	s_add_co_i32 s4, s1, s4
	s_add_nc_u64 s[6:7], s[2:3], s[6:7]
	s_add_co_i32 s1, s5, -1
	s_sub_co_i32 s4, s4, 64
.LBB44_3:                               ; =>This Inner Loop Header: Depth=1
	v_ashrrev_i32_e32 v4, 31, v3
	s_ashr_i32 s5, s4, 31
	v_mov_b32_e32 v10, v6
	s_lshl_b64 s[10:11], s[4:5], 3
	s_wait_loadcnt 0x0
	v_mov_b32_e32 v9, v5
	v_lshlrev_b64_e32 v[7:8], 2, v[3:4]
	s_wait_alu 0xfffe
	s_add_nc_u64 s[10:11], s[2:3], s[10:11]
	v_max_num_f32_e64 v4, s0, s0
	s_load_b64 s[10:11], s[10:11], 0x0
	v_add_nc_u32_e32 v3, 0xffffe000, v3
	v_add_co_u32 v7, vcc_lo, s6, v7
	s_wait_alu 0xfffd
	v_add_co_ci_u32_e64 v8, null, s7, v8, vcc_lo
	v_readfirstlane_b32 s5, v4
	global_load_b32 v0, v[7:8], off
	s_wait_kmcnt 0x0
	v_max_num_f32_e64 v4, s10, s10
	s_delay_alu instid0(VALU_DEP_1) | instskip(SKIP_1) | instid1(SALU_CYCLE_3)
	v_readfirstlane_b32 s9, v4
	s_max_num_f32 s5, s5, s9
	s_sub_f32 s0, s0, s5
	s_sub_f32 s9, s10, s5
	s_wait_alu 0xfffe
	s_delay_alu instid0(SALU_CYCLE_1) | instskip(NEXT) | instid1(SALU_CYCLE_1)
	s_mul_f32 s10, s0, 0x3fb8aa3b
	s_mul_f32 s12, s9, 0x3fb8aa3b
	s_wait_alu 0xfffe
	s_delay_alu instid0(SALU_CYCLE_1)
	s_xor_b32 s13, s10, 0x80000000
	s_rndne_f32 s14, s10
	s_fmamk_f32 s13, s0, 0x3fb8aa3b, s13
	s_cmp_nlt_f32 s0, 0xc2ce8ed0
	s_rndne_f32 s15, s12
	s_wait_alu 0xfffe
	s_sub_f32 s10, s10, s14
	s_fmamk_f32 s13, s0, 0x32a5705f, s13
	s_cvt_i32_f32 s14, s14
	s_cselect_b32 vcc_lo, -1, 0
	s_cmp_ngt_f32 s0, 0x42b17218
	s_wait_alu 0xfffe
	s_add_f32 s10, s10, s13
	s_sub_f32 s13, s12, s15
	s_wait_alu 0xfffe
	s_delay_alu instid0(SALU_CYCLE_1) | instskip(SKIP_1) | instid1(TRANS32_DEP_1)
	v_s_exp_f32 s10, s10
	s_wait_alu 0xf1ff
	v_ldexp_f32 v4, s10, s14
	s_cvt_i32_f32 s10, s15
	s_delay_alu instid0(VALU_DEP_1) | instskip(SKIP_3) | instid1(VALU_DEP_1)
	v_cndmask_b32_e32 v4, 0, v4, vcc_lo
	s_cselect_b32 vcc_lo, -1, 0
	s_cmp_ge_f32 s0, 0xc1a00000
	s_wait_alu 0xfffe
	v_cndmask_b32_e32 v4, 0x7f800000, v4, vcc_lo
	s_cselect_b32 vcc_lo, -1, 0
	s_xor_b32 s0, s12, 0x80000000
	s_cmp_nlt_f32 s9, 0xc2ce8ed0
	s_wait_alu 0xfffe
	s_fmamk_f32 s0, s9, 0x3fb8aa3b, s0
	s_wait_alu 0xfffe
	s_delay_alu instid0(SALU_CYCLE_2) | instskip(SKIP_1) | instid1(SALU_CYCLE_2)
	s_fmamk_f32 s0, s9, 0x32a5705f, s0
	s_wait_alu 0xfffe
	s_add_f32 s0, s13, s0
	s_wait_alu 0xfffe
	s_delay_alu instid0(SALU_CYCLE_2) | instskip(SKIP_1) | instid1(TRANS32_DEP_1)
	v_s_exp_f32 s0, s0
	s_wait_alu 0xf1ff
	v_ldexp_f32 v7, s0, s10
	s_cselect_b32 s0, -1, 0
	s_cmp_ngt_f32 s9, 0x42b17218
	s_wait_alu 0xfffe
	s_delay_alu instid0(VALU_DEP_1) | instskip(SKIP_3) | instid1(VALU_DEP_1)
	v_cndmask_b32_e64 v7, 0, v7, s0
	s_cselect_b32 s0, -1, 0
	s_cmp_ge_f32 s9, 0xc1a00000
	s_wait_alu 0xfffe
	v_cndmask_b32_e64 v7, 0x7f800000, v7, s0
	s_cselect_b32 s0, -1, 0
	s_add_co_i32 s1, s1, -1
	s_sub_co_i32 s4, s4, 32
	s_wait_alu 0xfffe
	s_cmp_le_i32 s1, s8
	v_cndmask_b32_e64 v7, 0, v7, s0
	s_mov_b32 s0, s5
	s_wait_loadcnt 0x0
	s_delay_alu instid0(VALU_DEP_1) | instskip(NEXT) | instid1(VALU_DEP_1)
	v_dual_mul_f32 v5, v0, v7 :: v_dual_cndmask_b32 v4, 0, v4
	v_dual_mul_f32 v8, s11, v7 :: v_dual_fmac_f32 v5, v9, v4
	s_delay_alu instid0(VALU_DEP_1) | instskip(NEXT) | instid1(VALU_DEP_1)
	v_mov_b32_e32 v6, v8
	v_fmac_f32_e32 v6, v10, v4
	s_cbranch_scc0 .LBB44_3
	s_branch .LBB44_5
.LBB44_4:
	s_wait_kmcnt 0x0
	v_mov_b32_e32 v6, s10
.LBB44_5:
	s_wait_loadcnt 0x0
	s_delay_alu instid0(VALU_DEP_1) | instskip(NEXT) | instid1(VALU_DEP_1)
	v_div_scale_f32 v0, null, v6, v6, v5
	v_rcp_f32_e32 v3, v0
	s_delay_alu instid0(TRANS32_DEP_1) | instskip(NEXT) | instid1(VALU_DEP_1)
	v_fma_f32 v4, -v0, v3, 1.0
	v_fmac_f32_e32 v3, v4, v3
	v_div_scale_f32 v4, vcc_lo, v5, v6, v5
	s_delay_alu instid0(VALU_DEP_1) | instskip(NEXT) | instid1(VALU_DEP_1)
	v_mul_f32_e32 v7, v4, v3
	v_fma_f32 v8, -v0, v7, v4
	s_delay_alu instid0(VALU_DEP_1) | instskip(NEXT) | instid1(VALU_DEP_1)
	v_fmac_f32_e32 v7, v8, v3
	v_fma_f32 v0, -v0, v7, v4
	s_wait_alu 0xfffd
	s_delay_alu instid0(VALU_DEP_1) | instskip(NEXT) | instid1(VALU_DEP_1)
	v_div_fmas_f32 v0, v0, v3, v7
	v_div_fixup_f32 v0, v0, v6, v5
	global_store_b32 v[1:2], v0, off
.LBB44_6:
	s_endpgm
	.section	.rodata,"a",@progbits
	.p2align	6, 0x0
	.amdhsa_kernel _ZL33flash_attn_stream_k_fixup_uniformILi256ELi32ELi1EEvPfPK15HIP_vector_typeIfLj2EEiiiiiiS1_IjLj3EES5_S5_
		.amdhsa_group_segment_fixed_size 0
		.amdhsa_private_segment_fixed_size 0
		.amdhsa_kernarg_size 76
		.amdhsa_user_sgpr_count 2
		.amdhsa_user_sgpr_dispatch_ptr 0
		.amdhsa_user_sgpr_queue_ptr 0
		.amdhsa_user_sgpr_kernarg_segment_ptr 1
		.amdhsa_user_sgpr_dispatch_id 0
		.amdhsa_user_sgpr_private_segment_size 0
		.amdhsa_wavefront_size32 1
		.amdhsa_uses_dynamic_stack 0
		.amdhsa_enable_private_segment 0
		.amdhsa_system_sgpr_workgroup_id_x 1
		.amdhsa_system_sgpr_workgroup_id_y 1
		.amdhsa_system_sgpr_workgroup_id_z 1
		.amdhsa_system_sgpr_workgroup_info 0
		.amdhsa_system_vgpr_workitem_id 0
		.amdhsa_next_free_vgpr 11
		.amdhsa_next_free_sgpr 16
		.amdhsa_reserve_vcc 1
		.amdhsa_float_round_mode_32 0
		.amdhsa_float_round_mode_16_64 0
		.amdhsa_float_denorm_mode_32 3
		.amdhsa_float_denorm_mode_16_64 3
		.amdhsa_fp16_overflow 0
		.amdhsa_workgroup_processor_mode 1
		.amdhsa_memory_ordered 1
		.amdhsa_forward_progress 1
		.amdhsa_inst_pref_size 9
		.amdhsa_round_robin_scheduling 0
		.amdhsa_exception_fp_ieee_invalid_op 0
		.amdhsa_exception_fp_denorm_src 0
		.amdhsa_exception_fp_ieee_div_zero 0
		.amdhsa_exception_fp_ieee_overflow 0
		.amdhsa_exception_fp_ieee_underflow 0
		.amdhsa_exception_fp_ieee_inexact 0
		.amdhsa_exception_int_div_zero 0
	.end_amdhsa_kernel
	.section	.text._ZL33flash_attn_stream_k_fixup_uniformILi256ELi32ELi1EEvPfPK15HIP_vector_typeIfLj2EEiiiiiiS1_IjLj3EES5_S5_,"axG",@progbits,_ZL33flash_attn_stream_k_fixup_uniformILi256ELi32ELi1EEvPfPK15HIP_vector_typeIfLj2EEiiiiiiS1_IjLj3EES5_S5_,comdat
.Lfunc_end44:
	.size	_ZL33flash_attn_stream_k_fixup_uniformILi256ELi32ELi1EEvPfPK15HIP_vector_typeIfLj2EEiiiiiiS1_IjLj3EES5_S5_, .Lfunc_end44-_ZL33flash_attn_stream_k_fixup_uniformILi256ELi32ELi1EEvPfPK15HIP_vector_typeIfLj2EEiiiiiiS1_IjLj3EES5_S5_
                                        ; -- End function
	.set _ZL33flash_attn_stream_k_fixup_uniformILi256ELi32ELi1EEvPfPK15HIP_vector_typeIfLj2EEiiiiiiS1_IjLj3EES5_S5_.num_vgpr, 11
	.set _ZL33flash_attn_stream_k_fixup_uniformILi256ELi32ELi1EEvPfPK15HIP_vector_typeIfLj2EEiiiiiiS1_IjLj3EES5_S5_.num_agpr, 0
	.set _ZL33flash_attn_stream_k_fixup_uniformILi256ELi32ELi1EEvPfPK15HIP_vector_typeIfLj2EEiiiiiiS1_IjLj3EES5_S5_.numbered_sgpr, 16
	.set _ZL33flash_attn_stream_k_fixup_uniformILi256ELi32ELi1EEvPfPK15HIP_vector_typeIfLj2EEiiiiiiS1_IjLj3EES5_S5_.num_named_barrier, 0
	.set _ZL33flash_attn_stream_k_fixup_uniformILi256ELi32ELi1EEvPfPK15HIP_vector_typeIfLj2EEiiiiiiS1_IjLj3EES5_S5_.private_seg_size, 0
	.set _ZL33flash_attn_stream_k_fixup_uniformILi256ELi32ELi1EEvPfPK15HIP_vector_typeIfLj2EEiiiiiiS1_IjLj3EES5_S5_.uses_vcc, 1
	.set _ZL33flash_attn_stream_k_fixup_uniformILi256ELi32ELi1EEvPfPK15HIP_vector_typeIfLj2EEiiiiiiS1_IjLj3EES5_S5_.uses_flat_scratch, 0
	.set _ZL33flash_attn_stream_k_fixup_uniformILi256ELi32ELi1EEvPfPK15HIP_vector_typeIfLj2EEiiiiiiS1_IjLj3EES5_S5_.has_dyn_sized_stack, 0
	.set _ZL33flash_attn_stream_k_fixup_uniformILi256ELi32ELi1EEvPfPK15HIP_vector_typeIfLj2EEiiiiiiS1_IjLj3EES5_S5_.has_recursion, 0
	.set _ZL33flash_attn_stream_k_fixup_uniformILi256ELi32ELi1EEvPfPK15HIP_vector_typeIfLj2EEiiiiiiS1_IjLj3EES5_S5_.has_indirect_call, 0
	.section	.AMDGPU.csdata,"",@progbits
; Kernel info:
; codeLenInByte = 1120
; TotalNumSgprs: 18
; NumVgprs: 11
; ScratchSize: 0
; MemoryBound: 0
; FloatMode: 240
; IeeeMode: 1
; LDSByteSize: 0 bytes/workgroup (compile time only)
; SGPRBlocks: 0
; VGPRBlocks: 1
; NumSGPRsForWavesPerEU: 18
; NumVGPRsForWavesPerEU: 11
; Occupancy: 16
; WaveLimiterHint : 0
; COMPUTE_PGM_RSRC2:SCRATCH_EN: 0
; COMPUTE_PGM_RSRC2:USER_SGPR: 2
; COMPUTE_PGM_RSRC2:TRAP_HANDLER: 0
; COMPUTE_PGM_RSRC2:TGID_X_EN: 1
; COMPUTE_PGM_RSRC2:TGID_Y_EN: 1
; COMPUTE_PGM_RSRC2:TGID_Z_EN: 1
; COMPUTE_PGM_RSRC2:TIDIG_COMP_CNT: 0
	.section	.text._ZL33flash_attn_stream_k_fixup_generalILi256ELi32ELi1EEvPfPK15HIP_vector_typeIfLj2EEiiiiS1_IjLj3EES5_S5_S5_,"axG",@progbits,_ZL33flash_attn_stream_k_fixup_generalILi256ELi32ELi1EEvPfPK15HIP_vector_typeIfLj2EEiiiiS1_IjLj3EES5_S5_S5_,comdat
	.globl	_ZL33flash_attn_stream_k_fixup_generalILi256ELi32ELi1EEvPfPK15HIP_vector_typeIfLj2EEiiiiS1_IjLj3EES5_S5_S5_ ; -- Begin function _ZL33flash_attn_stream_k_fixup_generalILi256ELi32ELi1EEvPfPK15HIP_vector_typeIfLj2EEiiiiS1_IjLj3EES5_S5_S5_
	.p2align	8
	.type	_ZL33flash_attn_stream_k_fixup_generalILi256ELi32ELi1EEvPfPK15HIP_vector_typeIfLj2EEiiiiS1_IjLj3EES5_S5_S5_,@function
_ZL33flash_attn_stream_k_fixup_generalILi256ELi32ELi1EEvPfPK15HIP_vector_typeIfLj2EEiiiiS1_IjLj3EES5_S5_S5_: ; @_ZL33flash_attn_stream_k_fixup_generalILi256ELi32ELi1EEvPfPK15HIP_vector_typeIfLj2EEiiiiS1_IjLj3EES5_S5_S5_
; %bb.0:
	s_clause 0x1
	s_load_b128 s[4:7], s[0:1], 0x10
	s_load_b32 s16, s[0:1], 0x50
	s_mov_b32 s2, ttmp9
	s_ashr_i32 s3, ttmp9, 31
	s_mov_b32 s17, 0
	s_delay_alu instid0(SALU_CYCLE_1) | instskip(SKIP_3) | instid1(SALU_CYCLE_1)
	s_mov_b32 s8, s17
	s_wait_kmcnt 0x0
	s_ashr_i32 s19, s7, 31
	s_mov_b32 s18, s7
	s_mul_u64 s[2:3], s[18:19], s[2:3]
	s_delay_alu instid0(SALU_CYCLE_1) | instskip(NEXT) | instid1(SALU_CYCLE_1)
	s_mov_b32 s9, s3
	s_cmp_lg_u64 s[8:9], 0
	s_cbranch_scc0 .LBB45_21
; %bb.1:
	s_add_nc_u64 s[8:9], s[16:17], 0
	s_mov_b32 s15, s17
	s_xor_b64 s[8:9], s[8:9], 0
	s_mov_b32 s23, s17
	s_cvt_f32_u32 s7, s8
	s_cvt_f32_u32 s10, s9
	s_sub_nc_u64 s[12:13], 0, s[8:9]
	s_delay_alu instid0(SALU_CYCLE_2) | instskip(NEXT) | instid1(SALU_CYCLE_3)
	s_fmamk_f32 s7, s10, 0x4f800000, s7
	v_s_rcp_f32 s7, s7
	s_delay_alu instid0(TRANS32_DEP_1) | instskip(SKIP_1) | instid1(SALU_CYCLE_2)
	s_mul_f32 s7, s7, 0x5f7ffffc
	s_wait_alu 0xfffe
	s_mul_f32 s10, s7, 0x2f800000
	s_delay_alu instid0(SALU_CYCLE_3) | instskip(NEXT) | instid1(SALU_CYCLE_3)
	s_trunc_f32 s10, s10
	s_fmamk_f32 s7, s10, 0xcf800000, s7
	s_cvt_u32_f32 s11, s10
	s_wait_alu 0xfffe
	s_delay_alu instid0(SALU_CYCLE_1) | instskip(NEXT) | instid1(SALU_CYCLE_3)
	s_cvt_u32_f32 s10, s7
	s_mul_u64 s[20:21], s[12:13], s[10:11]
	s_delay_alu instid0(SALU_CYCLE_1)
	s_mul_hi_u32 s25, s10, s21
	s_mul_i32 s24, s10, s21
	s_mul_hi_u32 s14, s10, s20
	s_mul_i32 s22, s11, s20
	s_add_nc_u64 s[14:15], s[14:15], s[24:25]
	s_mul_hi_u32 s7, s11, s20
	s_mul_hi_u32 s26, s11, s21
	s_add_co_u32 s14, s14, s22
	s_wait_alu 0xfffe
	s_add_co_ci_u32 s22, s15, s7
	s_mul_i32 s20, s11, s21
	s_add_co_ci_u32 s21, s26, 0
	s_delay_alu instid0(SALU_CYCLE_1)
	s_add_nc_u64 s[14:15], s[22:23], s[20:21]
	s_mov_b32 s21, s17
	s_add_co_u32 s10, s10, s14
	s_cselect_b32 s7, -1, 0
	s_wait_alu 0xfffe
	s_cmp_lg_u32 s7, 0
	s_add_co_ci_u32 s11, s11, s15
	s_mov_b32 s15, s17
	s_mul_u64 s[12:13], s[12:13], s[10:11]
	s_delay_alu instid0(SALU_CYCLE_1)
	s_mul_hi_u32 s23, s10, s13
	s_mul_i32 s22, s10, s13
	s_mul_hi_u32 s14, s10, s12
	s_mul_i32 s20, s11, s12
	s_add_nc_u64 s[14:15], s[14:15], s[22:23]
	s_mul_hi_u32 s7, s11, s12
	s_mul_hi_u32 s24, s11, s13
	s_mul_i32 s12, s11, s13
	s_add_co_u32 s13, s14, s20
	s_wait_alu 0xfffe
	s_add_co_ci_u32 s20, s15, s7
	s_add_co_ci_u32 s13, s24, 0
	s_mov_b32 s15, s17
	s_add_nc_u64 s[12:13], s[20:21], s[12:13]
	s_delay_alu instid0(SALU_CYCLE_1) | instskip(SKIP_1) | instid1(SALU_CYCLE_1)
	s_add_co_u32 s7, s10, s12
	s_cselect_b32 s10, -1, 0
	s_cmp_lg_u32 s10, 0
	s_add_co_ci_u32 s20, s11, s13
	s_ashr_i32 s10, s3, 31
	s_delay_alu instid0(SALU_CYCLE_1) | instskip(NEXT) | instid1(SALU_CYCLE_1)
	s_mov_b32 s11, s10
	s_add_nc_u64 s[12:13], s[2:3], s[10:11]
	s_delay_alu instid0(SALU_CYCLE_1) | instskip(NEXT) | instid1(SALU_CYCLE_1)
	s_xor_b64 s[12:13], s[12:13], s[10:11]
	s_mul_hi_u32 s23, s12, s20
	s_mul_i32 s22, s12, s20
	s_wait_alu 0xfffe
	s_mul_hi_u32 s14, s12, s7
	s_mul_hi_u32 s24, s13, s7
	s_mul_i32 s7, s13, s7
	s_add_nc_u64 s[14:15], s[14:15], s[22:23]
	s_mul_hi_u32 s3, s13, s20
	s_wait_alu 0xfffe
	s_add_co_u32 s7, s14, s7
	s_mul_i32 s22, s13, s20
	s_add_co_ci_u32 s20, s15, s24
	s_add_co_ci_u32 s23, s3, 0
	s_delay_alu instid0(SALU_CYCLE_1) | instskip(NEXT) | instid1(SALU_CYCLE_1)
	s_add_nc_u64 s[14:15], s[20:21], s[22:23]
	s_mul_u64 s[20:21], s[8:9], s[14:15]
	s_delay_alu instid0(SALU_CYCLE_1)
	s_sub_co_u32 s3, s12, s20
	s_cselect_b32 s7, -1, 0
	s_sub_co_i32 s12, s13, s21
	s_wait_alu 0xfffe
	s_cmp_lg_u32 s7, 0
	s_sub_co_ci_u32 s12, s12, s9
	s_sub_co_u32 s20, s3, s8
	s_cselect_b32 s22, -1, 0
	s_delay_alu instid0(SALU_CYCLE_1) | instskip(SKIP_2) | instid1(SALU_CYCLE_1)
	s_cmp_lg_u32 s22, 0
	s_add_nc_u64 s[22:23], s[14:15], 1
	s_sub_co_ci_u32 s12, s12, 0
	s_cmp_ge_u32 s12, s9
	s_cselect_b32 s24, -1, 0
	s_cmp_ge_u32 s20, s8
	s_cselect_b32 s20, -1, 0
	s_cmp_eq_u32 s12, s9
	s_cselect_b32 s12, s20, s24
	s_add_nc_u64 s[24:25], s[14:15], 2
	s_cmp_lg_u32 s12, 0
	s_cselect_b32 s12, s24, s22
	s_cselect_b32 s20, s25, s23
	s_cmp_lg_u32 s7, 0
	s_sub_co_ci_u32 s7, s13, s21
	s_wait_alu 0xfffe
	s_cmp_ge_u32 s7, s9
	s_cselect_b32 s13, -1, 0
	s_cmp_ge_u32 s3, s8
	s_cselect_b32 s3, -1, 0
	s_cmp_eq_u32 s7, s9
	s_cselect_b32 s3, s3, s13
	s_delay_alu instid0(SALU_CYCLE_1) | instskip(SKIP_4) | instid1(SALU_CYCLE_1)
	s_cmp_lg_u32 s3, 0
	s_mov_b32 s3, s17
	s_cselect_b32 s9, s20, s15
	s_cselect_b32 s8, s12, s14
	s_xor_b64 s[10:11], s[10:11], 0
	s_xor_b64 s[8:9], s[8:9], s[10:11]
	s_delay_alu instid0(SALU_CYCLE_1)
	s_sub_nc_u64 s[20:21], s[8:9], s[10:11]
	s_and_not1_b32 vcc_lo, exec_lo, s3
	s_cbranch_vccnz .LBB45_3
.LBB45_2:
	v_cvt_f32_u32_e32 v1, s16
	s_sub_co_i32 s7, 0, s16
	s_delay_alu instid0(VALU_DEP_1) | instskip(NEXT) | instid1(TRANS32_DEP_1)
	v_rcp_iflag_f32_e32 v1, v1
	v_mul_f32_e32 v1, 0x4f7ffffe, v1
	s_delay_alu instid0(VALU_DEP_1) | instskip(NEXT) | instid1(VALU_DEP_1)
	v_cvt_u32_f32_e32 v1, v1
	v_readfirstlane_b32 s3, v1
	s_wait_alu 0xfffe
	s_mul_i32 s7, s7, s3
	s_wait_alu 0xfffe
	s_mul_hi_u32 s7, s3, s7
	s_wait_alu 0xfffe
	s_add_co_i32 s3, s3, s7
	s_delay_alu instid0(SALU_CYCLE_1) | instskip(NEXT) | instid1(SALU_CYCLE_1)
	s_mul_hi_u32 s3, s2, s3
	s_mul_i32 s7, s3, s16
	s_wait_alu 0xfffe
	s_sub_co_i32 s2, s2, s7
	s_add_co_i32 s7, s3, 1
	s_sub_co_i32 s8, s2, s16
	s_cmp_ge_u32 s2, s16
	s_wait_alu 0xfffe
	s_cselect_b32 s3, s7, s3
	s_cselect_b32 s2, s8, s2
	s_add_co_i32 s7, s3, 1
	s_cmp_ge_u32 s2, s16
	s_wait_alu 0xfffe
	s_cselect_b32 s20, s7, s3
.LBB45_3:
	s_add_co_i32 s2, ttmp9, 1
	s_mov_b32 s8, 0
	s_ashr_i32 s3, s2, 31
	s_delay_alu instid0(SALU_CYCLE_1) | instskip(NEXT) | instid1(SALU_CYCLE_1)
	s_mul_u64 s[2:3], s[18:19], s[2:3]
	s_mov_b32 s9, s3
	s_delay_alu instid0(SALU_CYCLE_1)
	s_cmp_lg_u64 s[8:9], 0
	s_cbranch_scc0 .LBB45_22
; %bb.4:
	s_add_nc_u64 s[10:11], s[16:17], 0
	s_mov_b32 s23, s8
	s_xor_b64 s[10:11], s[10:11], 0
	s_mov_b32 s27, s8
	s_cvt_f32_u32 s7, s10
	s_cvt_f32_u32 s9, s11
	s_sub_nc_u64 s[14:15], 0, s[10:11]
	s_wait_alu 0xfffe
	s_delay_alu instid0(SALU_CYCLE_1) | instskip(SKIP_1) | instid1(SALU_CYCLE_2)
	s_fmamk_f32 s7, s9, 0x4f800000, s7
	s_wait_alu 0xfffe
	v_s_rcp_f32 s7, s7
	s_delay_alu instid0(TRANS32_DEP_1) | instskip(SKIP_1) | instid1(SALU_CYCLE_2)
	s_mul_f32 s7, s7, 0x5f7ffffc
	s_wait_alu 0xfffe
	s_mul_f32 s9, s7, 0x2f800000
	s_delay_alu instid0(SALU_CYCLE_3) | instskip(NEXT) | instid1(SALU_CYCLE_3)
	s_trunc_f32 s9, s9
	s_fmamk_f32 s7, s9, 0xcf800000, s7
	s_cvt_u32_f32 s13, s9
	s_wait_alu 0xfffe
	s_delay_alu instid0(SALU_CYCLE_1) | instskip(NEXT) | instid1(SALU_CYCLE_3)
	s_cvt_u32_f32 s12, s7
	s_mul_u64 s[24:25], s[14:15], s[12:13]
	s_delay_alu instid0(SALU_CYCLE_1)
	s_mul_hi_u32 s29, s12, s25
	s_mul_i32 s28, s12, s25
	s_mul_hi_u32 s22, s12, s24
	s_mul_i32 s9, s13, s24
	s_add_nc_u64 s[22:23], s[22:23], s[28:29]
	s_mul_hi_u32 s7, s13, s24
	s_mul_hi_u32 s21, s13, s25
	s_add_co_u32 s9, s22, s9
	s_wait_alu 0xfffe
	s_add_co_ci_u32 s26, s23, s7
	s_mul_i32 s24, s13, s25
	s_add_co_ci_u32 s25, s21, 0
	s_delay_alu instid0(SALU_CYCLE_1)
	s_add_nc_u64 s[22:23], s[26:27], s[24:25]
	s_mov_b32 s25, s8
	s_add_co_u32 s12, s12, s22
	s_cselect_b32 s7, -1, 0
	s_wait_alu 0xfffe
	s_cmp_lg_u32 s7, 0
	s_add_co_ci_u32 s13, s13, s23
	s_mov_b32 s23, s8
	s_mul_u64 s[14:15], s[14:15], s[12:13]
	s_delay_alu instid0(SALU_CYCLE_1)
	s_mul_hi_u32 s27, s12, s15
	s_mul_i32 s26, s12, s15
	s_mul_hi_u32 s22, s12, s14
	s_mul_i32 s9, s13, s14
	s_add_nc_u64 s[22:23], s[22:23], s[26:27]
	s_mul_hi_u32 s7, s13, s14
	s_mul_hi_u32 s21, s13, s15
	s_add_co_u32 s9, s22, s9
	s_wait_alu 0xfffe
	s_add_co_ci_u32 s24, s23, s7
	s_mul_i32 s14, s13, s15
	s_add_co_ci_u32 s15, s21, 0
	s_mov_b32 s23, s8
	s_add_nc_u64 s[14:15], s[24:25], s[14:15]
	s_delay_alu instid0(SALU_CYCLE_1) | instskip(SKIP_1) | instid1(SALU_CYCLE_1)
	s_add_co_u32 s7, s12, s14
	s_cselect_b32 s9, -1, 0
	s_cmp_lg_u32 s9, 0
	s_add_co_ci_u32 s9, s13, s15
	s_ashr_i32 s12, s3, 31
	s_delay_alu instid0(SALU_CYCLE_1) | instskip(NEXT) | instid1(SALU_CYCLE_1)
	s_mov_b32 s13, s12
	s_add_nc_u64 s[14:15], s[2:3], s[12:13]
	s_delay_alu instid0(SALU_CYCLE_1) | instskip(NEXT) | instid1(SALU_CYCLE_1)
	s_xor_b64 s[14:15], s[14:15], s[12:13]
	s_mul_hi_u32 s27, s14, s9
	s_mul_i32 s26, s14, s9
	s_wait_alu 0xfffe
	s_mul_hi_u32 s22, s14, s7
	s_mul_hi_u32 s21, s15, s7
	s_mul_i32 s7, s15, s7
	s_add_nc_u64 s[22:23], s[22:23], s[26:27]
	s_mul_hi_u32 s3, s15, s9
	s_wait_alu 0xfffe
	s_add_co_u32 s7, s22, s7
	s_add_co_ci_u32 s24, s23, s21
	s_mul_i32 s26, s15, s9
	s_add_co_ci_u32 s27, s3, 0
	s_delay_alu instid0(SALU_CYCLE_1) | instskip(NEXT) | instid1(SALU_CYCLE_1)
	s_add_nc_u64 s[22:23], s[24:25], s[26:27]
	s_mul_u64 s[24:25], s[10:11], s[22:23]
	s_add_nc_u64 s[26:27], s[22:23], 1
	s_sub_co_u32 s3, s14, s24
	s_cselect_b32 s7, -1, 0
	s_sub_co_i32 s9, s15, s25
	s_wait_alu 0xfffe
	s_cmp_lg_u32 s7, 0
	s_add_nc_u64 s[28:29], s[22:23], 2
	s_sub_co_ci_u32 s9, s9, s11
	s_sub_co_u32 s14, s3, s10
	s_cselect_b32 s21, -1, 0
	s_delay_alu instid0(SALU_CYCLE_1) | instskip(SKIP_1) | instid1(SALU_CYCLE_1)
	s_cmp_lg_u32 s21, 0
	s_sub_co_ci_u32 s9, s9, 0
	s_cmp_ge_u32 s9, s11
	s_cselect_b32 s21, -1, 0
	s_cmp_ge_u32 s14, s10
	s_cselect_b32 s14, -1, 0
	s_cmp_eq_u32 s9, s11
	s_cselect_b32 s9, s14, s21
	s_delay_alu instid0(SALU_CYCLE_1)
	s_cmp_lg_u32 s9, 0
	s_cselect_b32 s9, s28, s26
	s_cselect_b32 s14, s29, s27
	s_cmp_lg_u32 s7, 0
	s_sub_co_ci_u32 s7, s15, s25
	s_wait_alu 0xfffe
	s_cmp_ge_u32 s7, s11
	s_cselect_b32 s15, -1, 0
	s_cmp_ge_u32 s3, s10
	s_cselect_b32 s3, -1, 0
	s_cmp_eq_u32 s7, s11
	s_cselect_b32 s3, s3, s15
	s_delay_alu instid0(SALU_CYCLE_1) | instskip(SKIP_3) | instid1(SALU_CYCLE_1)
	s_cmp_lg_u32 s3, 0
	s_cselect_b32 s11, s14, s23
	s_cselect_b32 s10, s9, s22
	s_xor_b64 s[12:13], s[12:13], 0
	s_xor_b64 s[10:11], s[10:11], s[12:13]
	s_delay_alu instid0(SALU_CYCLE_1)
	s_sub_nc_u64 s[10:11], s[10:11], s[12:13]
	s_load_b96 s[12:14], s[0:1], 0x44
	s_and_not1_b32 vcc_lo, exec_lo, s8
	s_cbranch_vccnz .LBB45_6
.LBB45_5:
	v_cvt_f32_u32_e32 v1, s16
	s_sub_co_i32 s7, 0, s16
	s_delay_alu instid0(VALU_DEP_1) | instskip(NEXT) | instid1(TRANS32_DEP_1)
	v_rcp_iflag_f32_e32 v1, v1
	v_mul_f32_e32 v1, 0x4f7ffffe, v1
	s_delay_alu instid0(VALU_DEP_1) | instskip(NEXT) | instid1(VALU_DEP_1)
	v_cvt_u32_f32_e32 v1, v1
	v_readfirstlane_b32 s3, v1
	s_wait_alu 0xfffe
	s_mul_i32 s7, s7, s3
	s_wait_alu 0xfffe
	s_mul_hi_u32 s7, s3, s7
	s_wait_alu 0xfffe
	s_add_co_i32 s3, s3, s7
	s_delay_alu instid0(SALU_CYCLE_1) | instskip(NEXT) | instid1(SALU_CYCLE_1)
	s_mul_hi_u32 s3, s2, s3
	s_mul_i32 s7, s3, s16
	s_wait_alu 0xfffe
	s_sub_co_i32 s2, s2, s7
	s_add_co_i32 s7, s3, 1
	s_sub_co_i32 s8, s2, s16
	s_cmp_ge_u32 s2, s16
	s_wait_alu 0xfffe
	s_cselect_b32 s3, s7, s3
	s_cselect_b32 s2, s8, s2
	s_add_co_i32 s7, s3, 1
	s_cmp_ge_u32 s2, s16
	s_wait_alu 0xfffe
	s_cselect_b32 s10, s7, s3
.LBB45_6:
	s_mov_b32 s21, 0
	s_wait_kmcnt 0x0
	s_mov_b32 s22, s12
	s_mov_b32 s23, s21
	s_cmp_eq_u32 s20, s10
	s_mul_u64 s[2:3], s[20:21], s[22:23]
	s_cselect_b32 s7, -1, 0
	s_add_co_i32 s2, s3, s20
	s_mov_b32 s11, s21
	s_lshr_b32 s12, s2, s13
	s_mul_u64 s[2:3], s[10:11], s[22:23]
	s_mul_i32 s2, s12, s14
	s_delay_alu instid0(SALU_CYCLE_1) | instskip(SKIP_2) | instid1(SALU_CYCLE_1)
	s_cmp_eq_u32 s2, s20
	s_cselect_b32 s2, -1, 0
	s_add_co_i32 s3, s3, s10
	s_lshr_b32 s3, s3, s13
	s_delay_alu instid0(SALU_CYCLE_1)
	s_cmp_eq_u32 s12, s3
	s_mul_i32 s3, s3, s14
	s_cselect_b32 s8, -1, 0
	s_cmp_lg_u32 s3, s10
	s_cselect_b32 s3, -1, 0
	s_wait_alu 0xfffe
	s_or_b32 s2, s7, s2
	s_and_b32 s3, s8, s3
	s_delay_alu instid0(SALU_CYCLE_1) | instskip(NEXT) | instid1(SALU_CYCLE_1)
	s_or_b32 s2, s2, s3
	s_and_b32 vcc_lo, exec_lo, s2
	s_cbranch_vccnz .LBB45_24
; %bb.7:
	s_load_b256 s[24:31], s[0:1], 0x20
	s_mov_b32 s3, s21
	s_and_b32 s15, ttmp7, 0xffff
	s_wait_kmcnt 0x0
	s_mov_b32 s2, s24
	s_delay_alu instid0(SALU_CYCLE_1) | instskip(NEXT) | instid1(SALU_CYCLE_1)
	s_mul_u64 s[2:3], s[20:21], s[2:3]
	s_add_co_i32 s2, s3, s20
	s_delay_alu instid0(SALU_CYCLE_1) | instskip(SKIP_4) | instid1(SALU_CYCLE_1)
	s_lshr_b32 s3, s2, s25
	s_load_b32 s2, s[0:1], 0x40
	s_mul_i32 s7, s3, s26
	s_wait_alu 0xfffe
	s_sub_co_i32 s8, s20, s7
	s_mul_hi_u32 s7, s8, s27
	s_wait_alu 0xfffe
	s_add_co_i32 s7, s8, s7
	s_wait_alu 0xfffe
	s_lshr_b32 s7, s7, s28
	s_wait_alu 0xfffe
	s_mul_i32 s9, s7, s29
	s_delay_alu instid0(SALU_CYCLE_1) | instskip(NEXT) | instid1(SALU_CYCLE_1)
	s_sub_co_i32 s8, s8, s9
	s_mul_hi_u32 s9, s8, s30
	s_delay_alu instid0(SALU_CYCLE_1) | instskip(NEXT) | instid1(SALU_CYCLE_1)
	s_add_co_i32 s9, s8, s9
	s_lshr_b32 s24, s9, s31
	s_mov_b32 s9, s21
	s_wait_kmcnt 0x0
	s_mul_i32 s2, s24, s2
	s_delay_alu instid0(SALU_CYCLE_1) | instskip(NEXT) | instid1(SALU_CYCLE_1)
	s_sub_co_i32 s8, s8, s2
	s_mul_u64 s[10:11], s[8:9], s[22:23]
	s_delay_alu instid0(SALU_CYCLE_1) | instskip(NEXT) | instid1(SALU_CYCLE_1)
	s_add_co_i32 s2, s8, s11
	s_lshr_b32 s21, s2, s13
	s_delay_alu instid0(SALU_CYCLE_1) | instskip(NEXT) | instid1(SALU_CYCLE_1)
	s_lshl_b32 s2, s21, 5
	s_add_co_i32 s8, s2, s15
	s_lshr_b32 s2, ttmp7, 16
	s_cmp_lt_i32 s8, s4
	s_cselect_b32 s8, -1, 0
	s_add_co_i32 s9, s24, s2
	s_delay_alu instid0(SALU_CYCLE_1) | instskip(SKIP_1) | instid1(SALU_CYCLE_1)
	s_cmp_lt_i32 s9, s6
	s_cselect_b32 s9, -1, 0
	s_and_b32 s8, s8, s9
	s_delay_alu instid0(SALU_CYCLE_1)
	s_and_not1_b32 vcc_lo, exec_lo, s8
	s_cbranch_vccnz .LBB45_24
; %bb.8:
	s_mul_i32 s3, s3, s4
	s_mul_i32 s7, s7, s6
	s_add_co_i32 s3, s3, s15
	s_load_b128 s[8:11], s[0:1], 0x0
	s_mul_i32 s3, s3, s5
	s_mul_i32 s1, s5, s21
	s_add_co_i32 s3, s3, s2
	s_lshl_b32 s1, s1, 13
	s_add_co_i32 s0, s3, s7
	s_add_co_i32 s15, s15, s2
	;; [unrolled: 1-line block ×3, first 2 shown]
	v_cvt_f32_u32_e32 v4, s16
	s_lshl_b32 s0, s0, 8
	s_add_co_i32 s34, ttmp9, -1
	s_add_co_i32 s1, s1, s0
	s_delay_alu instid0(VALU_DEP_1)
	v_rcp_iflag_f32_e32 v4, v4
	v_or_b32_e32 v1, s1, v0
	s_add_nc_u64 s[0:1], s[16:17], 0
	v_lshl_or_b32 v0, s15, 8, v0
	s_wait_alu 0xfffe
	s_xor_b64 s[6:7], s[0:1], 0
	s_lshl_b32 s0, ttmp9, 5
	v_ashrrev_i32_e32 v2, 31, v1
	s_wait_alu 0xfffe
	s_cvt_f32_u32 s1, s6
	s_cvt_f32_u32 s2, s7
	s_add_co_i32 s0, s0, s15
	s_sub_nc_u64 s[30:31], 0, s[6:7]
	v_lshlrev_b64_e32 v[1:2], 2, v[1:2]
	s_wait_alu 0xfffe
	s_fmamk_f32 s2, s2, 0x4f800000, s1
	s_ashr_i32 s1, s0, 31
	s_wait_alu 0xfffe
	s_lshl_b64 s[0:1], s[0:1], 3
	v_s_rcp_f32 s2, s2
	s_wait_kmcnt 0x0
	v_add_co_u32 v1, vcc_lo, s8, v1
	s_delay_alu instid0(VALU_DEP_1)
	v_add_co_ci_u32_e64 v2, null, s9, v2, vcc_lo
	s_wait_alu 0xfffe
	s_add_nc_u64 s[0:1], s[10:11], s[0:1]
	s_mov_b32 s8, 0
	s_load_b64 s[26:27], s[0:1], 0x0
	global_load_b32 v3, v[1:2], off
	s_mul_f32 s2, s2, 0x5f7ffffc
	v_mul_f32_e32 v4, 0x4f7ffffe, v4
	s_lshl_b32 s0, s16, 7
	s_wait_alu 0xfffe
	s_mul_f32 s1, s2, 0x2f800000
	s_wait_alu 0xfffe
	s_delay_alu instid0(SALU_CYCLE_2)
	s_trunc_f32 s3, s1
	s_mov_b32 s1, s8
	s_wait_alu 0xfffe
	s_lshl_b64 s[0:1], s[0:1], 2
	s_fmamk_f32 s2, s3, 0xcf800000, s2
	s_cvt_u32_f32 s29, s3
	s_wait_alu 0xfffe
	s_add_nc_u64 s[24:25], s[10:11], s[0:1]
	s_cvt_u32_f32 s28, s2
	s_wait_kmcnt 0x0
	v_mov_b32_e32 v5, s27
	v_cvt_u32_f32_e32 v4, v4
.LBB45_9:                               ; =>This Inner Loop Header: Depth=1
	s_wait_alu 0xfffe
	s_ashr_i32 s35, s34, 31
	s_mov_b32 s2, -1
	s_wait_alu 0xfffe
	s_mul_u64 s[0:1], s[34:35], s[18:19]
                                        ; implicit-def: $sgpr38_sgpr39
	s_wait_alu 0xfffe
	s_mov_b32 s9, s1
	s_wait_alu 0xfffe
	s_cmp_lg_u64 s[8:9], 0
	s_cbranch_scc0 .LBB45_11
; %bb.10:                               ;   in Loop: Header=BB45_9 Depth=1
	s_mul_u64 s[2:3], s[30:31], s[28:29]
	s_mov_b32 s37, s8
	s_wait_alu 0xfffe
	s_mul_hi_u32 s5, s28, s3
	s_mul_i32 s4, s28, s3
	s_mul_hi_u32 s36, s28, s2
	s_mul_hi_u32 s9, s29, s2
	s_wait_alu 0xfffe
	s_add_nc_u64 s[4:5], s[36:37], s[4:5]
	s_mul_i32 s2, s29, s2
	s_mul_hi_u32 s17, s29, s3
	s_wait_alu 0xfffe
	s_add_co_u32 s2, s4, s2
	s_add_co_ci_u32 s2, s5, s9
	s_add_co_ci_u32 s5, s17, 0
	s_mul_i32 s4, s29, s3
	s_mov_b32 s3, s8
	s_mov_b32 s39, s8
	s_wait_alu 0xfffe
	s_add_nc_u64 s[2:3], s[2:3], s[4:5]
	s_wait_alu 0xfffe
	s_add_co_u32 s2, s28, s2
	s_cselect_b32 s4, -1, 0
	s_wait_alu 0xfffe
	s_cmp_lg_u32 s4, 0
	s_add_co_ci_u32 s3, s29, s3
	s_wait_alu 0xfffe
	s_mul_u64 s[4:5], s[30:31], s[2:3]
	s_wait_alu 0xfffe
	s_mul_hi_u32 s37, s2, s5
	s_mul_i32 s36, s2, s5
	s_mul_hi_u32 s38, s2, s4
	s_mul_hi_u32 s9, s3, s4
	s_mul_i32 s4, s3, s4
	s_wait_alu 0xfffe
	s_add_nc_u64 s[36:37], s[38:39], s[36:37]
	s_mul_hi_u32 s17, s3, s5
	s_wait_alu 0xfffe
	s_add_co_u32 s4, s36, s4
	s_add_co_ci_u32 s4, s37, s9
	s_add_co_ci_u32 s37, s17, 0
	s_mul_i32 s36, s3, s5
	s_mov_b32 s5, s8
	s_wait_alu 0xfffe
	s_add_nc_u64 s[4:5], s[4:5], s[36:37]
	s_mov_b32 s37, s8
	s_wait_alu 0xfffe
	s_add_co_u32 s9, s2, s4
	s_cselect_b32 s2, -1, 0
	s_wait_alu 0xfffe
	s_cmp_lg_u32 s2, 0
	s_add_co_ci_u32 s17, s3, s5
	s_ashr_i32 s2, s1, 31
	s_wait_alu 0xfffe
	s_mov_b32 s3, s2
	s_wait_alu 0xfffe
	s_add_nc_u64 s[4:5], s[0:1], s[2:3]
	s_wait_alu 0xfffe
	s_xor_b64 s[4:5], s[4:5], s[2:3]
	s_wait_alu 0xfffe
	s_mul_hi_u32 s39, s4, s17
	s_mul_i32 s38, s4, s17
	s_mul_hi_u32 s36, s4, s9
	s_mul_i32 s21, s5, s9
	s_wait_alu 0xfffe
	s_add_nc_u64 s[36:37], s[36:37], s[38:39]
	s_mul_hi_u32 s9, s5, s9
	s_mul_hi_u32 s1, s5, s17
	s_wait_alu 0xfffe
	s_add_co_u32 s21, s36, s21
	s_add_co_ci_u32 s36, s37, s9
	s_add_co_ci_u32 s39, s1, 0
	s_mul_i32 s38, s5, s17
	s_mov_b32 s37, s8
	s_wait_alu 0xfffe
	s_add_nc_u64 s[36:37], s[36:37], s[38:39]
	s_wait_alu 0xfffe
	s_mul_u64 s[38:39], s[6:7], s[36:37]
	s_add_nc_u64 s[40:41], s[36:37], 1
	s_sub_co_u32 s1, s4, s38
	s_cselect_b32 s4, -1, 0
	s_sub_co_i32 s9, s5, s39
	s_wait_alu 0xfffe
	s_cmp_lg_u32 s4, 0
	s_add_nc_u64 s[42:43], s[36:37], 2
	s_sub_co_ci_u32 s9, s9, s7
	s_sub_co_u32 s17, s1, s6
	s_cselect_b32 s21, -1, 0
	s_delay_alu instid0(SALU_CYCLE_1)
	s_cmp_lg_u32 s21, 0
	s_wait_alu 0xfffe
	s_sub_co_ci_u32 s9, s9, 0
	s_wait_alu 0xfffe
	s_cmp_ge_u32 s9, s7
	s_cselect_b32 s21, -1, 0
	s_cmp_ge_u32 s17, s6
	s_cselect_b32 s17, -1, 0
	s_cmp_eq_u32 s9, s7
	s_wait_alu 0xfffe
	s_cselect_b32 s9, s17, s21
	s_wait_alu 0xfffe
	s_cmp_lg_u32 s9, 0
	s_cselect_b32 s9, s42, s40
	s_cselect_b32 s17, s43, s41
	s_cmp_lg_u32 s4, 0
	s_sub_co_ci_u32 s4, s5, s39
	s_wait_alu 0xfffe
	s_cmp_ge_u32 s4, s7
	s_cselect_b32 s5, -1, 0
	s_cmp_ge_u32 s1, s6
	s_cselect_b32 s1, -1, 0
	s_cmp_eq_u32 s4, s7
	s_wait_alu 0xfffe
	s_cselect_b32 s1, s1, s5
	s_wait_alu 0xfffe
	s_cmp_lg_u32 s1, 0
	s_cselect_b32 s5, s17, s37
	s_cselect_b32 s4, s9, s36
	s_xor_b64 s[2:3], s[2:3], 0
	s_wait_alu 0xfffe
	s_xor_b64 s[4:5], s[4:5], s[2:3]
	s_wait_alu 0xfffe
	s_sub_nc_u64 s[38:39], s[4:5], s[2:3]
	s_mov_b32 s2, 0
.LBB45_11:                              ;   in Loop: Header=BB45_9 Depth=1
	s_wait_alu 0xfffe
	s_and_not1_b32 vcc_lo, exec_lo, s2
	s_wait_alu 0xfffe
	s_cbranch_vccnz .LBB45_13
; %bb.12:                               ;   in Loop: Header=BB45_9 Depth=1
	v_readfirstlane_b32 s1, v4
	s_sub_co_i32 s2, 0, s16
	s_wait_alu 0xfffe
	s_mul_i32 s2, s2, s1
	s_wait_alu 0xfffe
	s_mul_hi_u32 s2, s1, s2
	s_wait_alu 0xfffe
	s_add_co_i32 s1, s1, s2
	s_wait_alu 0xfffe
	s_mul_hi_u32 s1, s0, s1
	s_wait_alu 0xfffe
	s_mul_i32 s2, s1, s16
	s_wait_alu 0xfffe
	s_sub_co_i32 s0, s0, s2
	s_add_co_i32 s2, s1, 1
	s_wait_alu 0xfffe
	s_sub_co_i32 s3, s0, s16
	s_cmp_ge_u32 s0, s16
	s_cselect_b32 s1, s2, s1
	s_wait_alu 0xfffe
	s_cselect_b32 s0, s3, s0
	s_add_co_i32 s2, s1, 1
	s_wait_alu 0xfffe
	s_cmp_ge_u32 s0, s16
	s_cselect_b32 s38, s2, s1
.LBB45_13:                              ;   in Loop: Header=BB45_9 Depth=1
	v_readfirstlane_b32 s9, v0
	s_cmp_lg_u32 s20, s38
	s_mov_b32 s0, -1
                                        ; implicit-def: $sgpr21
                                        ; implicit-def: $vgpr6
                                        ; implicit-def: $vgpr7
                                        ; implicit-def: $sgpr17
                                        ; implicit-def: $sgpr27
	s_cbranch_scc1 .LBB45_16
; %bb.14:                               ;   in Loop: Header=BB45_9 Depth=1
	s_wait_alu 0xfffe
	s_and_not1_b32 vcc_lo, exec_lo, s0
	s_wait_alu 0xfffe
	s_cbranch_vccz .LBB45_19
.LBB45_15:                              ;   in Loop: Header=BB45_9 Depth=1
	s_and_not1_b32 vcc_lo, exec_lo, s21
	s_wait_alu 0xfffe
	s_cbranch_vccnz .LBB45_20
	s_branch .LBB45_23
.LBB45_16:                              ;   in Loop: Header=BB45_9 Depth=1
	s_add_co_i32 s0, s34, s16
	s_mov_b32 s1, s8
	s_wait_alu 0xfffe
	s_lshl_b32 s0, s0, 5
	v_max_num_f32_e64 v6, s26, s26
	s_wait_alu 0xfffe
	s_add_co_i32 s0, s0, s15
	s_mov_b32 s39, s8
	s_wait_alu 0xfffe
	s_lshl_b64 s[0:1], s[0:1], 3
	s_mul_u64 s[40:41], s[38:39], s[22:23]
	s_wait_alu 0xfffe
	s_add_nc_u64 s[0:1], s[10:11], s[0:1]
	s_mov_b32 s27, s20
	s_load_b64 s[36:37], s[0:1], 0x0
	v_readfirstlane_b32 s0, v6
	s_wait_kmcnt 0x0
	v_max_num_f32_e64 v7, s36, s36
	s_delay_alu instid0(VALU_DEP_1) | instskip(SKIP_2) | instid1(SALU_CYCLE_2)
	v_readfirstlane_b32 s1, v7
	s_max_num_f32 s9, s0, s1
	s_wait_alu 0xfffe
	s_sub_f32 s33, s26, s9
	s_sub_f32 s35, s36, s9
	s_wait_alu 0xfffe
	s_delay_alu instid0(SALU_CYCLE_1)
	s_cmp_nlt_f32 s33, 0xc2ce8ed0
	s_cselect_b32 s0, -1, 0
	s_cmp_ngt_f32 s33, 0x42b17218
	s_cselect_b32 s1, -1, 0
	s_cmp_ge_f32 s33, 0xc1a00000
	s_cselect_b32 s2, -1, 0
	s_cmp_nlt_f32 s35, 0xc2ce8ed0
	s_cselect_b32 s3, -1, 0
	s_cmp_ngt_f32 s35, 0x42b17218
	s_cselect_b32 s4, -1, 0
	s_cmp_ge_f32 s35, 0xc1a00000
	s_cselect_b32 s5, -1, 0
	s_add_co_i32 s17, s41, s38
	s_wait_alu 0xfffe
	s_lshr_b32 s17, s17, s13
	s_wait_alu 0xfffe
	s_mul_i32 s21, s17, s14
	s_delay_alu instid0(SALU_CYCLE_1)
	s_cmp_eq_u32 s21, s38
	s_cselect_b32 s21, -1, 0
	s_cmp_lt_u32 s17, s12
	s_cselect_b32 s17, -1, 0
	s_wait_alu 0xfffe
	s_or_b32 s17, s17, s21
	s_mov_b32 s21, -1
	s_wait_alu 0xfffe
	s_and_b32 vcc_lo, exec_lo, s17
	s_mov_b32 s17, s34
	s_wait_alu 0xfffe
	s_cbranch_vccnz .LBB45_18
; %bb.17:                               ;   in Loop: Header=BB45_9 Depth=1
	s_add_co_i32 s17, s34, -1
	s_mov_b32 s21, 0
	s_mov_b32 s27, s38
.LBB45_18:                              ;   in Loop: Header=BB45_9 Depth=1
	v_lshl_add_u32 v6, s34, 13, v0
	s_mul_f32 s36, s35, 0x3fb8aa3b
	s_mul_f32 s38, s33, 0x3fb8aa3b
	s_wait_alu 0xfffe
	s_delay_alu instid0(SALU_CYCLE_1)
	s_xor_b32 s39, s36, 0x80000000
	v_ashrrev_i32_e32 v7, 31, v6
	s_rndne_f32 s40, s36
	s_fmamk_f32 s39, s35, 0x3fb8aa3b, s39
	s_xor_b32 s41, s38, 0x80000000
	s_rndne_f32 s42, s38
	v_lshlrev_b64_e32 v[6:7], 2, v[6:7]
	s_sub_f32 s36, s36, s40
	s_fmamk_f32 s35, s35, 0x32a5705f, s39
	s_fmamk_f32 s39, s33, 0x3fb8aa3b, s41
	s_sub_f32 s38, s38, s42
	s_delay_alu instid0(VALU_DEP_1)
	v_add_co_u32 v6, vcc_lo, s24, v6
	s_wait_alu 0xfffd
	v_add_co_ci_u32_e64 v7, null, s25, v7, vcc_lo
	s_wait_alu 0xfffe
	s_add_f32 s35, s36, s35
	s_fmamk_f32 s33, s33, 0x32a5705f, s39
	s_cvt_i32_f32 s36, s40
	global_load_b32 v6, v[6:7], off
	s_wait_alu 0xfffe
	v_s_exp_f32 s35, s35
	s_add_f32 s33, s38, s33
	s_wait_alu 0xfffe
	s_delay_alu instid0(SALU_CYCLE_2) | instskip(NEXT) | instid1(TRANS32_DEP_2)
	v_s_exp_f32 s33, s33
	v_ldexp_f32 v7, s35, s36
	s_cvt_i32_f32 s35, s42
	s_wait_alu 0xf1fe
	s_delay_alu instid0(TRANS32_DEP_1) | instid1(SALU_CYCLE_2)
	v_ldexp_f32 v8, s33, s35
	s_delay_alu instid0(VALU_DEP_2) | instskip(NEXT) | instid1(VALU_DEP_2)
	v_cndmask_b32_e64 v7, 0, v7, s3
	v_cndmask_b32_e64 v8, 0, v8, s0
	s_delay_alu instid0(VALU_DEP_2) | instskip(NEXT) | instid1(VALU_DEP_2)
	v_cndmask_b32_e64 v7, 0x7f800000, v7, s4
	v_cndmask_b32_e64 v8, 0x7f800000, v8, s1
	;; [unrolled: 3-line block ×3, first 2 shown]
	s_wait_loadcnt 0x0
	s_delay_alu instid0(VALU_DEP_2) | instskip(SKIP_1) | instid1(VALU_DEP_1)
	v_mul_f32_e32 v6, v6, v7
	v_mul_f32_e32 v7, s37, v7
	v_fmac_f32_e32 v7, v5, v8
	s_delay_alu instid0(VALU_DEP_3)
	v_fmac_f32_e32 v6, v3, v8
	s_cbranch_execnz .LBB45_15
.LBB45_19:                              ;   in Loop: Header=BB45_9 Depth=1
	s_wait_loadcnt 0x0
	v_dual_mov_b32 v7, v5 :: v_dual_mov_b32 v6, v3
	s_add_co_i32 s17, s34, -1
	s_mov_b32 s27, s20
	s_mov_b32 s9, s26
	s_cbranch_execz .LBB45_23
.LBB45_20:                              ;   in Loop: Header=BB45_9 Depth=1
	v_mov_b32_e32 v5, v7
	s_wait_loadcnt 0x0
	v_mov_b32_e32 v3, v6
	s_wait_alu 0xfffe
	s_mov_b32 s20, s27
	s_mov_b32 s34, s17
	;; [unrolled: 1-line block ×3, first 2 shown]
	s_branch .LBB45_9
.LBB45_21:
                                        ; implicit-def: $sgpr20_sgpr21
	s_branch .LBB45_2
.LBB45_22:
                                        ; implicit-def: $sgpr10_sgpr11
	s_load_b96 s[12:14], s[0:1], 0x44
	s_branch .LBB45_5
.LBB45_23:
	v_div_scale_f32 v0, null, v7, v7, v6
	s_wait_loadcnt 0x0
	s_delay_alu instid0(VALU_DEP_1) | instskip(NEXT) | instid1(TRANS32_DEP_1)
	v_rcp_f32_e32 v3, v0
	v_fma_f32 v4, -v0, v3, 1.0
	s_delay_alu instid0(VALU_DEP_1) | instskip(SKIP_1) | instid1(VALU_DEP_1)
	v_fmac_f32_e32 v3, v4, v3
	v_div_scale_f32 v4, vcc_lo, v6, v7, v6
	v_mul_f32_e32 v5, v4, v3
	s_delay_alu instid0(VALU_DEP_1) | instskip(NEXT) | instid1(VALU_DEP_1)
	v_fma_f32 v8, -v0, v5, v4
	v_fmac_f32_e32 v5, v8, v3
	s_delay_alu instid0(VALU_DEP_1) | instskip(SKIP_1) | instid1(VALU_DEP_1)
	v_fma_f32 v0, -v0, v5, v4
	s_wait_alu 0xfffd
	v_div_fmas_f32 v0, v0, v3, v5
	s_delay_alu instid0(VALU_DEP_1)
	v_div_fixup_f32 v0, v0, v7, v6
	global_store_b32 v[1:2], v0, off
.LBB45_24:
	s_endpgm
	.section	.rodata,"a",@progbits
	.p2align	6, 0x0
	.amdhsa_kernel _ZL33flash_attn_stream_k_fixup_generalILi256ELi32ELi1EEvPfPK15HIP_vector_typeIfLj2EEiiiiS1_IjLj3EES5_S5_S5_
		.amdhsa_group_segment_fixed_size 0
		.amdhsa_private_segment_fixed_size 0
		.amdhsa_kernarg_size 336
		.amdhsa_user_sgpr_count 2
		.amdhsa_user_sgpr_dispatch_ptr 0
		.amdhsa_user_sgpr_queue_ptr 0
		.amdhsa_user_sgpr_kernarg_segment_ptr 1
		.amdhsa_user_sgpr_dispatch_id 0
		.amdhsa_user_sgpr_private_segment_size 0
		.amdhsa_wavefront_size32 1
		.amdhsa_uses_dynamic_stack 0
		.amdhsa_enable_private_segment 0
		.amdhsa_system_sgpr_workgroup_id_x 1
		.amdhsa_system_sgpr_workgroup_id_y 1
		.amdhsa_system_sgpr_workgroup_id_z 1
		.amdhsa_system_sgpr_workgroup_info 0
		.amdhsa_system_vgpr_workitem_id 0
		.amdhsa_next_free_vgpr 9
		.amdhsa_next_free_sgpr 44
		.amdhsa_reserve_vcc 1
		.amdhsa_float_round_mode_32 0
		.amdhsa_float_round_mode_16_64 0
		.amdhsa_float_denorm_mode_32 3
		.amdhsa_float_denorm_mode_16_64 3
		.amdhsa_fp16_overflow 0
		.amdhsa_workgroup_processor_mode 1
		.amdhsa_memory_ordered 1
		.amdhsa_forward_progress 1
		.amdhsa_inst_pref_size 28
		.amdhsa_round_robin_scheduling 0
		.amdhsa_exception_fp_ieee_invalid_op 0
		.amdhsa_exception_fp_denorm_src 0
		.amdhsa_exception_fp_ieee_div_zero 0
		.amdhsa_exception_fp_ieee_overflow 0
		.amdhsa_exception_fp_ieee_underflow 0
		.amdhsa_exception_fp_ieee_inexact 0
		.amdhsa_exception_int_div_zero 0
	.end_amdhsa_kernel
	.section	.text._ZL33flash_attn_stream_k_fixup_generalILi256ELi32ELi1EEvPfPK15HIP_vector_typeIfLj2EEiiiiS1_IjLj3EES5_S5_S5_,"axG",@progbits,_ZL33flash_attn_stream_k_fixup_generalILi256ELi32ELi1EEvPfPK15HIP_vector_typeIfLj2EEiiiiS1_IjLj3EES5_S5_S5_,comdat
.Lfunc_end45:
	.size	_ZL33flash_attn_stream_k_fixup_generalILi256ELi32ELi1EEvPfPK15HIP_vector_typeIfLj2EEiiiiS1_IjLj3EES5_S5_S5_, .Lfunc_end45-_ZL33flash_attn_stream_k_fixup_generalILi256ELi32ELi1EEvPfPK15HIP_vector_typeIfLj2EEiiiiS1_IjLj3EES5_S5_S5_
                                        ; -- End function
	.set _ZL33flash_attn_stream_k_fixup_generalILi256ELi32ELi1EEvPfPK15HIP_vector_typeIfLj2EEiiiiS1_IjLj3EES5_S5_S5_.num_vgpr, 9
	.set _ZL33flash_attn_stream_k_fixup_generalILi256ELi32ELi1EEvPfPK15HIP_vector_typeIfLj2EEiiiiS1_IjLj3EES5_S5_S5_.num_agpr, 0
	.set _ZL33flash_attn_stream_k_fixup_generalILi256ELi32ELi1EEvPfPK15HIP_vector_typeIfLj2EEiiiiS1_IjLj3EES5_S5_S5_.numbered_sgpr, 44
	.set _ZL33flash_attn_stream_k_fixup_generalILi256ELi32ELi1EEvPfPK15HIP_vector_typeIfLj2EEiiiiS1_IjLj3EES5_S5_S5_.num_named_barrier, 0
	.set _ZL33flash_attn_stream_k_fixup_generalILi256ELi32ELi1EEvPfPK15HIP_vector_typeIfLj2EEiiiiS1_IjLj3EES5_S5_S5_.private_seg_size, 0
	.set _ZL33flash_attn_stream_k_fixup_generalILi256ELi32ELi1EEvPfPK15HIP_vector_typeIfLj2EEiiiiS1_IjLj3EES5_S5_S5_.uses_vcc, 1
	.set _ZL33flash_attn_stream_k_fixup_generalILi256ELi32ELi1EEvPfPK15HIP_vector_typeIfLj2EEiiiiS1_IjLj3EES5_S5_S5_.uses_flat_scratch, 0
	.set _ZL33flash_attn_stream_k_fixup_generalILi256ELi32ELi1EEvPfPK15HIP_vector_typeIfLj2EEiiiiS1_IjLj3EES5_S5_S5_.has_dyn_sized_stack, 0
	.set _ZL33flash_attn_stream_k_fixup_generalILi256ELi32ELi1EEvPfPK15HIP_vector_typeIfLj2EEiiiiS1_IjLj3EES5_S5_S5_.has_recursion, 0
	.set _ZL33flash_attn_stream_k_fixup_generalILi256ELi32ELi1EEvPfPK15HIP_vector_typeIfLj2EEiiiiS1_IjLj3EES5_S5_S5_.has_indirect_call, 0
	.section	.AMDGPU.csdata,"",@progbits
; Kernel info:
; codeLenInByte = 3556
; TotalNumSgprs: 46
; NumVgprs: 9
; ScratchSize: 0
; MemoryBound: 0
; FloatMode: 240
; IeeeMode: 1
; LDSByteSize: 0 bytes/workgroup (compile time only)
; SGPRBlocks: 0
; VGPRBlocks: 1
; NumSGPRsForWavesPerEU: 46
; NumVGPRsForWavesPerEU: 9
; Occupancy: 16
; WaveLimiterHint : 0
; COMPUTE_PGM_RSRC2:SCRATCH_EN: 0
; COMPUTE_PGM_RSRC2:USER_SGPR: 2
; COMPUTE_PGM_RSRC2:TRAP_HANDLER: 0
; COMPUTE_PGM_RSRC2:TGID_X_EN: 1
; COMPUTE_PGM_RSRC2:TGID_Y_EN: 1
; COMPUTE_PGM_RSRC2:TGID_Z_EN: 1
; COMPUTE_PGM_RSRC2:TIDIG_COMP_CNT: 0
	.section	.text._ZL15flash_attn_tileILi256ELi256ELi16ELi1ELb0EEvPKcS1_S1_S1_S1_PKiPfP15HIP_vector_typeIfLj2EEffffjfiS5_IjLj3EEiiiiiiiiiiiliiliiiiil,"axG",@progbits,_ZL15flash_attn_tileILi256ELi256ELi16ELi1ELb0EEvPKcS1_S1_S1_S1_PKiPfP15HIP_vector_typeIfLj2EEffffjfiS5_IjLj3EEiiiiiiiiiiiliiliiiiil,comdat
	.globl	_ZL15flash_attn_tileILi256ELi256ELi16ELi1ELb0EEvPKcS1_S1_S1_S1_PKiPfP15HIP_vector_typeIfLj2EEffffjfiS5_IjLj3EEiiiiiiiiiiiliiliiiiil ; -- Begin function _ZL15flash_attn_tileILi256ELi256ELi16ELi1ELb0EEvPKcS1_S1_S1_S1_PKiPfP15HIP_vector_typeIfLj2EEffffjfiS5_IjLj3EEiiiiiiiiiiiliiliiiiil
	.p2align	8
	.type	_ZL15flash_attn_tileILi256ELi256ELi16ELi1ELb0EEvPKcS1_S1_S1_S1_PKiPfP15HIP_vector_typeIfLj2EEffffjfiS5_IjLj3EEiiiiiiiiiiiliiliiiiil,@function
_ZL15flash_attn_tileILi256ELi256ELi16ELi1ELb0EEvPKcS1_S1_S1_S1_PKiPfP15HIP_vector_typeIfLj2EEffffjfiS5_IjLj3EEiiiiiiiiiiiliiliiiiil: ; @_ZL15flash_attn_tileILi256ELi256ELi16ELi1ELb0EEvPKcS1_S1_S1_S1_PKiPfP15HIP_vector_typeIfLj2EEffffjfiS5_IjLj3EEiiiiiiiiiiiliiliiiiil
; %bb.0:
	s_clause 0x1
	s_load_b128 s[20:23], s[0:1], 0x5c
	s_load_b64 s[2:3], s[0:1], 0x80
	s_lshr_b32 s6, ttmp7, 16
	s_load_b64 s[30:31], s[0:1], 0xb8
	s_mov_b32 s41, 0
	s_mov_b64 s[38:39], 0
	s_wait_kmcnt 0x0
	s_cvt_f32_u32 s4, s23
	s_sub_co_i32 s5, 0, s23
	s_delay_alu instid0(SALU_CYCLE_2) | instskip(NEXT) | instid1(TRANS32_DEP_1)
	v_rcp_iflag_f32_e32 v1, s4
	v_readfirstlane_b32 s4, v1
	s_mul_f32 s4, s4, 0x4f7ffffe
	s_wait_alu 0xfffe
	s_delay_alu instid0(SALU_CYCLE_2) | instskip(SKIP_1) | instid1(SALU_CYCLE_2)
	s_cvt_u32_f32 s4, s4
	s_wait_alu 0xfffe
	s_mul_i32 s5, s5, s4
	s_wait_alu 0xfffe
	s_mul_hi_u32 s5, s4, s5
	s_wait_alu 0xfffe
	s_add_co_i32 s4, s4, s5
	s_wait_alu 0xfffe
	s_mul_hi_u32 s4, s6, s4
	s_wait_alu 0xfffe
	s_mul_i32 s5, s4, s23
	s_add_co_i32 s7, s4, 1
	s_wait_alu 0xfffe
	s_sub_co_i32 s5, s6, s5
	s_wait_alu 0xfffe
	s_sub_co_i32 s8, s5, s23
	s_cmp_ge_u32 s5, s23
	s_cselect_b32 s4, s7, s4
	s_cselect_b32 s5, s8, s5
	s_wait_alu 0xfffe
	s_add_co_i32 s7, s4, 1
	s_cmp_ge_u32 s5, s23
	s_cselect_b32 s36, s7, s4
	s_abs_i32 s4, s3
	s_abs_i32 s9, s23
	s_wait_alu 0xfffe
	s_cvt_f32_u32 s5, s4
	s_sub_co_i32 s7, 0, s4
	s_mul_i32 s8, s36, s23
	s_xor_b32 s3, s23, s3
	s_wait_alu 0xfffe
	v_rcp_iflag_f32_e32 v1, s5
	s_sub_co_i32 s34, s6, s8
	s_ashr_i32 s3, s3, 31
	s_delay_alu instid0(TRANS32_DEP_1) | instskip(SKIP_2) | instid1(SALU_CYCLE_2)
	v_readfirstlane_b32 s5, v1
	s_mul_f32 s5, s5, 0x4f7ffffe
	s_wait_alu 0xfffe
	s_cvt_u32_f32 s5, s5
	s_wait_alu 0xfffe
	s_delay_alu instid0(SALU_CYCLE_2) | instskip(NEXT) | instid1(SALU_CYCLE_1)
	s_mul_i32 s7, s7, s5
	s_mul_hi_u32 s7, s5, s7
	s_delay_alu instid0(SALU_CYCLE_1)
	s_add_co_i32 s5, s5, s7
	s_wait_alu 0xfffe
	s_mul_hi_u32 s5, s9, s5
	s_wait_alu 0xfffe
	s_mul_i32 s6, s5, s4
	s_add_co_i32 s7, s5, 1
	s_sub_co_i32 s6, s9, s6
	s_delay_alu instid0(SALU_CYCLE_1)
	s_sub_co_i32 s8, s6, s4
	s_cmp_ge_u32 s6, s4
	s_cselect_b32 s5, s7, s5
	s_cselect_b32 s6, s8, s6
	s_wait_alu 0xfffe
	s_add_co_i32 s7, s5, 1
	s_cmp_ge_u32 s6, s4
	s_cselect_b32 s4, s7, s5
	s_abs_i32 s40, s34
	s_wait_alu 0xfffe
	s_xor_b32 s4, s4, s3
	s_wait_alu 0xfffe
	s_sub_co_i32 s37, s4, s3
	s_delay_alu instid0(SALU_CYCLE_1) | instskip(NEXT) | instid1(SALU_CYCLE_1)
	s_abs_i32 s3, s37
	s_cvt_f32_u32 s4, s3
	s_sub_co_i32 s25, 0, s3
	s_wait_alu 0xfffe
	s_delay_alu instid0(SALU_CYCLE_1) | instskip(SKIP_1) | instid1(TRANS32_DEP_1)
	v_rcp_iflag_f32_e32 v1, s4
	s_load_b512 s[4:19], s[0:1], 0x0
	v_readfirstlane_b32 s24, v1
	s_mul_f32 s24, s24, 0x4f7ffffe
	s_delay_alu instid0(SALU_CYCLE_3) | instskip(NEXT) | instid1(SALU_CYCLE_3)
	s_cvt_u32_f32 s24, s24
	s_mul_i32 s25, s25, s24
	s_delay_alu instid0(SALU_CYCLE_1) | instskip(NEXT) | instid1(SALU_CYCLE_1)
	s_mul_hi_u32 s25, s24, s25
	s_add_co_i32 s42, s24, s25
	s_wait_kmcnt 0x0
	s_cmp_eq_u64 s[10:11], 0
	s_cbranch_scc1 .LBB46_2
; %bb.1:
	s_abs_i32 s26, s30
	s_delay_alu instid0(SALU_CYCLE_1) | instskip(NEXT) | instid1(SALU_CYCLE_3)
	s_cvt_f32_u32 s24, s26
	v_rcp_iflag_f32_e32 v1, s24
	s_delay_alu instid0(TRANS32_DEP_1) | instskip(SKIP_2) | instid1(SALU_CYCLE_2)
	v_readfirstlane_b32 s24, v1
	s_mul_f32 s24, s24, 0x4f7ffffe
	s_wait_alu 0xfffe
	s_cvt_u32_f32 s27, s24
	s_sub_co_i32 s24, 0, s26
	s_wait_alu 0xfffe
	s_delay_alu instid0(SALU_CYCLE_1) | instskip(SKIP_4) | instid1(SALU_CYCLE_1)
	s_mul_i32 s24, s24, s27
	s_wait_alu 0xfffe
	s_mul_hi_u32 s28, s27, s24
	s_load_b64 s[24:25], s[0:1], 0xc8
	s_add_co_i32 s27, s27, s28
	s_mul_hi_u32 s27, s36, s27
	s_delay_alu instid0(SALU_CYCLE_1) | instskip(NEXT) | instid1(SALU_CYCLE_1)
	s_mul_i32 s27, s27, s26
	s_sub_co_i32 s27, s36, s27
	s_delay_alu instid0(SALU_CYCLE_1) | instskip(SKIP_2) | instid1(SALU_CYCLE_1)
	s_sub_co_i32 s28, s27, s26
	s_cmp_ge_u32 s27, s26
	s_cselect_b32 s27, s28, s27
	s_sub_co_i32 s28, s27, s26
	s_cmp_ge_u32 s27, s26
	s_cselect_b32 s26, s28, s27
	s_delay_alu instid0(SALU_CYCLE_1)
	s_ashr_i32 s27, s26, 31
	s_wait_kmcnt 0x0
	s_mul_u64 s[24:25], s[24:25], s[26:27]
	s_wait_alu 0xfffe
	s_add_nc_u64 s[38:39], s[10:11], s[24:25]
.LBB46_2:
	s_clause 0x1
	s_load_b128 s[24:27], s[0:1], 0x40
	s_load_b32 s10, s[0:1], 0x50
	v_mov_b32_e32 v40, 1.0
	s_mov_b32 s43, s41
	s_wait_kmcnt 0x0
	s_cmp_le_f32 s25, 0
	s_cbranch_scc1 .LBB46_4
; %bb.3:
	v_sub_co_u32 v1, s10, s34, s10
	s_and_b32 s25, s10, exec_lo
	s_cselect_b32 s25, s26, s27
	s_add_co_i32 s26, s34, 1
	v_readfirstlane_b32 s11, v1
	s_lshl_b32 s11, s11, 1
	s_wait_alu 0xfffe
	s_or_b32 s11, s11, 1
	s_and_b32 s10, s10, exec_lo
	s_wait_alu 0xfffe
	s_cselect_b32 s10, s26, s11
	s_cmp_neq_f32 s25, 1.0
	s_wait_alu 0xfffe
	s_cvt_f32_i32 s10, s10
	s_wait_alu 0xfffe
	s_delay_alu instid0(SALU_CYCLE_2)
	s_cselect_b32 s11, s10, 1.0
	s_wait_alu 0xfffe
	s_cmp_neq_f32 s11, 0
	s_cselect_b32 s10, s25, 1.0
	s_wait_alu 0xfffe
	v_frexp_mant_f32_e64 v1, |s10|
	s_delay_alu instid0(VALU_DEP_1) | instskip(SKIP_3) | instid1(SALU_CYCLE_1)
	v_readfirstlane_b32 s25, v1
	v_cvt_f64_f32_e64 v[1:2], |s10|
	s_cmp_lt_f32 s25, 0x3f2aaaab
	s_cselect_b32 s26, -1, 0
	s_and_b32 s27, s26, exec_lo
	s_cselect_b32 s27, 2.0, 1.0
	s_delay_alu instid0(SALU_CYCLE_1) | instskip(SKIP_1) | instid1(SALU_CYCLE_2)
	s_mul_f32 s25, s25, s27
	s_wait_alu 0xfffe
	s_add_f32 s27, s25, 1.0
	s_add_f32 s29, s25, -1.0
	s_delay_alu instid0(SALU_CYCLE_2) | instskip(SKIP_2) | instid1(SALU_CYCLE_2)
	v_s_rcp_f32 s28, s27
	s_add_f32 s35, s27, -1.0
	s_wait_alu 0xfffe
	s_sub_f32 s25, s25, s35
	s_delay_alu instid0(TRANS32_DEP_1) | instskip(NEXT) | instid1(SALU_CYCLE_3)
	s_mul_f32 s30, s29, s28
	s_mul_f32 s33, s27, s30
	s_delay_alu instid0(SALU_CYCLE_3) | instskip(NEXT) | instid1(VALU_DEP_1)
	s_xor_b32 s44, s33, 0x80000000
	v_frexp_exp_i32_f64_e32 v1, v[1:2]
	s_fmac_f32 s44, s30, s27
	s_wait_alu 0xfffe
	s_delay_alu instid0(SALU_CYCLE_2) | instskip(NEXT) | instid1(SALU_CYCLE_3)
	s_fmac_f32 s44, s30, s25
	s_add_f32 s25, s33, s44
	s_wait_alu 0xfffe
	s_delay_alu instid0(SALU_CYCLE_2) | instskip(SKIP_2) | instid1(SALU_CYCLE_1)
	s_sub_f32 s27, s29, s25
	s_sub_f32 s33, s25, s33
	s_wait_alu 0xfffe
	s_sub_f32 s29, s29, s27
	s_delay_alu instid0(SALU_CYCLE_1) | instskip(NEXT) | instid1(SALU_CYCLE_2)
	s_sub_f32 s33, s33, s44
	s_sub_f32 s25, s29, s25
	s_wait_alu 0xfffe
	s_delay_alu instid0(SALU_CYCLE_2) | instskip(SKIP_2) | instid1(SALU_CYCLE_1)
	s_add_f32 s25, s33, s25
	s_mov_b32 s33, 0x3e76c4e1
	s_wait_alu 0xfffe
	s_add_f32 s25, s27, s25
	s_wait_alu 0xfffe
	s_delay_alu instid0(SALU_CYCLE_2) | instskip(SKIP_1) | instid1(SALU_CYCLE_2)
	s_mul_f32 s25, s28, s25
	s_wait_alu 0xfffe
	s_add_f32 s27, s30, s25
	s_wait_alu 0xfffe
	s_delay_alu instid0(SALU_CYCLE_2) | instskip(SKIP_1) | instid1(SALU_CYCLE_2)
	s_sub_f32 s28, s27, s30
	s_mul_f32 s29, s27, s27
	s_sub_f32 s25, s25, s28
	s_delay_alu instid0(SALU_CYCLE_2) | instskip(NEXT) | instid1(SALU_CYCLE_1)
	s_xor_b32 s28, s29, 0x80000000
	s_fmac_f32 s28, s27, s27
	s_wait_alu 0xfffe
	s_add_f32 s30, s25, s25
	s_delay_alu instid0(SALU_CYCLE_3) | instskip(NEXT) | instid1(SALU_CYCLE_3)
	s_fmac_f32 s28, s27, s30
	s_add_f32 s30, s29, s28
	s_delay_alu instid0(SALU_CYCLE_3) | instskip(SKIP_1) | instid1(SALU_CYCLE_2)
	s_fmaak_f32 s33, s30, s33, 0x3e91f4c4
	s_sub_f32 s29, s30, s29
	s_fmaak_f32 s33, s30, s33, 0x3ecccdef
	s_delay_alu instid0(SALU_CYCLE_2) | instskip(SKIP_1) | instid1(SALU_CYCLE_1)
	s_sub_f32 s28, s28, s29
	s_mul_f32 s29, s27, s30
	s_mul_f32 s35, s30, s33
	s_delay_alu instid0(SALU_CYCLE_2) | instskip(SKIP_1) | instid1(SALU_CYCLE_1)
	s_xor_b32 s45, s29, 0x80000000
	s_wait_alu 0xfffe
	s_xor_b32 s44, s35, 0x80000000
	s_fmac_f32 s45, s30, s27
	s_fmac_f32 s44, s30, s33
	s_delay_alu instid0(SALU_CYCLE_2) | instskip(NEXT) | instid1(SALU_CYCLE_2)
	s_fmac_f32 s45, s30, s25
	s_fmac_f32 s44, s28, s33
	s_delay_alu instid0(SALU_CYCLE_2) | instskip(NEXT) | instid1(SALU_CYCLE_2)
	s_fmac_f32 s45, s28, s27
	s_add_f32 s33, s35, s44
	s_delay_alu instid0(SALU_CYCLE_3) | instskip(SKIP_2) | instid1(SALU_CYCLE_1)
	s_sub_f32 s35, s33, s35
	s_add_f32 s46, s33, 0x3f2aaaaa
	s_wait_alu 0xfffe
	s_sub_f32 s35, s44, s35
	s_delay_alu instid0(SALU_CYCLE_1) | instskip(SKIP_1) | instid1(SALU_CYCLE_1)
	s_add_f32 s44, s46, 0xbf2aaaaa
	s_wait_alu 0xfffe
	s_add_f32 s30, s35, 0x31739010
	s_delay_alu instid0(SALU_CYCLE_1) | instskip(NEXT) | instid1(SALU_CYCLE_3)
	s_sub_f32 s33, s33, s44
	s_add_f32 s28, s30, s33
	s_add_f32 s30, s29, s45
	s_delay_alu instid0(SALU_CYCLE_2) | instskip(NEXT) | instid1(SALU_CYCLE_2)
	s_add_f32 s33, s46, s28
	s_sub_f32 s29, s30, s29
	s_delay_alu instid0(SALU_CYCLE_2) | instskip(SKIP_1) | instid1(SALU_CYCLE_1)
	s_mul_f32 s35, s30, s33
	s_sub_f32 s44, s46, s33
	s_sub_f32 s29, s45, s29
	s_wait_alu 0xfffe
	s_xor_b32 s46, s35, 0x80000000
	s_add_f32 s28, s28, s44
	s_fmac_f32 s46, s30, s33
	v_readfirstlane_b32 s44, v1
	v_ldexp_f32 v1, s27, 1
	s_cmp_lg_u32 s26, 0
	s_fmac_f32 s46, s30, s28
	s_sub_co_ci_u32 s26, s44, 0
	s_delay_alu instid0(VALU_DEP_1) | instskip(NEXT) | instid1(SALU_CYCLE_1)
	v_readfirstlane_b32 s27, v1
	s_fmac_f32 s46, s29, s33
	s_wait_alu 0xfffe
	s_cvt_f32_i32 s26, s26
	v_ldexp_f32 v1, s25, 1
	s_add_f32 s28, s35, s46
	s_wait_alu 0xfffe
	s_mul_f32 s25, s26, 0x3f317218
	s_delay_alu instid0(VALU_DEP_1)
	v_readfirstlane_b32 s33, v1
	s_add_f32 s29, s27, s28
	s_sub_f32 s30, s28, s35
	s_wait_alu 0xfffe
	s_xor_b32 s35, s25, 0x80000000
	s_sub_f32 s27, s29, s27
	s_sub_f32 s30, s46, s30
	s_wait_alu 0xfffe
	s_fmamk_f32 s35, s26, 0x3f317218, s35
	s_sub_f32 s27, s28, s27
	s_add_f32 s28, s33, s30
	s_wait_alu 0xfffe
	s_fmamk_f32 s26, s26, 0xb102e308, s35
	s_delay_alu instid0(SALU_CYCLE_1) | instskip(SKIP_1) | instid1(SALU_CYCLE_1)
	s_add_f32 s27, s28, s27
	s_wait_alu 0xfffe
	s_add_f32 s28, s25, s26
	s_delay_alu instid0(SALU_CYCLE_1) | instskip(NEXT) | instid1(SALU_CYCLE_2)
	s_add_f32 s30, s29, s27
	s_sub_f32 s25, s28, s25
	s_delay_alu instid0(SALU_CYCLE_2)
	s_add_f32 s33, s28, s30
	s_sub_f32 s29, s30, s29
	s_wait_alu 0xfffe
	s_sub_f32 s25, s26, s25
	s_sub_f32 s35, s33, s28
	;; [unrolled: 1-line block ×3, first 2 shown]
	s_wait_alu 0xfffe
	s_delay_alu instid0(SALU_CYCLE_1) | instskip(SKIP_2) | instid1(SALU_CYCLE_1)
	s_sub_f32 s44, s33, s35
	s_sub_f32 s27, s30, s35
	s_add_f32 s29, s25, s26
	s_sub_f32 s28, s28, s44
	s_wait_alu 0xfffe
	s_delay_alu instid0(SALU_CYCLE_2) | instskip(SKIP_2) | instid1(SALU_CYCLE_1)
	s_add_f32 s27, s27, s28
	s_sub_f32 s28, s29, s25
	s_wait_alu 0xfffe
	s_add_f32 s27, s29, s27
	s_delay_alu instid0(SALU_CYCLE_1) | instskip(SKIP_4) | instid1(SALU_CYCLE_2)
	s_sub_f32 s29, s29, s28
	s_sub_f32 s26, s26, s28
	s_wait_alu 0xfffe
	s_add_f32 s30, s33, s27
	s_sub_f32 s25, s25, s29
	s_sub_f32 s28, s30, s33
	s_wait_alu 0xfffe
	s_delay_alu instid0(SALU_CYCLE_1) | instskip(NEXT) | instid1(SALU_CYCLE_1)
	s_add_f32 s25, s26, s25
	s_sub_f32 s26, s27, s28
	s_wait_alu 0xfffe
	s_delay_alu instid0(SALU_CYCLE_2) | instskip(SKIP_1) | instid1(SALU_CYCLE_2)
	s_add_f32 s25, s25, s26
	s_wait_alu 0xfffe
	s_add_f32 s26, s30, s25
	s_wait_alu 0xfffe
	s_delay_alu instid0(SALU_CYCLE_2) | instskip(SKIP_2) | instid1(SALU_CYCLE_1)
	s_mul_f32 s27, s11, s26
	s_sub_f32 s28, s26, s30
	s_wait_alu 0xfffe
	s_xor_b32 s29, s27, 0x80000000
	s_delay_alu instid0(SALU_CYCLE_1) | instskip(SKIP_2) | instid1(SALU_CYCLE_2)
	s_sub_f32 s25, s25, s28
	s_fmac_f32 s29, s11, s26
	s_wait_alu 0xfffe
	s_fmac_f32 s29, s11, s25
	v_cmp_class_f32_e64 s25, s27, 0x204
	s_delay_alu instid0(SALU_CYCLE_2) | instskip(SKIP_2) | instid1(SALU_CYCLE_1)
	s_add_f32 s26, s27, s29
	s_and_b32 s25, s25, exec_lo
	s_wait_alu 0xfffe
	s_sub_f32 s25, s26, s27
	s_cselect_b32 s26, s27, s26
	s_wait_alu 0xfffe
	s_and_b32 s27, s26, 0x7fffffff
	s_sub_f32 s25, s29, s25
	s_wait_alu 0xfffe
	s_cmp_neq_f32 s27, 0x7f800000
	s_delay_alu instid0(SALU_CYCLE_1)
	s_cselect_b32 s25, s25, 0
	s_cmp_eq_f32 s26, 0x42b17218
	s_cselect_b32 s27, 0x37000000, 0
	s_wait_alu 0xfffe
	s_sub_f32 s26, s26, s27
	s_add_f32 s25, s27, s25
	s_wait_alu 0xfffe
	s_delay_alu instid0(SALU_CYCLE_1) | instskip(NEXT) | instid1(SALU_CYCLE_3)
	s_mul_f32 s28, s26, 0x3fb8aa3b
	s_xor_b32 s29, s28, 0x80000000
	s_rndne_f32 s30, s28
	s_fmamk_f32 s29, s26, 0x3fb8aa3b, s29
	s_cmp_nlt_f32 s26, 0xc2ce8ed0
	s_delay_alu instid0(SALU_CYCLE_1) | instskip(NEXT) | instid1(SALU_CYCLE_1)
	s_sub_f32 s28, s28, s30
	s_fmamk_f32 s29, s26, 0x32a5705f, s29
	s_cselect_b32 vcc_lo, -1, 0
	s_cmp_ngt_f32 s26, 0x42b17218
	s_trunc_f32 s26, s11
	s_add_f32 s28, s28, s29
	s_cvt_i32_f32 s29, s30
	s_delay_alu instid0(SALU_CYCLE_2)
	v_s_exp_f32 s28, s28
	s_wait_alu 0xf1ff
	s_delay_alu instid0(TRANS32_DEP_1) | instid1(SALU_CYCLE_1)
	v_ldexp_f32 v1, s28, s29
	s_mul_f32 s28, s11, 0.5
	s_delay_alu instid0(VALU_DEP_1)
	v_cndmask_b32_e32 v1, 0, v1, vcc_lo
	s_cselect_b32 vcc_lo, -1, 0
	s_wait_alu 0xfffe
	s_cmp_eq_f32 s26, s11
	s_trunc_f32 s29, s28
	v_cndmask_b32_e32 v1, 0x7f800000, v1, vcc_lo
	s_cselect_b32 s30, -1, 0
	s_wait_alu 0xfffe
	s_cmp_neq_f32 s29, s28
	s_delay_alu instid0(VALU_DEP_1)
	v_fma_f32 v2, s25, v1, v1
	v_cmp_class_f32_e64 vcc_lo, v1, 0x204
	s_cselect_b32 s27, -1, 0
	s_wait_alu 0xfffe
	s_and_b32 s25, s30, s27
	s_wait_alu 0xfffd
	v_cndmask_b32_e32 v1, v2, v1, vcc_lo
	s_wait_alu 0xfffe
	s_and_b32 s27, s25, exec_lo
	s_cselect_b32 s27, s10, 1.0
	s_cmp_eq_f32 s26, s11
	v_cmp_class_f32_e64 s26, s10, 0x204
	s_wait_alu 0xfffe
	v_bfi_b32 v1, 0x7fffffff, v1, s27
	s_cselect_b32 vcc_lo, -1, 0
	s_cmp_lt_f32 s10, 0
	s_wait_alu 0xfffe
	s_delay_alu instid0(VALU_DEP_1) | instskip(SKIP_3) | instid1(VALU_DEP_1)
	v_cndmask_b32_e32 v2, 0x7fc00000, v1, vcc_lo
	s_cselect_b32 vcc_lo, -1, 0
	s_cmp_eq_f32 s10, 0
	s_wait_alu 0xfffe
	v_cndmask_b32_e32 v1, v1, v2, vcc_lo
	s_cselect_b32 s27, -1, 0
	s_wait_alu 0xfffe
	s_or_b32 vcc_lo, s27, s26
	s_cmp_lt_f32 s11, 0
	s_cselect_b32 s11, -1, 0
	s_wait_alu 0xfffe
	s_xor_b32 s11, s11, s27
	s_wait_alu 0xfffe
	s_and_b32 s11, s11, exec_lo
	s_cselect_b32 s11, 0, 0x7f800000
	s_and_b32 s25, s25, exec_lo
	s_cselect_b32 s25, s10, 0
	s_cmp_o_f32 s10, s10
	s_wait_alu 0xfffe
	v_mov_b32_e32 v2, s25
	s_delay_alu instid0(VALU_DEP_1) | instskip(NEXT) | instid1(VALU_DEP_1)
	v_bfi_b32 v2, 0x7fffffff, s11, v2
	v_cndmask_b32_e32 v1, v1, v2, vcc_lo
	s_cselect_b32 vcc_lo, -1, 0
	s_wait_alu 0xfffe
	s_delay_alu instid0(VALU_DEP_1)
	v_cndmask_b32_e32 v40, 0x7fc00000, v1, vcc_lo
.LBB46_4:
	v_bfe_u32 v35, v0, 10, 10
	s_lshl_b32 s33, ttmp9, 4
	s_load_b96 s[28:30], s[0:1], 0x70
	v_and_b32_e32 v27, 0x3ff, v0
	s_ashr_i32 s35, s34, 31
	v_dual_mov_b32 v43, 0 :: v_dual_lshlrev_b32 v24, 1, v35
	v_lshlrev_b32_e32 v42, 10, v35
	s_delay_alu instid0(VALU_DEP_3) | instskip(SKIP_1) | instid1(VALU_DEP_4)
	v_lshlrev_b32_e32 v31, 3, v27
	v_lshlrev_b32_e32 v25, 2, v27
	v_or_b32_e32 v22, 1, v24
	v_add_nc_u32_e32 v26, s33, v24
	s_delay_alu instid0(VALU_DEP_4) | instskip(NEXT) | instid1(VALU_DEP_3)
	v_add_nc_u32_e32 v16, 0x4200, v31
	v_add_nc_u32_e32 v23, s33, v22
	s_delay_alu instid0(VALU_DEP_3) | instskip(NEXT) | instid1(VALU_DEP_3)
	v_mul_hi_u32 v1, v26, s20
	v_add_nc_u32_e32 v17, v16, v42
	v_lshl_add_u32 v16, v22, 9, v16
	s_delay_alu instid0(VALU_DEP_4)
	v_mul_hi_u32 v2, v23, s20
	s_wait_kmcnt 0x0
	s_mul_i32 s10, s34, s29
	s_ashr_i32 s29, s28, 31
	s_wait_alu 0xfffe
	s_ashr_i32 s11, s10, 31
	s_lshr_b64 s[26:27], s[28:29], 2
	s_lshr_b32 s25, s29, 2
	s_mul_i32 s28, s36, s30
	v_add_nc_u32_e32 v2, v23, v2
	s_wait_alu 0xfffe
	s_ashr_i32 s29, s28, 31
	s_wait_alu 0xfffe
	s_add_nc_u64 s[4:5], s[4:5], s[28:29]
	s_wait_alu 0xfffe
	s_add_nc_u64 s[4:5], s[4:5], s[10:11]
	v_lshrrev_b32_e32 v3, s21, v2
	s_ashr_i32 s10, s37, 31
	s_mov_b32 s37, 0
	s_cmp_eq_u64 s[14:15], 0
	s_delay_alu instid0(VALU_DEP_1) | instskip(NEXT) | instid1(VALU_DEP_1)
	v_mul_lo_u32 v3, v3, s22
	v_sub_nc_u32_e32 v6, v23, v3
	s_delay_alu instid0(VALU_DEP_1) | instskip(NEXT) | instid1(VALU_DEP_1)
	v_mad_co_u64_u32 v[4:5], null, s26, v6, 0
	v_dual_mov_b32 v0, v5 :: v_dual_add_nc_u32 v1, v26, v1
	s_delay_alu instid0(VALU_DEP_1) | instskip(NEXT) | instid1(VALU_DEP_1)
	v_lshrrev_b32_e32 v1, s21, v1
	v_mul_lo_u32 v1, v1, s22
	s_delay_alu instid0(VALU_DEP_1) | instskip(NEXT) | instid1(VALU_DEP_1)
	v_sub_nc_u32_e32 v41, v26, v1
	v_mad_co_u64_u32 v[1:2], null, s26, v41, 0
	s_delay_alu instid0(VALU_DEP_1) | instskip(SKIP_2) | instid1(VALU_DEP_1)
	v_mad_co_u64_u32 v[2:3], null, s25, v41, v[2:3]
	v_lshlrev_b32_e32 v3, 4, v27
	s_wait_alu 0xfffe
	v_add_co_u32 v10, s4, s4, v3
	s_delay_alu instid0(VALU_DEP_3)
	v_lshlrev_b64_e32 v[1:2], 2, v[1:2]
	s_wait_alu 0xf1ff
	v_add_co_ci_u32_e64 v11, null, s5, 0, s4
	s_mul_u64 s[4:5], s[40:41], s[42:43]
	v_mad_co_u64_u32 v[5:6], null, s25, v6, v[0:1]
	v_add_co_u32 v6, vcc_lo, v10, v1
	s_wait_alu 0xfffd
	v_add_co_ci_u32_e64 v7, null, v11, v2, vcc_lo
	s_delay_alu instid0(VALU_DEP_3)
	v_lshlrev_b64_e32 v[8:9], 2, v[4:5]
	s_clause 0x1
	global_load_b128 v[0:3], v[6:7], off
	global_load_b128 v[4:7], v[6:7], off offset:512
	v_add_co_u32 v12, vcc_lo, v10, v8
	s_wait_alu 0xfffd
	v_add_co_ci_u32_e64 v13, null, v11, v9, vcc_lo
	s_clause 0x1
	global_load_b128 v[8:11], v[12:13], off
	global_load_b128 v[12:15], v[12:13], off offset:512
	s_wait_loadcnt 0x3
	v_fma_mixlo_f16 v0, s24, v0, 0
	v_fma_mixlo_f16 v1, s24, v1, 0
	;; [unrolled: 1-line block ×4, first 2 shown]
	s_wait_loadcnt 0x2
	v_fma_mixlo_f16 v4, s24, v4, 0
	v_fma_mixlo_f16 v5, s24, v5, 0
	;; [unrolled: 1-line block ×4, first 2 shown]
	v_lshlrev_b32_e32 v1, 16, v1
	v_and_b32_e32 v0, 0xffff, v0
	v_lshlrev_b32_e32 v3, 16, v3
	v_and_b32_e32 v2, 0xffff, v2
	;; [unrolled: 2-line block ×3, first 2 shown]
	s_wait_loadcnt 0x1
	v_fma_mixlo_f16 v8, s24, v8, 0
	v_fma_mixlo_f16 v9, s24, v9, 0
	s_wait_loadcnt 0x0
	v_fma_mixlo_f16 v12, s24, v12, 0
	v_fma_mixlo_f16 v13, s24, v13, 0
	v_lshlrev_b32_e32 v7, 16, v7
	v_and_b32_e32 v6, 0xffff, v6
	v_fma_mixlo_f16 v10, s24, v10, 0
	v_fma_mixlo_f16 v11, s24, v11, 0
	;; [unrolled: 1-line block ×4, first 2 shown]
	v_or_b32_e32 v0, v1, v0
	v_or3_b32 v1, v3, v2, 0
	v_or_b32_e32 v2, v5, v4
	v_lshlrev_b32_e32 v4, 16, v9
	v_and_b32_e32 v5, 0xffff, v8
	v_lshlrev_b32_e32 v8, 16, v13
	v_and_b32_e32 v9, 0xffff, v12
	v_or3_b32 v3, v7, v6, 0
	v_lshlrev_b32_e32 v6, 16, v11
	v_and_b32_e32 v7, 0xffff, v10
	v_lshlrev_b32_e32 v10, 16, v15
	v_and_b32_e32 v11, 0xffff, v14
	v_or_b32_e32 v4, v4, v5
	v_or_b32_e32 v8, v8, v9
	v_or3_b32 v0, 0, 0, v0
	v_or3_b32 v2, 0, 0, v2
	;; [unrolled: 1-line block ×6, first 2 shown]
	ds_store_2addr_b64 v17, v[0:1], v[2:3] offset1:32
	ds_store_2addr_b64 v16, v[4:5], v[6:7] offset1:32
	s_wait_dscnt 0x0
	s_barrier_signal -1
	s_barrier_wait -1
	global_inv scope:SCOPE_SE
	s_cbranch_scc1 .LBB46_6
; %bb.5:
	s_load_b32 s2, s[0:1], 0xd0
	s_mov_b32 s25, s37
	s_wait_kmcnt 0x0
	s_mul_i32 s2, s2, s36
	s_delay_alu instid0(SALU_CYCLE_1)
	s_add_co_i32 s24, s2, ttmp9
	s_wait_alu 0xfffe
	s_lshl_b64 s[24:25], s[24:25], 2
	s_wait_alu 0xfffe
	s_add_nc_u64 s[14:15], s[14:15], s[24:25]
	s_load_b32 s2, s[14:15], 0x0
.LBB46_6:
	s_clause 0x2
	s_load_b64 s[14:15], s[0:1], 0x8c
	s_load_b128 s[24:27], s[0:1], 0x98
	s_load_b64 s[42:43], s[0:1], 0xa8
	s_mul_i32 s4, s5, s3
	s_ashr_i32 s28, s31, 1
	s_wait_alu 0xfffe
	s_sub_co_i32 s40, s40, s4
	s_xor_b32 s11, s35, s10
	s_add_co_i32 s29, s5, 1
	s_sub_co_i32 s41, s40, s3
	v_lshlrev_b32_e32 v37, 2, v25
	v_mul_u32_u24_e32 v44, 0x210, v27
	v_mbcnt_lo_u32_b32 v28, -1, 0
	s_wait_kmcnt 0x0
	s_ashr_i32 s4, s14, 2
	s_ashr_i32 s10, s26, 2
	s_cmp_ge_u32 s40, s3
	s_mul_u64 s[30:31], s[42:43], s[36:37]
	s_wait_alu 0xfffe
	s_cselect_b32 s5, s29, s5
	s_add_nc_u64 s[30:31], s[8:9], s[30:31]
	s_cselect_b32 s8, s41, s40
	s_wait_alu 0xfffe
	s_add_co_i32 s9, s5, 1
	s_cmp_ge_u32 s8, s3
	v_mul_lo_u32 v2, s4, v35
	v_mul_lo_u32 v0, s10, v35
	s_cselect_b32 s5, s9, s5
	s_mul_u64 s[24:25], s[24:25], s[36:37]
	s_wait_alu 0xfffe
	s_xor_b32 s5, s5, s11
	s_and_b32 s8, ttmp7, 0xffff
	s_wait_alu 0xfffe
	s_sub_co_i32 s5, s5, s11
	s_add_nc_u64 s[6:7], s[6:7], s[24:25]
	s_wait_alu 0xfffe
	s_mul_i32 s14, s5, s15
	s_mul_i32 s26, s5, s27
	v_ashrrev_i32_e32 v3, 31, v2
	v_ashrrev_i32_e32 v1, 31, v0
	s_sub_co_i32 s3, s2, 32
	s_lshl_b32 s24, s8, 5
	s_ashr_i32 s15, s14, 31
	s_wait_alu 0xfffe
	s_ashr_i32 s27, s26, 31
	s_cmp_ge_i32 s24, s3
	s_add_nc_u64 s[6:7], s[6:7], s[14:15]
	s_wait_alu 0xfffe
	s_add_nc_u64 s[14:15], s[30:31], s[26:27]
	s_cbranch_scc1 .LBB46_15
; %bb.7:
	v_or_b32_e32 v6, 1, v26
	s_ashr_i32 s5, s4, 31
	s_lshl_b32 s11, s4, 3
	s_cmp_lg_u64 s[38:39], 0
	s_wait_alu 0xfffe
	v_dual_mov_b32 v33, 0 :: v_dual_add_nc_u32 v4, s11, v2
	v_mul_hi_u32 v5, s20, v6
	s_cselect_b32 s9, -1, 0
	s_lshl_b32 s25, s10, 3
	s_delay_alu instid0(VALU_DEP_2) | instskip(SKIP_2) | instid1(VALU_DEP_3)
	v_dual_mov_b32 v61, 0xfeffffff :: v_dual_add_nc_u32 v10, s11, v4
	s_wait_alu 0xfffe
	v_dual_mov_b32 v39, 0 :: v_dual_add_nc_u32 v16, s25, v0
	v_dual_mov_b32 v34, 0 :: v_dual_add_nc_u32 v5, v6, v5
	s_delay_alu instid0(VALU_DEP_3) | instskip(NEXT) | instid1(VALU_DEP_3)
	v_add_nc_u32_e32 v12, s11, v10
	v_add_nc_u32_e32 v18, s25, v16
	v_ashrrev_i32_e32 v17, 31, v16
	v_ashrrev_i32_e32 v11, 31, v10
	v_lshrrev_b32_e32 v5, s21, v5
	v_ashrrev_i32_e32 v13, 31, v12
	v_add_nc_u32_e32 v20, s25, v18
	v_ashrrev_i32_e32 v19, 31, v18
	v_mad_u32_u24 v46, 0x210, v35, v37
	v_mul_lo_u32 v7, v5, s22
	v_ashrrev_i32_e32 v5, 31, v4
	v_ashrrev_i32_e32 v21, 31, v20
	v_lshl_add_u32 v50, v35, 9, v37
	v_mul_lo_u32 v48, v41, s28
	v_lshlrev_b64_e32 v[10:11], 2, v[10:11]
	v_lshlrev_b64_e32 v[8:9], 2, v[4:5]
	;; [unrolled: 1-line block ×3, first 2 shown]
	v_sub_nc_u32_e32 v6, v6, v7
	v_lshlrev_b64_e32 v[14:15], 2, v[0:1]
	v_lshlrev_b64_e32 v[16:17], 2, v[16:17]
	;; [unrolled: 1-line block ×4, first 2 shown]
	v_mul_lo_u32 v57, v6, s28
	v_lshlrev_b64_e32 v[6:7], 2, v[2:3]
	v_dual_mov_b32 v32, 0 :: v_dual_add_nc_u32 v47, 0x4200, v42
	v_lshl_add_u32 v49, v35, 7, 0x6200
	v_dual_mov_b32 v59, 0 :: v_dual_mov_b32 v62, 0xfeffffff
	v_dual_mov_b32 v38, 0 :: v_dual_add_nc_u32 v51, 0x1080, v46
	v_dual_mov_b32 v29, 0 :: v_dual_add_nc_u32 v52, 0x2100, v46
	;; [unrolled: 1-line block ×3, first 2 shown]
	v_add_nc_u32_e32 v54, 0x1000, v50
	v_dual_mov_b32 v30, 0 :: v_dual_add_nc_u32 v55, 0x2000, v50
	v_add_nc_u32_e32 v56, 0x3000, v50
	v_mbcnt_lo_u32_b32 v58, -1, 0
	v_mov_b32_e32 v60, 0
	s_ashr_i32 s11, s10, 31
	s_add_nc_u64 s[26:27], s[0:1], 0xd0
.LBB46_8:                               ; =>This Inner Loop Header: Depth=1
	s_ashr_i32 s25, s24, 31
	s_wait_alu 0xfffe
	s_mul_u64 s[30:31], s[24:25], s[4:5]
	s_wait_alu 0xfffe
	s_lshl_b64 s[30:31], s[30:31], 2
	s_wait_alu 0xfffe
	s_add_nc_u64 s[30:31], s[6:7], s[30:31]
	s_wait_alu 0xfffe
	v_add_co_u32 v4, vcc_lo, s30, v6
	s_wait_alu 0xfffd
	v_add_co_ci_u32_e64 v5, null, s31, v7, vcc_lo
	v_add_co_u32 v43, vcc_lo, s30, v8
	s_wait_alu 0xfffd
	v_add_co_ci_u32_e64 v45, null, s31, v9, vcc_lo
	;; [unrolled: 3-line block ×8, first 2 shown]
	s_clause 0x3
	global_load_b128 v[63:66], v[4:5], off
	global_load_b128 v[67:70], v[67:68], off
	;; [unrolled: 1-line block ×4, first 2 shown]
	v_dual_mov_b32 v5, 0 :: v_dual_mov_b32 v4, 0
	s_and_not1_b32 vcc_lo, exec_lo, s9
	s_wait_loadcnt 0x3
	ds_store_b128 v46, v[63:66]
	s_wait_loadcnt 0x2
	ds_store_b128 v51, v[67:70]
	;; [unrolled: 2-line block ×4, first 2 shown]
	s_wait_dscnt 0x0
	s_barrier_signal -1
	s_barrier_wait -1
	global_inv scope:SCOPE_SE
	ds_load_b128 v[63:66], v44
	ds_load_b128 v[67:70], v47
	ds_load_b128 v[71:74], v47 offset:512
	s_wait_dscnt 0x1
	;;#ASMSTART
	v_dot2_f32_f16 v5, v63, v67, v5
	;;#ASMEND
	;;#ASMSTART
	v_dot2_f32_f16 v5, v64, v68, v5
	;;#ASMEND
	;;#ASMSTART
	v_dot2_f32_f16 v5, v65, v69, v5
	;;#ASMEND
	;;#ASMSTART
	v_dot2_f32_f16 v5, v66, v70, v5
	;;#ASMEND
	s_wait_dscnt 0x0
	;;#ASMSTART
	v_dot2_f32_f16 v4, v63, v71, v4
	;;#ASMEND
	;;#ASMSTART
	v_dot2_f32_f16 v4, v64, v72, v4
	;;#ASMEND
	;;#ASMSTART
	v_dot2_f32_f16 v4, v65, v73, v4
	;;#ASMEND
	;;#ASMSTART
	v_dot2_f32_f16 v4, v66, v74, v4
	;;#ASMEND
	ds_load_b128 v[63:66], v44 offset:16
	ds_load_b128 v[67:70], v47 offset:16
	ds_load_b128 v[71:74], v47 offset:528
	s_wait_dscnt 0x1
	;;#ASMSTART
	v_dot2_f32_f16 v5, v63, v67, v5
	;;#ASMEND
	;;#ASMSTART
	v_dot2_f32_f16 v5, v64, v68, v5
	;;#ASMEND
	;;#ASMSTART
	v_dot2_f32_f16 v5, v65, v69, v5
	;;#ASMEND
	;;#ASMSTART
	v_dot2_f32_f16 v5, v66, v70, v5
	;;#ASMEND
	s_wait_dscnt 0x0
	;;#ASMSTART
	v_dot2_f32_f16 v4, v63, v71, v4
	;;#ASMEND
	;;#ASMSTART
	v_dot2_f32_f16 v4, v64, v72, v4
	;;#ASMEND
	;;#ASMSTART
	v_dot2_f32_f16 v4, v65, v73, v4
	;;#ASMEND
	;;#ASMSTART
	v_dot2_f32_f16 v4, v66, v74, v4
	;;#ASMEND
	ds_load_b128 v[63:66], v44 offset:32
	ds_load_b128 v[67:70], v47 offset:32
	ds_load_b128 v[71:74], v47 offset:544
	s_wait_dscnt 0x1
	;;#ASMSTART
	v_dot2_f32_f16 v5, v63, v67, v5
	;;#ASMEND
	;;#ASMSTART
	v_dot2_f32_f16 v5, v64, v68, v5
	;;#ASMEND
	;;#ASMSTART
	v_dot2_f32_f16 v5, v65, v69, v5
	;;#ASMEND
	;;#ASMSTART
	v_dot2_f32_f16 v5, v66, v70, v5
	;;#ASMEND
	s_wait_dscnt 0x0
	;;#ASMSTART
	v_dot2_f32_f16 v4, v63, v71, v4
	;;#ASMEND
	;;#ASMSTART
	v_dot2_f32_f16 v4, v64, v72, v4
	;;#ASMEND
	;;#ASMSTART
	v_dot2_f32_f16 v4, v65, v73, v4
	;;#ASMEND
	;;#ASMSTART
	v_dot2_f32_f16 v4, v66, v74, v4
	;;#ASMEND
	ds_load_b128 v[63:66], v44 offset:48
	ds_load_b128 v[67:70], v47 offset:48
	ds_load_b128 v[71:74], v47 offset:560
	s_wait_dscnt 0x1
	;;#ASMSTART
	v_dot2_f32_f16 v5, v63, v67, v5
	;;#ASMEND
	;;#ASMSTART
	v_dot2_f32_f16 v5, v64, v68, v5
	;;#ASMEND
	;;#ASMSTART
	v_dot2_f32_f16 v5, v65, v69, v5
	;;#ASMEND
	;;#ASMSTART
	v_dot2_f32_f16 v5, v66, v70, v5
	;;#ASMEND
	s_wait_dscnt 0x0
	;;#ASMSTART
	v_dot2_f32_f16 v4, v63, v71, v4
	;;#ASMEND
	;;#ASMSTART
	v_dot2_f32_f16 v4, v64, v72, v4
	;;#ASMEND
	;;#ASMSTART
	v_dot2_f32_f16 v4, v65, v73, v4
	;;#ASMEND
	;;#ASMSTART
	v_dot2_f32_f16 v4, v66, v74, v4
	;;#ASMEND
	ds_load_b128 v[63:66], v44 offset:64
	ds_load_b128 v[67:70], v47 offset:64
	ds_load_b128 v[71:74], v47 offset:576
	s_wait_dscnt 0x1
	;;#ASMSTART
	v_dot2_f32_f16 v5, v63, v67, v5
	;;#ASMEND
	;;#ASMSTART
	v_dot2_f32_f16 v5, v64, v68, v5
	;;#ASMEND
	;;#ASMSTART
	v_dot2_f32_f16 v5, v65, v69, v5
	;;#ASMEND
	;;#ASMSTART
	v_dot2_f32_f16 v5, v66, v70, v5
	;;#ASMEND
	s_wait_dscnt 0x0
	;;#ASMSTART
	v_dot2_f32_f16 v4, v63, v71, v4
	;;#ASMEND
	;;#ASMSTART
	v_dot2_f32_f16 v4, v64, v72, v4
	;;#ASMEND
	;;#ASMSTART
	v_dot2_f32_f16 v4, v65, v73, v4
	;;#ASMEND
	;;#ASMSTART
	v_dot2_f32_f16 v4, v66, v74, v4
	;;#ASMEND
	ds_load_b128 v[63:66], v44 offset:80
	ds_load_b128 v[67:70], v47 offset:80
	ds_load_b128 v[71:74], v47 offset:592
	s_wait_dscnt 0x1
	;;#ASMSTART
	v_dot2_f32_f16 v5, v63, v67, v5
	;;#ASMEND
	;;#ASMSTART
	v_dot2_f32_f16 v5, v64, v68, v5
	;;#ASMEND
	;;#ASMSTART
	v_dot2_f32_f16 v5, v65, v69, v5
	;;#ASMEND
	;;#ASMSTART
	v_dot2_f32_f16 v5, v66, v70, v5
	;;#ASMEND
	s_wait_dscnt 0x0
	;;#ASMSTART
	v_dot2_f32_f16 v4, v63, v71, v4
	;;#ASMEND
	;;#ASMSTART
	v_dot2_f32_f16 v4, v64, v72, v4
	;;#ASMEND
	;;#ASMSTART
	v_dot2_f32_f16 v4, v65, v73, v4
	;;#ASMEND
	;;#ASMSTART
	v_dot2_f32_f16 v4, v66, v74, v4
	;;#ASMEND
	ds_load_b128 v[63:66], v44 offset:96
	ds_load_b128 v[67:70], v47 offset:96
	ds_load_b128 v[71:74], v47 offset:608
	s_wait_dscnt 0x1
	;;#ASMSTART
	v_dot2_f32_f16 v5, v63, v67, v5
	;;#ASMEND
	;;#ASMSTART
	v_dot2_f32_f16 v5, v64, v68, v5
	;;#ASMEND
	;;#ASMSTART
	v_dot2_f32_f16 v5, v65, v69, v5
	;;#ASMEND
	;;#ASMSTART
	v_dot2_f32_f16 v5, v66, v70, v5
	;;#ASMEND
	s_wait_dscnt 0x0
	;;#ASMSTART
	v_dot2_f32_f16 v4, v63, v71, v4
	;;#ASMEND
	;;#ASMSTART
	v_dot2_f32_f16 v4, v64, v72, v4
	;;#ASMEND
	;;#ASMSTART
	v_dot2_f32_f16 v4, v65, v73, v4
	;;#ASMEND
	;;#ASMSTART
	v_dot2_f32_f16 v4, v66, v74, v4
	;;#ASMEND
	ds_load_b128 v[63:66], v44 offset:112
	ds_load_b128 v[67:70], v47 offset:112
	ds_load_b128 v[71:74], v47 offset:624
	s_wait_dscnt 0x1
	;;#ASMSTART
	v_dot2_f32_f16 v5, v63, v67, v5
	;;#ASMEND
	;;#ASMSTART
	v_dot2_f32_f16 v5, v64, v68, v5
	;;#ASMEND
	;;#ASMSTART
	v_dot2_f32_f16 v5, v65, v69, v5
	;;#ASMEND
	;;#ASMSTART
	v_dot2_f32_f16 v5, v66, v70, v5
	;;#ASMEND
	s_wait_dscnt 0x0
	;;#ASMSTART
	v_dot2_f32_f16 v4, v63, v71, v4
	;;#ASMEND
	;;#ASMSTART
	v_dot2_f32_f16 v4, v64, v72, v4
	;;#ASMEND
	;;#ASMSTART
	v_dot2_f32_f16 v4, v65, v73, v4
	;;#ASMEND
	;;#ASMSTART
	v_dot2_f32_f16 v4, v66, v74, v4
	;;#ASMEND
	ds_load_b128 v[63:66], v44 offset:128
	ds_load_b128 v[67:70], v47 offset:128
	ds_load_b128 v[71:74], v47 offset:640
	s_wait_dscnt 0x1
	;;#ASMSTART
	v_dot2_f32_f16 v5, v63, v67, v5
	;;#ASMEND
	;;#ASMSTART
	v_dot2_f32_f16 v5, v64, v68, v5
	;;#ASMEND
	;;#ASMSTART
	v_dot2_f32_f16 v5, v65, v69, v5
	;;#ASMEND
	;;#ASMSTART
	v_dot2_f32_f16 v5, v66, v70, v5
	;;#ASMEND
	s_wait_dscnt 0x0
	;;#ASMSTART
	v_dot2_f32_f16 v4, v63, v71, v4
	;;#ASMEND
	;;#ASMSTART
	v_dot2_f32_f16 v4, v64, v72, v4
	;;#ASMEND
	;;#ASMSTART
	v_dot2_f32_f16 v4, v65, v73, v4
	;;#ASMEND
	;;#ASMSTART
	v_dot2_f32_f16 v4, v66, v74, v4
	;;#ASMEND
	ds_load_b128 v[63:66], v44 offset:144
	ds_load_b128 v[67:70], v47 offset:144
	ds_load_b128 v[71:74], v47 offset:656
	s_wait_dscnt 0x1
	;;#ASMSTART
	v_dot2_f32_f16 v5, v63, v67, v5
	;;#ASMEND
	;;#ASMSTART
	v_dot2_f32_f16 v5, v64, v68, v5
	;;#ASMEND
	;;#ASMSTART
	v_dot2_f32_f16 v5, v65, v69, v5
	;;#ASMEND
	;;#ASMSTART
	v_dot2_f32_f16 v5, v66, v70, v5
	;;#ASMEND
	s_wait_dscnt 0x0
	;;#ASMSTART
	v_dot2_f32_f16 v4, v63, v71, v4
	;;#ASMEND
	;;#ASMSTART
	v_dot2_f32_f16 v4, v64, v72, v4
	;;#ASMEND
	;;#ASMSTART
	v_dot2_f32_f16 v4, v65, v73, v4
	;;#ASMEND
	;;#ASMSTART
	v_dot2_f32_f16 v4, v66, v74, v4
	;;#ASMEND
	ds_load_b128 v[63:66], v44 offset:160
	ds_load_b128 v[67:70], v47 offset:160
	ds_load_b128 v[71:74], v47 offset:672
	s_wait_dscnt 0x1
	;;#ASMSTART
	v_dot2_f32_f16 v5, v63, v67, v5
	;;#ASMEND
	;;#ASMSTART
	v_dot2_f32_f16 v5, v64, v68, v5
	;;#ASMEND
	;;#ASMSTART
	v_dot2_f32_f16 v5, v65, v69, v5
	;;#ASMEND
	;;#ASMSTART
	v_dot2_f32_f16 v5, v66, v70, v5
	;;#ASMEND
	s_wait_dscnt 0x0
	;;#ASMSTART
	v_dot2_f32_f16 v4, v63, v71, v4
	;;#ASMEND
	;;#ASMSTART
	v_dot2_f32_f16 v4, v64, v72, v4
	;;#ASMEND
	;;#ASMSTART
	v_dot2_f32_f16 v4, v65, v73, v4
	;;#ASMEND
	;;#ASMSTART
	v_dot2_f32_f16 v4, v66, v74, v4
	;;#ASMEND
	ds_load_b128 v[63:66], v44 offset:176
	ds_load_b128 v[67:70], v47 offset:176
	ds_load_b128 v[71:74], v47 offset:688
	s_wait_dscnt 0x1
	;;#ASMSTART
	v_dot2_f32_f16 v5, v63, v67, v5
	;;#ASMEND
	;;#ASMSTART
	v_dot2_f32_f16 v5, v64, v68, v5
	;;#ASMEND
	;;#ASMSTART
	v_dot2_f32_f16 v5, v65, v69, v5
	;;#ASMEND
	;;#ASMSTART
	v_dot2_f32_f16 v5, v66, v70, v5
	;;#ASMEND
	s_wait_dscnt 0x0
	;;#ASMSTART
	v_dot2_f32_f16 v4, v63, v71, v4
	;;#ASMEND
	;;#ASMSTART
	v_dot2_f32_f16 v4, v64, v72, v4
	;;#ASMEND
	;;#ASMSTART
	v_dot2_f32_f16 v4, v65, v73, v4
	;;#ASMEND
	;;#ASMSTART
	v_dot2_f32_f16 v4, v66, v74, v4
	;;#ASMEND
	ds_load_b128 v[63:66], v44 offset:192
	ds_load_b128 v[67:70], v47 offset:192
	ds_load_b128 v[71:74], v47 offset:704
	s_wait_dscnt 0x1
	;;#ASMSTART
	v_dot2_f32_f16 v5, v63, v67, v5
	;;#ASMEND
	;;#ASMSTART
	v_dot2_f32_f16 v5, v64, v68, v5
	;;#ASMEND
	;;#ASMSTART
	v_dot2_f32_f16 v5, v65, v69, v5
	;;#ASMEND
	;;#ASMSTART
	v_dot2_f32_f16 v5, v66, v70, v5
	;;#ASMEND
	s_wait_dscnt 0x0
	;;#ASMSTART
	v_dot2_f32_f16 v4, v63, v71, v4
	;;#ASMEND
	;;#ASMSTART
	v_dot2_f32_f16 v4, v64, v72, v4
	;;#ASMEND
	;;#ASMSTART
	v_dot2_f32_f16 v4, v65, v73, v4
	;;#ASMEND
	;;#ASMSTART
	v_dot2_f32_f16 v4, v66, v74, v4
	;;#ASMEND
	ds_load_b128 v[63:66], v44 offset:208
	ds_load_b128 v[67:70], v47 offset:208
	ds_load_b128 v[71:74], v47 offset:720
	s_wait_dscnt 0x1
	;;#ASMSTART
	v_dot2_f32_f16 v5, v63, v67, v5
	;;#ASMEND
	;;#ASMSTART
	v_dot2_f32_f16 v5, v64, v68, v5
	;;#ASMEND
	;;#ASMSTART
	v_dot2_f32_f16 v5, v65, v69, v5
	;;#ASMEND
	;;#ASMSTART
	v_dot2_f32_f16 v5, v66, v70, v5
	;;#ASMEND
	s_wait_dscnt 0x0
	;;#ASMSTART
	v_dot2_f32_f16 v4, v63, v71, v4
	;;#ASMEND
	;;#ASMSTART
	v_dot2_f32_f16 v4, v64, v72, v4
	;;#ASMEND
	;;#ASMSTART
	v_dot2_f32_f16 v4, v65, v73, v4
	;;#ASMEND
	;;#ASMSTART
	v_dot2_f32_f16 v4, v66, v74, v4
	;;#ASMEND
	ds_load_b128 v[63:66], v44 offset:224
	ds_load_b128 v[67:70], v47 offset:224
	ds_load_b128 v[71:74], v47 offset:736
	s_wait_dscnt 0x1
	;;#ASMSTART
	v_dot2_f32_f16 v5, v63, v67, v5
	;;#ASMEND
	;;#ASMSTART
	v_dot2_f32_f16 v5, v64, v68, v5
	;;#ASMEND
	;;#ASMSTART
	v_dot2_f32_f16 v5, v65, v69, v5
	;;#ASMEND
	;;#ASMSTART
	v_dot2_f32_f16 v5, v66, v70, v5
	;;#ASMEND
	s_wait_dscnt 0x0
	;;#ASMSTART
	v_dot2_f32_f16 v4, v63, v71, v4
	;;#ASMEND
	;;#ASMSTART
	v_dot2_f32_f16 v4, v64, v72, v4
	;;#ASMEND
	;;#ASMSTART
	v_dot2_f32_f16 v4, v65, v73, v4
	;;#ASMEND
	;;#ASMSTART
	v_dot2_f32_f16 v4, v66, v74, v4
	;;#ASMEND
	ds_load_b128 v[63:66], v44 offset:240
	ds_load_b128 v[67:70], v47 offset:240
	ds_load_b128 v[71:74], v47 offset:752
	s_wait_dscnt 0x1
	;;#ASMSTART
	v_dot2_f32_f16 v5, v63, v67, v5
	;;#ASMEND
	;;#ASMSTART
	v_dot2_f32_f16 v5, v64, v68, v5
	;;#ASMEND
	;;#ASMSTART
	v_dot2_f32_f16 v5, v65, v69, v5
	;;#ASMEND
	;;#ASMSTART
	v_dot2_f32_f16 v5, v66, v70, v5
	;;#ASMEND
	s_wait_dscnt 0x0
	;;#ASMSTART
	v_dot2_f32_f16 v4, v63, v71, v4
	;;#ASMEND
	;;#ASMSTART
	v_dot2_f32_f16 v4, v64, v72, v4
	;;#ASMEND
	;;#ASMSTART
	v_dot2_f32_f16 v4, v65, v73, v4
	;;#ASMEND
	;;#ASMSTART
	v_dot2_f32_f16 v4, v66, v74, v4
	;;#ASMEND
	ds_load_b128 v[63:66], v44 offset:256
	ds_load_b128 v[67:70], v47 offset:256
	ds_load_b128 v[71:74], v47 offset:768
	s_wait_dscnt 0x1
	;;#ASMSTART
	v_dot2_f32_f16 v5, v63, v67, v5
	;;#ASMEND
	;;#ASMSTART
	v_dot2_f32_f16 v5, v64, v68, v5
	;;#ASMEND
	;;#ASMSTART
	v_dot2_f32_f16 v5, v65, v69, v5
	;;#ASMEND
	;;#ASMSTART
	v_dot2_f32_f16 v5, v66, v70, v5
	;;#ASMEND
	s_wait_dscnt 0x0
	;;#ASMSTART
	v_dot2_f32_f16 v4, v63, v71, v4
	;;#ASMEND
	;;#ASMSTART
	v_dot2_f32_f16 v4, v64, v72, v4
	;;#ASMEND
	;;#ASMSTART
	v_dot2_f32_f16 v4, v65, v73, v4
	;;#ASMEND
	;;#ASMSTART
	v_dot2_f32_f16 v4, v66, v74, v4
	;;#ASMEND
	ds_load_b128 v[63:66], v44 offset:272
	ds_load_b128 v[67:70], v47 offset:272
	ds_load_b128 v[71:74], v47 offset:784
	s_wait_dscnt 0x1
	;;#ASMSTART
	v_dot2_f32_f16 v5, v63, v67, v5
	;;#ASMEND
	;;#ASMSTART
	v_dot2_f32_f16 v5, v64, v68, v5
	;;#ASMEND
	;;#ASMSTART
	v_dot2_f32_f16 v5, v65, v69, v5
	;;#ASMEND
	;;#ASMSTART
	v_dot2_f32_f16 v5, v66, v70, v5
	;;#ASMEND
	s_wait_dscnt 0x0
	;;#ASMSTART
	v_dot2_f32_f16 v4, v63, v71, v4
	;;#ASMEND
	;;#ASMSTART
	v_dot2_f32_f16 v4, v64, v72, v4
	;;#ASMEND
	;;#ASMSTART
	v_dot2_f32_f16 v4, v65, v73, v4
	;;#ASMEND
	;;#ASMSTART
	v_dot2_f32_f16 v4, v66, v74, v4
	;;#ASMEND
	ds_load_b128 v[63:66], v44 offset:288
	ds_load_b128 v[67:70], v47 offset:288
	ds_load_b128 v[71:74], v47 offset:800
	s_wait_dscnt 0x1
	;;#ASMSTART
	v_dot2_f32_f16 v5, v63, v67, v5
	;;#ASMEND
	;;#ASMSTART
	v_dot2_f32_f16 v5, v64, v68, v5
	;;#ASMEND
	;;#ASMSTART
	v_dot2_f32_f16 v5, v65, v69, v5
	;;#ASMEND
	;;#ASMSTART
	v_dot2_f32_f16 v5, v66, v70, v5
	;;#ASMEND
	s_wait_dscnt 0x0
	;;#ASMSTART
	v_dot2_f32_f16 v4, v63, v71, v4
	;;#ASMEND
	;;#ASMSTART
	v_dot2_f32_f16 v4, v64, v72, v4
	;;#ASMEND
	;;#ASMSTART
	v_dot2_f32_f16 v4, v65, v73, v4
	;;#ASMEND
	;;#ASMSTART
	v_dot2_f32_f16 v4, v66, v74, v4
	;;#ASMEND
	ds_load_b128 v[63:66], v44 offset:304
	ds_load_b128 v[67:70], v47 offset:304
	ds_load_b128 v[71:74], v47 offset:816
	s_wait_dscnt 0x1
	;;#ASMSTART
	v_dot2_f32_f16 v5, v63, v67, v5
	;;#ASMEND
	;;#ASMSTART
	v_dot2_f32_f16 v5, v64, v68, v5
	;;#ASMEND
	;;#ASMSTART
	v_dot2_f32_f16 v5, v65, v69, v5
	;;#ASMEND
	;;#ASMSTART
	v_dot2_f32_f16 v5, v66, v70, v5
	;;#ASMEND
	s_wait_dscnt 0x0
	;;#ASMSTART
	v_dot2_f32_f16 v4, v63, v71, v4
	;;#ASMEND
	;;#ASMSTART
	v_dot2_f32_f16 v4, v64, v72, v4
	;;#ASMEND
	;;#ASMSTART
	v_dot2_f32_f16 v4, v65, v73, v4
	;;#ASMEND
	;;#ASMSTART
	v_dot2_f32_f16 v4, v66, v74, v4
	;;#ASMEND
	ds_load_b128 v[63:66], v44 offset:320
	ds_load_b128 v[67:70], v47 offset:320
	ds_load_b128 v[71:74], v47 offset:832
	s_wait_dscnt 0x1
	;;#ASMSTART
	v_dot2_f32_f16 v5, v63, v67, v5
	;;#ASMEND
	;;#ASMSTART
	v_dot2_f32_f16 v5, v64, v68, v5
	;;#ASMEND
	;;#ASMSTART
	v_dot2_f32_f16 v5, v65, v69, v5
	;;#ASMEND
	;;#ASMSTART
	v_dot2_f32_f16 v5, v66, v70, v5
	;;#ASMEND
	s_wait_dscnt 0x0
	;;#ASMSTART
	v_dot2_f32_f16 v4, v63, v71, v4
	;;#ASMEND
	;;#ASMSTART
	v_dot2_f32_f16 v4, v64, v72, v4
	;;#ASMEND
	;;#ASMSTART
	v_dot2_f32_f16 v4, v65, v73, v4
	;;#ASMEND
	;;#ASMSTART
	v_dot2_f32_f16 v4, v66, v74, v4
	;;#ASMEND
	ds_load_b128 v[63:66], v44 offset:336
	ds_load_b128 v[67:70], v47 offset:336
	ds_load_b128 v[71:74], v47 offset:848
	s_wait_dscnt 0x1
	;;#ASMSTART
	v_dot2_f32_f16 v5, v63, v67, v5
	;;#ASMEND
	;;#ASMSTART
	v_dot2_f32_f16 v5, v64, v68, v5
	;;#ASMEND
	;;#ASMSTART
	v_dot2_f32_f16 v5, v65, v69, v5
	;;#ASMEND
	;;#ASMSTART
	v_dot2_f32_f16 v5, v66, v70, v5
	;;#ASMEND
	s_wait_dscnt 0x0
	;;#ASMSTART
	v_dot2_f32_f16 v4, v63, v71, v4
	;;#ASMEND
	;;#ASMSTART
	v_dot2_f32_f16 v4, v64, v72, v4
	;;#ASMEND
	;;#ASMSTART
	v_dot2_f32_f16 v4, v65, v73, v4
	;;#ASMEND
	;;#ASMSTART
	v_dot2_f32_f16 v4, v66, v74, v4
	;;#ASMEND
	ds_load_b128 v[63:66], v44 offset:352
	ds_load_b128 v[67:70], v47 offset:352
	ds_load_b128 v[71:74], v47 offset:864
	s_wait_dscnt 0x1
	;;#ASMSTART
	v_dot2_f32_f16 v5, v63, v67, v5
	;;#ASMEND
	;;#ASMSTART
	v_dot2_f32_f16 v5, v64, v68, v5
	;;#ASMEND
	;;#ASMSTART
	v_dot2_f32_f16 v5, v65, v69, v5
	;;#ASMEND
	;;#ASMSTART
	v_dot2_f32_f16 v5, v66, v70, v5
	;;#ASMEND
	s_wait_dscnt 0x0
	;;#ASMSTART
	v_dot2_f32_f16 v4, v63, v71, v4
	;;#ASMEND
	;;#ASMSTART
	v_dot2_f32_f16 v4, v64, v72, v4
	;;#ASMEND
	;;#ASMSTART
	v_dot2_f32_f16 v4, v65, v73, v4
	;;#ASMEND
	;;#ASMSTART
	v_dot2_f32_f16 v4, v66, v74, v4
	;;#ASMEND
	ds_load_b128 v[63:66], v44 offset:368
	ds_load_b128 v[67:70], v47 offset:368
	ds_load_b128 v[71:74], v47 offset:880
	s_wait_dscnt 0x1
	;;#ASMSTART
	v_dot2_f32_f16 v5, v63, v67, v5
	;;#ASMEND
	;;#ASMSTART
	v_dot2_f32_f16 v5, v64, v68, v5
	;;#ASMEND
	;;#ASMSTART
	v_dot2_f32_f16 v5, v65, v69, v5
	;;#ASMEND
	;;#ASMSTART
	v_dot2_f32_f16 v5, v66, v70, v5
	;;#ASMEND
	s_wait_dscnt 0x0
	;;#ASMSTART
	v_dot2_f32_f16 v4, v63, v71, v4
	;;#ASMEND
	;;#ASMSTART
	v_dot2_f32_f16 v4, v64, v72, v4
	;;#ASMEND
	;;#ASMSTART
	v_dot2_f32_f16 v4, v65, v73, v4
	;;#ASMEND
	;;#ASMSTART
	v_dot2_f32_f16 v4, v66, v74, v4
	;;#ASMEND
	ds_load_b128 v[63:66], v44 offset:384
	ds_load_b128 v[67:70], v47 offset:384
	ds_load_b128 v[71:74], v47 offset:896
	s_wait_dscnt 0x1
	;;#ASMSTART
	v_dot2_f32_f16 v5, v63, v67, v5
	;;#ASMEND
	;;#ASMSTART
	v_dot2_f32_f16 v5, v64, v68, v5
	;;#ASMEND
	;;#ASMSTART
	v_dot2_f32_f16 v5, v65, v69, v5
	;;#ASMEND
	;;#ASMSTART
	v_dot2_f32_f16 v5, v66, v70, v5
	;;#ASMEND
	s_wait_dscnt 0x0
	;;#ASMSTART
	v_dot2_f32_f16 v4, v63, v71, v4
	;;#ASMEND
	;;#ASMSTART
	v_dot2_f32_f16 v4, v64, v72, v4
	;;#ASMEND
	;;#ASMSTART
	v_dot2_f32_f16 v4, v65, v73, v4
	;;#ASMEND
	;;#ASMSTART
	v_dot2_f32_f16 v4, v66, v74, v4
	;;#ASMEND
	ds_load_b128 v[63:66], v44 offset:400
	ds_load_b128 v[67:70], v47 offset:400
	ds_load_b128 v[71:74], v47 offset:912
	s_wait_dscnt 0x1
	;;#ASMSTART
	v_dot2_f32_f16 v5, v63, v67, v5
	;;#ASMEND
	;;#ASMSTART
	v_dot2_f32_f16 v5, v64, v68, v5
	;;#ASMEND
	;;#ASMSTART
	v_dot2_f32_f16 v5, v65, v69, v5
	;;#ASMEND
	;;#ASMSTART
	v_dot2_f32_f16 v5, v66, v70, v5
	;;#ASMEND
	s_wait_dscnt 0x0
	;;#ASMSTART
	v_dot2_f32_f16 v4, v63, v71, v4
	;;#ASMEND
	;;#ASMSTART
	v_dot2_f32_f16 v4, v64, v72, v4
	;;#ASMEND
	;;#ASMSTART
	v_dot2_f32_f16 v4, v65, v73, v4
	;;#ASMEND
	;;#ASMSTART
	v_dot2_f32_f16 v4, v66, v74, v4
	;;#ASMEND
	ds_load_b128 v[63:66], v44 offset:416
	ds_load_b128 v[67:70], v47 offset:416
	ds_load_b128 v[71:74], v47 offset:928
	s_wait_dscnt 0x1
	;;#ASMSTART
	v_dot2_f32_f16 v5, v63, v67, v5
	;;#ASMEND
	;;#ASMSTART
	v_dot2_f32_f16 v5, v64, v68, v5
	;;#ASMEND
	;;#ASMSTART
	v_dot2_f32_f16 v5, v65, v69, v5
	;;#ASMEND
	;;#ASMSTART
	v_dot2_f32_f16 v5, v66, v70, v5
	;;#ASMEND
	s_wait_dscnt 0x0
	;;#ASMSTART
	v_dot2_f32_f16 v4, v63, v71, v4
	;;#ASMEND
	;;#ASMSTART
	v_dot2_f32_f16 v4, v64, v72, v4
	;;#ASMEND
	;;#ASMSTART
	v_dot2_f32_f16 v4, v65, v73, v4
	;;#ASMEND
	;;#ASMSTART
	v_dot2_f32_f16 v4, v66, v74, v4
	;;#ASMEND
	ds_load_b128 v[63:66], v44 offset:432
	ds_load_b128 v[67:70], v47 offset:432
	ds_load_b128 v[71:74], v47 offset:944
	s_wait_dscnt 0x1
	;;#ASMSTART
	v_dot2_f32_f16 v5, v63, v67, v5
	;;#ASMEND
	;;#ASMSTART
	v_dot2_f32_f16 v5, v64, v68, v5
	;;#ASMEND
	;;#ASMSTART
	v_dot2_f32_f16 v5, v65, v69, v5
	;;#ASMEND
	;;#ASMSTART
	v_dot2_f32_f16 v5, v66, v70, v5
	;;#ASMEND
	s_wait_dscnt 0x0
	;;#ASMSTART
	v_dot2_f32_f16 v4, v63, v71, v4
	;;#ASMEND
	;;#ASMSTART
	v_dot2_f32_f16 v4, v64, v72, v4
	;;#ASMEND
	;;#ASMSTART
	v_dot2_f32_f16 v4, v65, v73, v4
	;;#ASMEND
	;;#ASMSTART
	v_dot2_f32_f16 v4, v66, v74, v4
	;;#ASMEND
	ds_load_b128 v[63:66], v44 offset:448
	ds_load_b128 v[67:70], v47 offset:448
	ds_load_b128 v[71:74], v47 offset:960
	s_wait_dscnt 0x1
	;;#ASMSTART
	v_dot2_f32_f16 v5, v63, v67, v5
	;;#ASMEND
	;;#ASMSTART
	v_dot2_f32_f16 v5, v64, v68, v5
	;;#ASMEND
	;;#ASMSTART
	v_dot2_f32_f16 v5, v65, v69, v5
	;;#ASMEND
	;;#ASMSTART
	v_dot2_f32_f16 v5, v66, v70, v5
	;;#ASMEND
	s_wait_dscnt 0x0
	;;#ASMSTART
	v_dot2_f32_f16 v4, v63, v71, v4
	;;#ASMEND
	;;#ASMSTART
	v_dot2_f32_f16 v4, v64, v72, v4
	;;#ASMEND
	;;#ASMSTART
	v_dot2_f32_f16 v4, v65, v73, v4
	;;#ASMEND
	;;#ASMSTART
	v_dot2_f32_f16 v4, v66, v74, v4
	;;#ASMEND
	ds_load_b128 v[63:66], v44 offset:464
	ds_load_b128 v[67:70], v47 offset:464
	ds_load_b128 v[71:74], v47 offset:976
	s_wait_dscnt 0x1
	;;#ASMSTART
	v_dot2_f32_f16 v5, v63, v67, v5
	;;#ASMEND
	;;#ASMSTART
	v_dot2_f32_f16 v5, v64, v68, v5
	;;#ASMEND
	;;#ASMSTART
	v_dot2_f32_f16 v5, v65, v69, v5
	;;#ASMEND
	;;#ASMSTART
	v_dot2_f32_f16 v5, v66, v70, v5
	;;#ASMEND
	s_wait_dscnt 0x0
	;;#ASMSTART
	v_dot2_f32_f16 v4, v63, v71, v4
	;;#ASMEND
	;;#ASMSTART
	v_dot2_f32_f16 v4, v64, v72, v4
	;;#ASMEND
	;;#ASMSTART
	v_dot2_f32_f16 v4, v65, v73, v4
	;;#ASMEND
	;;#ASMSTART
	v_dot2_f32_f16 v4, v66, v74, v4
	;;#ASMEND
	ds_load_b128 v[63:66], v44 offset:480
	ds_load_b128 v[67:70], v47 offset:480
	ds_load_b128 v[71:74], v47 offset:992
	s_wait_dscnt 0x1
	;;#ASMSTART
	v_dot2_f32_f16 v5, v63, v67, v5
	;;#ASMEND
	;;#ASMSTART
	v_dot2_f32_f16 v5, v64, v68, v5
	;;#ASMEND
	;;#ASMSTART
	v_dot2_f32_f16 v5, v65, v69, v5
	;;#ASMEND
	;;#ASMSTART
	v_dot2_f32_f16 v5, v66, v70, v5
	;;#ASMEND
	s_wait_dscnt 0x0
	;;#ASMSTART
	v_dot2_f32_f16 v4, v63, v71, v4
	;;#ASMEND
	;;#ASMSTART
	v_dot2_f32_f16 v4, v64, v72, v4
	;;#ASMEND
	;;#ASMSTART
	v_dot2_f32_f16 v4, v65, v73, v4
	;;#ASMEND
	;;#ASMSTART
	v_dot2_f32_f16 v4, v66, v74, v4
	;;#ASMEND
	ds_load_b128 v[63:66], v44 offset:496
	ds_load_b128 v[69:72], v47 offset:496
	ds_load_b128 v[73:76], v47 offset:1008
	s_wait_dscnt 0x1
	;;#ASMSTART
	v_dot2_f32_f16 v5, v63, v69, v5
	;;#ASMEND
	v_dual_mov_b32 v43, 0 :: v_dual_add_nc_u32 v68, s24, v27
	;;#ASMSTART
	v_dot2_f32_f16 v5, v64, v70, v5
	;;#ASMEND
	;;#ASMSTART
	v_dot2_f32_f16 v5, v65, v71, v5
	;;#ASMEND
	;;#ASMSTART
	v_dot2_f32_f16 v5, v66, v72, v5
	;;#ASMEND
	s_wait_dscnt 0x0
	;;#ASMSTART
	v_dot2_f32_f16 v4, v63, v73, v4
	;;#ASMEND
	;;#ASMSTART
	v_dot2_f32_f16 v4, v64, v74, v4
	;;#ASMEND
	;; [unrolled: 3-line block ×4, first 2 shown]
	s_wait_alu 0xfffe
	s_cbranch_vccnz .LBB46_10
; %bb.9:                                ;   in Loop: Header=BB46_8 Depth=1
	v_add_nc_u32_e32 v63, v68, v48
	s_delay_alu instid0(VALU_DEP_1) | instskip(NEXT) | instid1(VALU_DEP_1)
	v_ashrrev_i32_e32 v64, 31, v63
	v_lshlrev_b64_e32 v[63:64], 1, v[63:64]
	s_delay_alu instid0(VALU_DEP_1) | instskip(SKIP_1) | instid1(VALU_DEP_2)
	v_add_co_u32 v63, vcc_lo, s38, v63
	s_wait_alu 0xfffd
	v_add_co_ci_u32_e64 v64, null, s39, v64, vcc_lo
	global_load_u16 v43, v[63:64], off
	s_wait_loadcnt 0x0
	v_cvt_f32_f16_e32 v43, v43
	s_delay_alu instid0(VALU_DEP_1)
	v_mul_f32_e32 v43, v40, v43
.LBB46_10:                              ;   in Loop: Header=BB46_8 Depth=1
	v_xor_b32_e32 v45, 16, v58
	v_xor_b32_e32 v64, 8, v58
	s_delay_alu instid0(VALU_DEP_3) | instskip(SKIP_1) | instid1(VALU_DEP_4)
	v_add_f32_e32 v5, v5, v43
	v_max_num_f32_e32 v63, v62, v62
	v_cmp_gt_i32_e32 vcc_lo, 32, v45
	s_wait_alu 0xfffd
	v_cndmask_b32_e32 v43, v58, v45, vcc_lo
	v_cmp_gt_i32_e32 vcc_lo, 32, v64
	s_wait_alu 0xfffd
	v_dual_cndmask_b32 v64, v58, v64 :: v_dual_add_f32 v45, 0x40051340, v5
	s_delay_alu instid0(VALU_DEP_1) | instskip(SKIP_4) | instid1(VALU_DEP_1)
	v_max_num_f32_e32 v63, v63, v45
	v_lshlrev_b32_e32 v43, 2, v43
	ds_bpermute_b32 v45, v43, v63
	s_wait_dscnt 0x0
	v_max_num_f32_e32 v65, v45, v45
	v_dual_max_num_f32 v64, v63, v65 :: v_dual_lshlrev_b32 v45, 2, v64
	v_xor_b32_e32 v65, 4, v58
	ds_bpermute_b32 v63, v45, v64
	v_cmp_gt_i32_e32 vcc_lo, 32, v65
	s_wait_dscnt 0x0
	s_wait_alu 0xfffd
	v_dual_cndmask_b32 v65, v58, v65 :: v_dual_max_num_f32 v66, v63, v63
	s_delay_alu instid0(VALU_DEP_1) | instskip(NEXT) | instid1(VALU_DEP_2)
	v_lshlrev_b32_e32 v63, 2, v65
	v_max_num_f32_e32 v65, v64, v66
	v_xor_b32_e32 v66, 2, v58
	ds_bpermute_b32 v64, v63, v65
	v_cmp_gt_i32_e32 vcc_lo, 32, v66
	s_wait_dscnt 0x0
	s_wait_alu 0xfffd
	v_dual_cndmask_b32 v66, v58, v66 :: v_dual_max_num_f32 v67, v64, v64
	s_delay_alu instid0(VALU_DEP_1)
	v_dual_max_num_f32 v65, v65, v67 :: v_dual_lshlrev_b32 v64, 2, v66
	v_xor_b32_e32 v67, 1, v58
	ds_bpermute_b32 v66, v64, v65
	v_cmp_gt_i32_e32 vcc_lo, 32, v67
	s_wait_alu 0xfffd
	v_cndmask_b32_e32 v67, v58, v67, vcc_lo
	s_and_not1_b32 vcc_lo, exec_lo, s9
	s_wait_dscnt 0x0
	s_delay_alu instid0(VALU_DEP_1) | instskip(NEXT) | instid1(VALU_DEP_1)
	v_dual_max_num_f32 v69, v66, v66 :: v_dual_lshlrev_b32 v66, 2, v67
	v_max_num_f32_e32 v65, v65, v69
	ds_bpermute_b32 v67, v66, v65
	s_wait_alu 0xfffe
	s_cbranch_vccnz .LBB46_12
; %bb.11:                               ;   in Loop: Header=BB46_8 Depth=1
	v_add_nc_u32_e32 v68, v68, v57
	s_delay_alu instid0(VALU_DEP_1) | instskip(NEXT) | instid1(VALU_DEP_1)
	v_ashrrev_i32_e32 v69, 31, v68
	v_lshlrev_b64_e32 v[68:69], 1, v[68:69]
	s_delay_alu instid0(VALU_DEP_1) | instskip(SKIP_1) | instid1(VALU_DEP_2)
	v_add_co_u32 v68, vcc_lo, s38, v68
	s_wait_alu 0xfffd
	v_add_co_ci_u32_e64 v69, null, s39, v69, vcc_lo
	global_load_u16 v68, v[68:69], off
	s_wait_loadcnt 0x0
	v_cvt_f32_f16_e32 v68, v68
	s_delay_alu instid0(VALU_DEP_1)
	v_mul_f32_e32 v68, v40, v68
	s_branch .LBB46_13
.LBB46_12:                              ;   in Loop: Header=BB46_8 Depth=1
	v_mov_b32_e32 v68, 0
.LBB46_13:                              ;   in Loop: Header=BB46_8 Depth=1
	s_mul_u64 s[30:31], s[24:25], s[10:11]
	s_wait_loadcnt_dscnt 0x0
	s_wait_alu 0xfffe
	s_lshl_b64 s[30:31], s[30:31], 2
	s_barrier_signal -1
	s_wait_alu 0xfffe
	s_add_nc_u64 s[30:31], s[14:15], s[30:31]
	s_barrier_wait -1
	s_wait_alu 0xfffe
	v_add_co_u32 v69, vcc_lo, s30, v14
	s_wait_alu 0xfffd
	v_add_co_ci_u32_e64 v70, null, s31, v15, vcc_lo
	v_add_co_u32 v71, vcc_lo, s30, v16
	s_wait_alu 0xfffd
	v_add_co_ci_u32_e64 v72, null, s31, v17, vcc_lo
	;; [unrolled: 3-line block ×8, first 2 shown]
	global_inv scope:SCOPE_SE
	s_clause 0x3
	global_load_b128 v[69:72], v[69:70], off
	global_load_b128 v[73:76], v[73:74], off
	;; [unrolled: 1-line block ×4, first 2 shown]
	v_add_f32_e32 v68, v4, v68
	v_max_num_f32_e32 v4, v61, v61
	v_add_nc_u32_e32 v154, 0x2000, v31
	v_add_nc_u32_e32 v178, 0x2800, v31
	;; [unrolled: 1-line block ×3, first 2 shown]
	v_add_f32_e32 v85, 0x40051340, v68
	s_delay_alu instid0(VALU_DEP_1) | instskip(SKIP_3) | instid1(VALU_DEP_1)
	v_max_num_f32_e32 v4, v4, v85
	ds_bpermute_b32 v43, v43, v4
	s_wait_dscnt 0x0
	v_max_num_f32_e32 v43, v43, v43
	v_max_num_f32_e32 v4, v4, v43
	ds_bpermute_b32 v43, v45, v4
	s_wait_dscnt 0x0
	v_max_num_f32_e32 v43, v43, v43
	s_delay_alu instid0(VALU_DEP_1)
	v_max_num_f32_e32 v4, v4, v43
	ds_bpermute_b32 v43, v63, v4
	v_max_num_f32_e32 v63, v65, v65
	v_add_nc_u32_e32 v65, v49, v25
	s_wait_dscnt 0x0
	v_max_num_f32_e32 v43, v43, v43
	s_delay_alu instid0(VALU_DEP_1) | instskip(SKIP_3) | instid1(VALU_DEP_1)
	v_max_num_f32_e32 v4, v4, v43
	ds_bpermute_b32 v43, v64, v4
	s_wait_dscnt 0x0
	v_max_num_f32_e32 v43, v43, v43
	v_max_num_f32_e32 v43, v4, v43
	;; [unrolled: 1-line block ×3, first 2 shown]
	s_delay_alu instid0(VALU_DEP_1) | instskip(SKIP_2) | instid1(VALU_DEP_1)
	v_max_num_f32_e32 v4, v63, v4
	ds_bpermute_b32 v45, v66, v43
	v_sub_f32_e32 v62, v62, v4
	v_dual_sub_f32 v63, v5, v4 :: v_dual_mul_f32 v64, 0x3fb8aa3b, v62
	v_cmp_ngt_f32_e32 vcc_lo, 0xc2ce8ed0, v62
	s_delay_alu instid0(VALU_DEP_2) | instskip(SKIP_1) | instid1(VALU_DEP_1)
	v_fma_f32 v66, 0x3fb8aa3b, v62, -v64
	s_wait_dscnt 0x0
	v_dual_fmac_f32 v66, 0x32a5705f, v62 :: v_dual_max_num_f32 v5, v45, v45
	s_delay_alu instid0(VALU_DEP_1) | instskip(SKIP_2) | instid1(VALU_DEP_3)
	v_max_num_f32_e32 v5, v43, v5
	v_mul_f32_e32 v45, 0x3fb8aa3b, v63
	v_rndne_f32_e32 v43, v64
	v_sub_f32_e32 v68, v68, v5
	s_delay_alu instid0(VALU_DEP_3) | instskip(SKIP_1) | instid1(VALU_DEP_4)
	v_fma_f32 v67, 0x3fb8aa3b, v63, -v45
	v_rndne_f32_e32 v85, v45
	v_dual_sub_f32 v64, v64, v43 :: v_dual_sub_f32 v61, v61, v5
	s_delay_alu instid0(VALU_DEP_4) | instskip(SKIP_1) | instid1(VALU_DEP_4)
	v_mul_f32_e32 v87, 0x3fb8aa3b, v68
	v_cvt_i32_f32_e32 v43, v43
	v_sub_f32_e32 v45, v45, v85
	s_delay_alu instid0(VALU_DEP_4)
	v_dual_fmac_f32 v67, 0x32a5705f, v63 :: v_dual_add_f32 v64, v64, v66
	v_mul_f32_e32 v86, 0x3fb8aa3b, v61
	v_fma_f32 v88, 0x3fb8aa3b, v68, -v87
	v_rndne_f32_e32 v89, v87
	v_add_nc_u32_e32 v122, 0x1000, v31
	v_exp_f32_e32 v64, v64
	v_fma_f32 v66, 0x3fb8aa3b, v61, -v86
	v_add_f32_e32 v45, v45, v67
	v_rndne_f32_e32 v67, v86
	v_sub_f32_e32 v87, v87, v89
	s_delay_alu instid0(VALU_DEP_4) | instskip(NEXT) | instid1(VALU_DEP_4)
	v_fmac_f32_e32 v66, 0x32a5705f, v61
	v_exp_f32_e32 v45, v45
	s_delay_alu instid0(TRANS32_DEP_2) | instskip(SKIP_1) | instid1(VALU_DEP_1)
	v_ldexp_f32 v43, v64, v43
	s_wait_alu 0xfffd
	v_dual_fmac_f32 v88, 0x32a5705f, v68 :: v_dual_cndmask_b32 v43, 0, v43
	v_cmp_nlt_f32_e32 vcc_lo, 0x42b17218, v62
	s_wait_alu 0xfffd
	s_delay_alu instid0(VALU_DEP_2) | instskip(SKIP_3) | instid1(VALU_DEP_2)
	v_cndmask_b32_e32 v62, 0x7f800000, v43, vcc_lo
	v_cmp_ngt_f32_e32 vcc_lo, 0xc2ce8ed0, v63
	v_sub_f32_e32 v86, v86, v67
	v_cvt_i32_f32_e32 v67, v67
	v_add_f32_e32 v66, v86, v66
	s_delay_alu instid0(VALU_DEP_1) | instskip(SKIP_1) | instid1(VALU_DEP_1)
	v_exp_f32_e32 v64, v66
	v_cvt_i32_f32_e32 v66, v85
	v_ldexp_f32 v45, v45, v66
	v_cvt_i32_f32_e32 v66, v89
	s_delay_alu instid0(TRANS32_DEP_1) | instskip(SKIP_1) | instid1(VALU_DEP_3)
	v_ldexp_f32 v43, v64, v67
	s_wait_alu 0xfffd
	v_cndmask_b32_e32 v45, 0, v45, vcc_lo
	v_cmp_ngt_f32_e32 vcc_lo, 0xc2ce8ed0, v61
	s_wait_alu 0xfffd
	v_dual_cndmask_b32 v43, 0, v43 :: v_dual_add_f32 v86, v87, v88
	v_cmp_ngt_f32_e32 vcc_lo, 0xc2ce8ed0, v68
	s_delay_alu instid0(VALU_DEP_2) | instskip(NEXT) | instid1(TRANS32_DEP_1)
	v_exp_f32_e32 v85, v86
	v_ldexp_f32 v64, v85, v66
	v_cvt_f16_f32_e32 v66, v62
	s_wait_alu 0xfffd
	s_delay_alu instid0(VALU_DEP_2) | instskip(SKIP_1) | instid1(VALU_DEP_3)
	v_cndmask_b32_e32 v64, 0, v64, vcc_lo
	v_cmp_nlt_f32_e32 vcc_lo, 0x42b17218, v61
	v_and_b32_e32 v61, 0xffff, v66
	s_wait_alu 0xfffd
	v_cndmask_b32_e32 v67, 0x7f800000, v43, vcc_lo
	v_cmp_nlt_f32_e32 vcc_lo, 0x42b17218, v63
	s_delay_alu instid0(VALU_DEP_3) | instskip(SKIP_1) | instid1(VALU_DEP_4)
	v_mul_u32_u24_e32 v202, 0x10001, v61
	v_add_nc_u32_e32 v61, 0x3000, v31
	v_cvt_f16_f32_e32 v63, v67
	s_wait_alu 0xfffd
	v_cndmask_b32_e32 v45, 0x7f800000, v45, vcc_lo
	v_cmp_nlt_f32_e32 vcc_lo, 0x42b17218, v68
	v_add_nc_u32_e32 v138, 0x1800, v31
	v_pk_mul_f16 v39, v39, v202
	v_and_b32_e32 v63, 0xffff, v63
	v_pk_mul_f16 v36, v36, v202
	s_wait_alu 0xfffd
	v_cndmask_b32_e32 v43, 0x7f800000, v64, vcc_lo
	v_cvt_f16_f32_e32 v64, v45
	v_fmac_f32_e32 v45, v59, v62
	v_mul_u32_u24_e32 v203, 0x10001, v63
	v_pk_mul_f16 v38, v38, v202
	v_cvt_f16_f32_e32 v66, v43
	v_fmac_f32_e32 v43, v60, v67
	s_delay_alu instid0(VALU_DEP_4) | instskip(SKIP_1) | instid1(VALU_DEP_4)
	v_pk_mul_f16 v34, v34, v203
	v_pk_mul_f16 v33, v33, v203
	v_pack_b32_f16 v59, v64, v66
	v_pk_mul_f16 v32, v32, v203
	ds_store_b32 v65, v59
	s_wait_loadcnt 0x3
	ds_store_b128 v50, v[69:72]
	s_wait_loadcnt 0x2
	ds_store_b128 v54, v[73:76]
	s_wait_loadcnt 0x1
	ds_store_b128 v55, v[77:80]
	s_wait_loadcnt 0x0
	ds_store_b128 v56, v[81:84]
	s_wait_dscnt 0x0
	s_barrier_signal -1
	s_barrier_wait -1
	global_inv scope:SCOPE_SE
	ds_load_2addr_b64 v[62:65], v31 offset1:32
	ds_load_b128 v[66:69], v49
	ds_load_b128 v[70:73], v49 offset:16
	ds_load_b128 v[74:77], v49 offset:32
	;; [unrolled: 1-line block ×3, first 2 shown]
	ds_load_2addr_b64 v[82:85], v31 offset0:64 offset1:96
	ds_load_2addr_b64 v[86:89], v31 offset0:128 offset1:160
	ds_load_2addr_b64 v[90:93], v31 offset0:192 offset1:224
	ds_load_2addr_b64 v[94:97], v106 offset1:32
	ds_load_2addr_b64 v[98:101], v106 offset0:64 offset1:96
	ds_load_2addr_b64 v[102:105], v106 offset0:128 offset1:160
	ds_load_2addr_b64 v[106:109], v106 offset0:192 offset1:224
	ds_load_2addr_b64 v[110:113], v122 offset1:32
	;; [unrolled: 4-line block ×5, first 2 shown]
	ds_load_b128 v[162:165], v49 offset:64
	ds_load_b128 v[166:169], v49 offset:80
	ds_load_2addr_b64 v[170:173], v178 offset0:64 offset1:96
	ds_load_2addr_b64 v[174:177], v178 offset0:128 offset1:160
	;; [unrolled: 1-line block ×3, first 2 shown]
	ds_load_2addr_b64 v[182:185], v61 offset1:32
	ds_load_2addr_b64 v[186:189], v61 offset0:64 offset1:96
	ds_load_2addr_b64 v[190:193], v61 offset0:128 offset1:160
	ds_load_b128 v[194:197], v49 offset:96
	ds_load_b128 v[198:201], v49 offset:112
	s_wait_dscnt 0x21
	v_lshrrev_b32_e32 v59, 16, v66
	v_and_b32_e32 v60, 0xffff, v66
	v_lshrrev_b32_e32 v66, 16, v67
	v_and_b32_e32 v67, 0xffff, v67
	v_lshrrev_b32_e32 v204, 16, v68
	v_mul_u32_u24_e32 v59, 0x10001, v59
	v_mul_u32_u24_e32 v60, 0x10001, v60
	v_and_b32_e32 v68, 0xffff, v68
	v_mul_u32_u24_e32 v67, 0x10001, v67
	v_mul_u32_u24_e32 v66, 0x10001, v66
	v_pk_fma_f16 v34, v63, v59, v34
	v_pk_fma_f16 v39, v63, v60, v39
	;; [unrolled: 1-line block ×4, first 2 shown]
	v_pk_mul_f16 v60, v62, v60
	v_pk_mul_f16 v62, v62, v59
	v_pk_fma_f16 v33, v64, v59, v33
	v_pk_fma_f16 v32, v65, v59, v32
	v_lshrrev_b32_e32 v205, 16, v69
	v_pk_fma_f16 v30, v30, v202, v60
	v_pk_fma_f16 v29, v29, v203, v62
	v_and_b32_e32 v69, 0xffff, v69
	v_mul_u32_u24_e32 v68, 0x10001, v68
	v_mul_u32_u24_e32 v204, 0x10001, v204
	s_wait_dscnt 0x1d
	v_pk_fma_f16 v30, v82, v67, v30
	v_pk_fma_f16 v29, v82, v66, v29
	v_pk_fma_f16 v39, v83, v67, v39
	v_pk_fma_f16 v34, v83, v66, v34
	v_pk_fma_f16 v36, v84, v67, v36
	v_pk_fma_f16 v33, v84, v66, v33
	v_pk_fma_f16 v38, v85, v67, v38
	v_pk_fma_f16 v32, v85, v66, v32
	v_lshrrev_b32_e32 v206, 16, v70
	v_and_b32_e32 v70, 0xffff, v70
	v_mul_u32_u24_e32 v69, 0x10001, v69
	v_mul_u32_u24_e32 v205, 0x10001, v205
	s_wait_dscnt 0x1c
	v_pk_fma_f16 v30, v86, v68, v30
	v_pk_fma_f16 v29, v86, v204, v29
	v_pk_fma_f16 v39, v87, v68, v39
	v_pk_fma_f16 v36, v88, v68, v36
	v_pk_fma_f16 v38, v89, v68, v38
	v_pk_fma_f16 v34, v87, v204, v34
	v_pk_fma_f16 v33, v88, v204, v33
	v_pk_fma_f16 v32, v89, v204, v32
	v_lshrrev_b32_e32 v207, 16, v71
	;; [unrolled: 13-line block ×12, first 2 shown]
	v_and_b32_e32 v81, 0xffff, v81
	v_mul_u32_u24_e32 v80, 0x10001, v80
	v_mul_u32_u24_e32 v216, 0x10001, v216
	s_wait_dscnt 0x11
	v_pk_fma_f16 v30, v130, v79, v30
	v_pk_fma_f16 v29, v130, v215, v29
	;; [unrolled: 1-line block ×8, first 2 shown]
	s_wait_dscnt 0x9
	v_lshrrev_b32_e32 v218, 16, v162
	v_and_b32_e32 v162, 0xffff, v162
	v_mul_u32_u24_e32 v81, 0x10001, v81
	v_mul_u32_u24_e32 v217, 0x10001, v217
	v_pk_fma_f16 v30, v134, v80, v30
	v_pk_fma_f16 v29, v134, v216, v29
	v_pk_fma_f16 v39, v135, v80, v39
	v_pk_fma_f16 v34, v135, v216, v34
	v_pk_fma_f16 v36, v136, v80, v36
	v_pk_fma_f16 v33, v136, v216, v33
	v_pk_fma_f16 v38, v137, v80, v38
	v_pk_fma_f16 v32, v137, v216, v32
	v_lshrrev_b32_e32 v219, 16, v163
	v_and_b32_e32 v163, 0xffff, v163
	v_mul_u32_u24_e32 v162, 0x10001, v162
	v_mul_u32_u24_e32 v218, 0x10001, v218
	v_pk_fma_f16 v30, v138, v81, v30
	v_pk_fma_f16 v29, v138, v217, v29
	v_pk_fma_f16 v39, v139, v81, v39
	v_pk_fma_f16 v34, v139, v217, v34
	v_pk_fma_f16 v36, v140, v81, v36
	v_pk_fma_f16 v33, v140, v217, v33
	v_pk_fma_f16 v38, v141, v81, v38
	v_pk_fma_f16 v32, v141, v217, v32
	;; [unrolled: 12-line block ×4, first 2 shown]
	s_wait_dscnt 0x8
	v_lshrrev_b32_e32 v222, 16, v166
	v_and_b32_e32 v166, 0xffff, v166
	v_mul_u32_u24_e32 v165, 0x10001, v165
	v_mul_u32_u24_e32 v221, 0x10001, v221
	v_pk_fma_f16 v30, v150, v164, v30
	v_pk_fma_f16 v29, v150, v220, v29
	v_pk_fma_f16 v39, v151, v164, v39
	v_pk_fma_f16 v34, v151, v220, v34
	v_pk_fma_f16 v36, v152, v164, v36
	v_pk_fma_f16 v33, v152, v220, v33
	v_pk_fma_f16 v38, v153, v164, v38
	v_pk_fma_f16 v32, v153, v220, v32
	v_lshrrev_b32_e32 v223, 16, v167
	v_and_b32_e32 v167, 0xffff, v167
	v_mul_u32_u24_e32 v166, 0x10001, v166
	v_mul_u32_u24_e32 v222, 0x10001, v222
	v_pk_fma_f16 v30, v154, v165, v30
	v_pk_fma_f16 v29, v154, v221, v29
	v_pk_fma_f16 v39, v155, v165, v39
	v_pk_fma_f16 v34, v155, v221, v34
	v_pk_fma_f16 v36, v156, v165, v36
	v_pk_fma_f16 v33, v156, v221, v33
	v_pk_fma_f16 v38, v157, v165, v38
	v_pk_fma_f16 v32, v157, v221, v32
	;; [unrolled: 12-line block ×3, first 2 shown]
	v_lshrrev_b32_e32 v225, 16, v169
	v_and_b32_e32 v169, 0xffff, v169
	v_mul_u32_u24_e32 v168, 0x10001, v168
	v_mul_u32_u24_e32 v224, 0x10001, v224
	s_wait_dscnt 0x7
	v_pk_fma_f16 v30, v170, v167, v30
	v_pk_fma_f16 v29, v170, v223, v29
	;; [unrolled: 1-line block ×8, first 2 shown]
	s_wait_dscnt 0x1
	v_lshrrev_b32_e32 v226, 16, v194
	v_and_b32_e32 v194, 0xffff, v194
	v_mul_u32_u24_e32 v169, 0x10001, v169
	v_mul_u32_u24_e32 v225, 0x10001, v225
	v_pk_fma_f16 v30, v174, v168, v30
	v_pk_fma_f16 v29, v174, v224, v29
	;; [unrolled: 1-line block ×8, first 2 shown]
	v_lshrrev_b32_e32 v227, 16, v195
	v_and_b32_e32 v195, 0xffff, v195
	v_mul_u32_u24_e32 v194, 0x10001, v194
	v_mul_u32_u24_e32 v226, 0x10001, v226
	v_pk_fma_f16 v30, v178, v169, v30
	v_pk_fma_f16 v29, v178, v225, v29
	ds_load_2addr_b64 v[59:62], v61 offset0:192 offset1:224
	v_pk_fma_f16 v39, v179, v169, v39
	v_pk_fma_f16 v34, v179, v225, v34
	;; [unrolled: 1-line block ×6, first 2 shown]
	v_lshrrev_b32_e32 v228, 16, v196
	v_and_b32_e32 v196, 0xffff, v196
	v_mul_u32_u24_e32 v195, 0x10001, v195
	v_mul_u32_u24_e32 v227, 0x10001, v227
	v_pk_fma_f16 v30, v182, v194, v30
	v_pk_fma_f16 v29, v182, v226, v29
	v_add_nc_u32_e32 v71, 0x3800, v31
	v_pk_fma_f16 v39, v183, v194, v39
	v_pk_fma_f16 v34, v183, v226, v34
	;; [unrolled: 1-line block ×8, first 2 shown]
	v_mul_u32_u24_e32 v67, 0x10001, v196
	v_mul_u32_u24_e32 v68, 0x10001, v228
	v_and_b32_e32 v69, 0xffff, v197
	v_lshrrev_b32_e32 v70, 16, v197
	ds_load_2addr_b64 v[63:66], v71 offset1:32
	v_pk_fma_f16 v39, v187, v195, v39
	v_pk_fma_f16 v34, v187, v227, v34
	;; [unrolled: 1-line block ×8, first 2 shown]
	v_mul_u32_u24_e32 v72, 0x10001, v69
	v_mul_u32_u24_e32 v73, 0x10001, v70
	v_pk_fma_f16 v39, v191, v67, v39
	v_pk_fma_f16 v34, v191, v68, v34
	;; [unrolled: 1-line block ×6, first 2 shown]
	ds_load_2addr_b64 v[67:70], v71 offset0:64 offset1:96
	s_wait_dscnt 0x2
	v_pk_fma_f16 v30, v59, v72, v30
	v_pk_fma_f16 v29, v59, v73, v29
	v_and_b32_e32 v59, 0xffff, v198
	v_lshrrev_b32_e32 v74, 16, v198
	v_pk_fma_f16 v39, v60, v72, v39
	v_pk_fma_f16 v34, v60, v73, v34
	;; [unrolled: 1-line block ×3, first 2 shown]
	v_mul_u32_u24_e32 v59, 0x10001, v59
	v_mul_u32_u24_e32 v74, 0x10001, v74
	v_pk_fma_f16 v33, v61, v73, v33
	v_pk_fma_f16 v38, v62, v72, v38
	v_and_b32_e32 v60, 0xffff, v199
	v_lshrrev_b32_e32 v61, 16, v199
	v_pk_fma_f16 v32, v62, v73, v32
	s_wait_dscnt 0x1
	v_pk_fma_f16 v30, v63, v59, v30
	v_pk_fma_f16 v29, v63, v74, v29
	;; [unrolled: 1-line block ×5, first 2 shown]
	v_mul_u32_u24_e32 v63, 0x10001, v60
	v_mul_u32_u24_e32 v64, 0x10001, v61
	v_pk_fma_f16 v38, v66, v59, v38
	ds_load_2addr_b64 v[59:62], v71 offset0:128 offset1:160
	v_pk_fma_f16 v33, v65, v74, v33
	v_pk_fma_f16 v32, v66, v74, v32
	s_wait_dscnt 0x1
	v_pk_fma_f16 v30, v67, v63, v30
	v_pk_fma_f16 v29, v67, v64, v29
	;; [unrolled: 1-line block ×8, first 2 shown]
	ds_load_2addr_b64 v[63:66], v71 offset0:192 offset1:224
	s_wait_loadcnt_dscnt 0x0
	s_barrier_signal -1
	s_barrier_wait -1
	global_inv scope:SCOPE_SE
	s_load_b32 s25, s[26:27], 0x4
	v_and_b32_e32 v67, 0xffff, v200
	v_lshrrev_b32_e32 v68, 16, v200
	v_lshrrev_b32_e32 v69, 16, v201
	s_delay_alu instid0(VALU_DEP_3) | instskip(NEXT) | instid1(VALU_DEP_3)
	v_mul_u32_u24_e32 v67, 0x10001, v67
	v_mul_u32_u24_e32 v68, 0x10001, v68
	s_delay_alu instid0(VALU_DEP_2) | instskip(NEXT) | instid1(VALU_DEP_2)
	v_pk_fma_f16 v30, v59, v67, v30
	v_pk_fma_f16 v29, v59, v68, v29
	v_and_b32_e32 v59, 0xffff, v201
	v_pk_fma_f16 v39, v60, v67, v39
	v_pk_fma_f16 v34, v60, v68, v34
	;; [unrolled: 1-line block ×3, first 2 shown]
	v_mul_u32_u24_e32 v60, 0x10001, v69
	v_mul_u32_u24_e32 v59, 0x10001, v59
	v_pk_fma_f16 v33, v61, v68, v33
	v_pk_fma_f16 v38, v62, v67, v38
	;; [unrolled: 1-line block ×3, first 2 shown]
	s_wait_kmcnt 0x0
	s_lshl_b32 s25, s25, 5
	v_pk_fma_f16 v30, v63, v59, v30
	v_pk_fma_f16 v29, v63, v60, v29
	;; [unrolled: 1-line block ×8, first 2 shown]
	s_wait_alu 0xfffe
	s_add_co_i32 s24, s25, s24
	s_wait_alu 0xfffe
	s_cmp_lt_i32 s24, s3
	s_cbranch_scc0 .LBB46_16
; %bb.14:                               ;   in Loop: Header=BB46_8 Depth=1
	v_dual_mov_b32 v62, v4 :: v_dual_mov_b32 v61, v5
	v_dual_mov_b32 v59, v45 :: v_dual_mov_b32 v60, v43
	s_branch .LBB46_8
.LBB46_15:
	v_dual_mov_b32 v4, 0xfeffffff :: v_dual_mov_b32 v45, 0
	v_dual_mov_b32 v30, 0 :: v_dual_mov_b32 v39, 0
	s_delay_alu instid0(VALU_DEP_2)
	v_dual_mov_b32 v36, 0 :: v_dual_mov_b32 v5, v4
	v_dual_mov_b32 v38, 0 :: v_dual_mov_b32 v29, 0
	;; [unrolled: 1-line block ×3, first 2 shown]
	v_mov_b32_e32 v32, 0
.LBB46_16:
	s_cmp_gt_i32 s2, s24
	s_cbranch_scc1 .LBB46_19
; %bb.17:
	v_mbcnt_lo_u32_b32 v6, -1, 0
	v_mov_b32_e32 v50, 32
	s_delay_alu instid0(VALU_DEP_2)
	v_xor_b32_e32 v47, 16, v6
	v_xor_b32_e32 v46, 8, v6
	v_xor_b32_e32 v48, 4, v6
	v_xor_b32_e32 v49, 2, v6
	v_xor_b32_e32 v51, 1, v6
	s_cbranch_execz .LBB46_20
; %bb.18:
	v_mov_b32_e32 v28, v6
	s_branch .LBB46_30
.LBB46_19:
                                        ; implicit-def: $vgpr6
                                        ; implicit-def: $vgpr50
                                        ; implicit-def: $vgpr47
                                        ; implicit-def: $vgpr46
                                        ; implicit-def: $vgpr48
                                        ; implicit-def: $vgpr49
                                        ; implicit-def: $vgpr51
.LBB46_20:
	s_ashr_i32 s25, s24, 31
	s_ashr_i32 s5, s4, 31
	v_lshlrev_b64_e32 v[6:7], 2, v[2:3]
	s_wait_alu 0xfffe
	s_mul_u64 s[30:31], s[24:25], s[4:5]
	s_sub_co_i32 s9, s2, s24
	s_wait_alu 0xfffe
	s_lshl_b64 s[30:31], s[30:31], 2
	v_cmp_gt_i32_e64 s2, s9, v35
	s_wait_alu 0xfffe
	s_add_nc_u64 s[6:7], s[6:7], s[30:31]
	s_mov_b32 s40, 0
	v_add_co_u32 v3, vcc_lo, s6, v6
	s_wait_alu 0xfffd
	v_add_co_ci_u32_e64 v6, null, s7, v7, vcc_lo
	s_mov_b64 s[26:27], src_private_base
	v_add_co_u32 v3, vcc_lo, v3, v37
	s_wait_alu 0xfffd
	v_add_co_ci_u32_e64 v6, null, 0, v6, vcc_lo
	s_mov_b32 s41, s40
	s_mov_b32 s42, s40
	v_dual_mov_b32 v10, 0 :: v_dual_mov_b32 v15, s40
	v_dual_mov_b32 v16, s41 :: v_dual_mov_b32 v17, s42
	s_wait_alu 0xfffe
	v_cndmask_b32_e64 v7, s27, v6, s2
	v_cndmask_b32_e64 v6, 0, v3, s2
	s_clause 0x1
	scratch_store_b32 off, v10, off
	scratch_store_b96 off, v[15:17], off offset:4
	s_lshl_b32 s5, s4, 3
	v_mad_u32_u24 v18, 0x210, v35, v37
	flat_load_b128 v[6:9], v[6:7]
	s_wait_alu 0xfffe
	v_add_nc_u32_e32 v2, s5, v2
	s_clause 0x1
	scratch_store_b32 off, v10, off
	scratch_store_b96 off, v[15:17], off offset:4
	s_cmp_lg_u64 s[38:39], 0
	s_cselect_b32 s11, -1, 0
	v_ashrrev_i32_e32 v3, 31, v2
	s_delay_alu instid0(VALU_DEP_1) | instskip(SKIP_1) | instid1(VALU_DEP_2)
	v_lshlrev_b64_e32 v[11:12], 2, v[2:3]
	v_add_nc_u32_e32 v3, 8, v35
	v_add_co_u32 v11, vcc_lo, s6, v11
	s_wait_alu 0xfffd
	s_delay_alu instid0(VALU_DEP_3) | instskip(NEXT) | instid1(VALU_DEP_3)
	v_add_co_ci_u32_e64 v12, null, s7, v12, vcc_lo
	v_cmp_gt_i32_e64 s3, s9, v3
	s_delay_alu instid0(VALU_DEP_3) | instskip(SKIP_1) | instid1(VALU_DEP_3)
	v_add_co_u32 v11, vcc_lo, v11, v37
	s_wait_alu 0xfffd
	v_add_co_ci_u32_e64 v12, null, 0, v12, vcc_lo
	s_wait_alu 0xf1ff
	s_delay_alu instid0(VALU_DEP_2) | instskip(NEXT) | instid1(VALU_DEP_2)
	v_cndmask_b32_e64 v11, 0, v11, s3
	v_cndmask_b32_e64 v12, s27, v12, s3
	s_wait_loadcnt_dscnt 0x0
	ds_store_b128 v18, v[6:9]
	flat_load_b128 v[11:14], v[11:12]
	v_add_nc_u32_e32 v6, s5, v2
	s_clause 0x1
	scratch_store_b32 off, v10, off
	scratch_store_b96 off, v[15:17], off offset:4
	v_ashrrev_i32_e32 v7, 31, v6
	s_delay_alu instid0(VALU_DEP_1) | instskip(NEXT) | instid1(VALU_DEP_1)
	v_lshlrev_b64_e32 v[7:8], 2, v[6:7]
	v_add_co_u32 v2, vcc_lo, s6, v7
	s_wait_alu 0xfffd
	s_delay_alu instid0(VALU_DEP_2) | instskip(SKIP_1) | instid1(VALU_DEP_3)
	v_add_co_ci_u32_e64 v8, null, s7, v8, vcc_lo
	v_add_nc_u32_e32 v7, 16, v35
	v_add_co_u32 v2, vcc_lo, v2, v37
	s_wait_alu 0xfffd
	s_delay_alu instid0(VALU_DEP_3) | instskip(NEXT) | instid1(VALU_DEP_3)
	v_add_co_ci_u32_e64 v8, null, 0, v8, vcc_lo
	v_cmp_gt_i32_e64 s4, s9, v7
	s_wait_alu 0xf1ff
	s_delay_alu instid0(VALU_DEP_1)
	v_cndmask_b32_e64 v9, s27, v8, s4
	v_cndmask_b32_e64 v8, 0, v2, s4
	s_wait_loadcnt_dscnt 0x0
	ds_store_b128 v18, v[11:14] offset:4224
	flat_load_b128 v[11:14], v[8:9]
	v_add_nc_u32_e32 v8, s5, v6
	v_add_nc_u32_e32 v6, 24, v35
	s_clause 0x1
	scratch_store_b32 off, v10, off
	scratch_store_b96 off, v[15:17], off offset:4
	v_ashrrev_i32_e32 v9, 31, v8
	v_cmp_gt_i32_e64 s5, s9, v6
	s_delay_alu instid0(VALU_DEP_2) | instskip(NEXT) | instid1(VALU_DEP_1)
	v_lshlrev_b64_e32 v[8:9], 2, v[8:9]
	v_add_co_u32 v2, vcc_lo, s6, v8
	s_wait_alu 0xfffd
	s_delay_alu instid0(VALU_DEP_2) | instskip(SKIP_1) | instid1(VALU_DEP_3)
	v_add_co_ci_u32_e64 v8, null, s7, v9, vcc_lo
	v_cmp_gt_i32_e64 s6, s9, v27
	v_add_co_u32 v2, vcc_lo, v2, v37
	s_wait_alu 0xfffd
	s_delay_alu instid0(VALU_DEP_3) | instskip(SKIP_1) | instid1(VALU_DEP_1)
	v_add_co_ci_u32_e64 v8, null, 0, v8, vcc_lo
	s_wait_alu 0xf1ff
	v_cndmask_b32_e64 v9, s27, v8, s5
	v_cndmask_b32_e64 v8, 0, v2, s5
	v_add_nc_u32_e32 v2, s24, v27
	s_wait_loadcnt_dscnt 0x0
	ds_store_b128 v18, v[11:14] offset:8448
	flat_load_b128 v[11:14], v[8:9]
	v_dual_mov_b32 v9, 0 :: v_dual_mov_b32 v8, 0
	s_wait_loadcnt_dscnt 0x0
	ds_store_b128 v18, v[11:14] offset:12672
	s_wait_storecnt_dscnt 0x0
	s_barrier_signal -1
	s_barrier_wait -1
	global_inv scope:SCOPE_SE
	ds_load_b128 v[11:14], v44
	ds_load_b128 v[15:18], v42 offset:16896
	ds_load_b128 v[46:49], v42 offset:17408
	s_wait_dscnt 0x1
	;;#ASMSTART
	v_dot2_f32_f16 v9, v11, v15, v9
	;;#ASMEND
	;;#ASMSTART
	v_dot2_f32_f16 v9, v12, v16, v9
	;;#ASMEND
	;;#ASMSTART
	v_dot2_f32_f16 v9, v13, v17, v9
	;;#ASMEND
	;;#ASMSTART
	v_dot2_f32_f16 v9, v14, v18, v9
	;;#ASMEND
	s_wait_dscnt 0x0
	;;#ASMSTART
	v_dot2_f32_f16 v8, v11, v46, v8
	;;#ASMEND
	;;#ASMSTART
	v_dot2_f32_f16 v8, v12, v47, v8
	;;#ASMEND
	;;#ASMSTART
	v_dot2_f32_f16 v8, v13, v48, v8
	;;#ASMEND
	;;#ASMSTART
	v_dot2_f32_f16 v8, v14, v49, v8
	;;#ASMEND
	ds_load_b128 v[11:14], v44 offset:16
	ds_load_b128 v[15:18], v42 offset:16912
	ds_load_b128 v[46:49], v42 offset:17424
	s_wait_dscnt 0x1
	;;#ASMSTART
	v_dot2_f32_f16 v9, v11, v15, v9
	;;#ASMEND
	;;#ASMSTART
	v_dot2_f32_f16 v9, v12, v16, v9
	;;#ASMEND
	;;#ASMSTART
	v_dot2_f32_f16 v9, v13, v17, v9
	;;#ASMEND
	;;#ASMSTART
	v_dot2_f32_f16 v9, v14, v18, v9
	;;#ASMEND
	s_wait_dscnt 0x0
	;;#ASMSTART
	v_dot2_f32_f16 v8, v11, v46, v8
	;;#ASMEND
	;;#ASMSTART
	v_dot2_f32_f16 v8, v12, v47, v8
	;;#ASMEND
	;;#ASMSTART
	v_dot2_f32_f16 v8, v13, v48, v8
	;;#ASMEND
	;;#ASMSTART
	v_dot2_f32_f16 v8, v14, v49, v8
	;;#ASMEND
	ds_load_b128 v[11:14], v44 offset:32
	;; [unrolled: 29-line block ×31, first 2 shown]
	ds_load_b128 v[17:20], v42 offset:17392
	ds_load_b128 v[46:49], v42 offset:17904
	s_wait_dscnt 0x1
	;;#ASMSTART
	v_dot2_f32_f16 v9, v13, v17, v9
	;;#ASMEND
	v_mov_b32_e32 v12, v4
	s_wait_alu 0xfffe
	v_cndmask_b32_e64 v11, 0, 1, s11
	;;#ASMSTART
	v_dot2_f32_f16 v9, v14, v18, v9
	;;#ASMEND
	;;#ASMSTART
	v_dot2_f32_f16 v9, v15, v19, v9
	;;#ASMEND
	;; [unrolled: 3-line block ×3, first 2 shown]
	s_wait_dscnt 0x0
	;;#ASMSTART
	v_dot2_f32_f16 v8, v13, v46, v8
	;;#ASMEND
	;;#ASMSTART
	v_dot2_f32_f16 v8, v14, v47, v8
	;;#ASMEND
	;; [unrolled: 3-line block ×4, first 2 shown]
	s_and_saveexec_b32 s7, s6
	s_cbranch_execz .LBB46_24
; %bb.21:
	s_and_not1_b32 vcc_lo, exec_lo, s11
	s_wait_alu 0xfffe
	s_cbranch_vccnz .LBB46_23
; %bb.22:
	v_mad_co_u64_u32 v[12:13], null, v41, s28, v[2:3]
	s_delay_alu instid0(VALU_DEP_1) | instskip(NEXT) | instid1(VALU_DEP_1)
	v_ashrrev_i32_e32 v13, 31, v12
	v_lshlrev_b64_e32 v[12:13], 1, v[12:13]
	s_delay_alu instid0(VALU_DEP_1) | instskip(SKIP_1) | instid1(VALU_DEP_2)
	v_add_co_u32 v12, vcc_lo, s38, v12
	s_wait_alu 0xfffd
	v_add_co_ci_u32_e64 v13, null, s39, v13, vcc_lo
	global_load_u16 v10, v[12:13], off
	s_wait_loadcnt 0x0
	v_cvt_f32_f16_e32 v10, v10
	s_delay_alu instid0(VALU_DEP_1)
	v_mul_f32_e32 v10, v40, v10
.LBB46_23:
	s_delay_alu instid0(VALU_DEP_1) | instskip(NEXT) | instid1(VALU_DEP_1)
	v_dual_add_f32 v9, v9, v10 :: v_dual_max_num_f32 v12, v4, v4
	v_add_f32_e32 v10, 0x40051340, v9
	s_delay_alu instid0(VALU_DEP_1)
	v_max_num_f32_e32 v12, v12, v10
.LBB46_24:
	s_wait_alu 0xfffe
	s_or_b32 exec_lo, exec_lo, s7
	v_xor_b32_e32 v47, 16, v28
	v_xor_b32_e32 v48, 4, v28
	v_xor_b32_e32 v46, 8, v28
	v_max_num_f32_e32 v14, v12, v12
	v_xor_b32_e32 v51, 1, v28
	v_cmp_gt_i32_e32 vcc_lo, 32, v47
	v_xor_b32_e32 v49, 2, v28
	v_mov_b32_e32 v50, 32
	s_wait_alu 0xfffd
	v_cndmask_b32_e32 v10, v28, v47, vcc_lo
	v_cmp_gt_i32_e32 vcc_lo, 32, v46
	s_delay_alu instid0(VALU_DEP_2) | instskip(SKIP_3) | instid1(VALU_DEP_1)
	v_lshlrev_b32_e32 v10, 2, v10
	ds_bpermute_b32 v13, v10, v12
	s_wait_dscnt 0x0
	v_max_num_f32_e32 v13, v13, v13
	v_max_num_f32_e32 v14, v14, v13
	s_wait_alu 0xfffd
	v_cndmask_b32_e32 v12, v28, v46, vcc_lo
	v_cmp_gt_i32_e32 vcc_lo, 32, v48
	s_delay_alu instid0(VALU_DEP_2)
	v_lshlrev_b32_e32 v12, 2, v12
	s_wait_alu 0xfffd
	v_cndmask_b32_e32 v15, v28, v48, vcc_lo
	v_cmp_gt_i32_e32 vcc_lo, 32, v49
	ds_bpermute_b32 v13, v12, v14
	s_wait_dscnt 0x0
	v_dual_max_num_f32 v16, v13, v13 :: v_dual_lshlrev_b32 v13, 2, v15
	s_wait_alu 0xfffd
	s_delay_alu instid0(VALU_DEP_1)
	v_dual_max_num_f32 v15, v14, v16 :: v_dual_cndmask_b32 v16, v28, v49
	v_cmp_gt_i32_e32 vcc_lo, 32, v51
	ds_bpermute_b32 v14, v13, v15
	s_wait_dscnt 0x0
	v_dual_max_num_f32 v17, v14, v14 :: v_dual_lshlrev_b32 v14, 2, v16
	s_wait_alu 0xfffd
	s_delay_alu instid0(VALU_DEP_1) | instskip(SKIP_3) | instid1(VALU_DEP_1)
	v_dual_max_num_f32 v16, v15, v17 :: v_dual_cndmask_b32 v17, v28, v51
	ds_bpermute_b32 v15, v14, v16
	s_wait_dscnt 0x0
	v_dual_max_num_f32 v18, v15, v15 :: v_dual_lshlrev_b32 v15, 2, v17
	v_max_num_f32_e32 v16, v16, v18
	ds_bpermute_b32 v17, v15, v16
	s_wait_dscnt 0x0
	v_max_num_f32_e32 v17, v17, v17
	s_delay_alu instid0(VALU_DEP_1)
	v_max_num_f32_e32 v20, v16, v17
	v_mov_b32_e32 v16, v5
	s_and_saveexec_b32 s7, s6
	s_cbranch_execz .LBB46_29
; %bb.25:
	v_cmp_ne_u32_e32 vcc_lo, 1, v11
	s_cbranch_vccnz .LBB46_27
; %bb.26:
	v_or_b32_e32 v11, 1, v26
	s_delay_alu instid0(VALU_DEP_1) | instskip(NEXT) | instid1(VALU_DEP_1)
	v_mul_hi_u32 v16, s20, v11
	v_add_nc_u32_e32 v16, v11, v16
	s_delay_alu instid0(VALU_DEP_1) | instskip(NEXT) | instid1(VALU_DEP_1)
	v_lshrrev_b32_e32 v16, s21, v16
	v_mul_lo_u32 v16, v16, s22
	s_delay_alu instid0(VALU_DEP_1) | instskip(NEXT) | instid1(VALU_DEP_1)
	v_sub_nc_u32_e32 v11, v11, v16
	v_mad_co_u64_u32 v[16:17], null, v11, s28, v[2:3]
	s_delay_alu instid0(VALU_DEP_1) | instskip(NEXT) | instid1(VALU_DEP_1)
	v_ashrrev_i32_e32 v17, 31, v16
	v_lshlrev_b64_e32 v[16:17], 1, v[16:17]
	s_delay_alu instid0(VALU_DEP_1) | instskip(SKIP_1) | instid1(VALU_DEP_2)
	v_add_co_u32 v16, vcc_lo, s38, v16
	s_wait_alu 0xfffd
	v_add_co_ci_u32_e64 v17, null, s39, v17, vcc_lo
	global_load_u16 v2, v[16:17], off
	s_wait_loadcnt 0x0
	v_cvt_f32_f16_e32 v2, v2
	s_delay_alu instid0(VALU_DEP_1)
	v_mul_f32_e32 v2, v40, v2
	s_branch .LBB46_28
.LBB46_27:
	v_mov_b32_e32 v2, 0
.LBB46_28:
	s_delay_alu instid0(VALU_DEP_1) | instskip(NEXT) | instid1(VALU_DEP_1)
	v_dual_add_f32 v8, v8, v2 :: v_dual_max_num_f32 v11, v5, v5
	v_add_f32_e32 v2, 0x40051340, v8
	s_delay_alu instid0(VALU_DEP_1)
	v_max_num_f32_e32 v16, v11, v2
.LBB46_29:
	s_wait_alu 0xfffe
	s_or_b32 exec_lo, exec_lo, s7
	ds_bpermute_b32 v2, v10, v16
	s_mov_b32 s28, 0
	v_sub_f32_e32 v4, v4, v20
	s_wait_alu 0xfffe
	s_mov_b32 s29, s28
	s_mov_b32 s30, s28
	s_mov_b64 s[6:7], src_private_base
	s_ashr_i32 s11, s10, 31
	v_lshlrev_b32_e32 v40, 7, v35
	s_wait_alu 0xfffe
	s_mul_u64 s[20:21], s[24:25], s[10:11]
	s_wait_loadcnt_dscnt 0x0
	s_wait_alu 0xfffe
	s_lshl_b64 s[20:21], s[20:21], 2
	s_barrier_signal -1
	s_wait_alu 0xfffe
	s_add_nc_u64 s[14:15], s[14:15], s[20:21]
	s_barrier_wait -1
	global_inv scope:SCOPE_SE
	v_lshl_add_u32 v17, v35, 9, v37
	v_lshl_add_u32 v7, v7, 9, v37
	;; [unrolled: 1-line block ×3, first 2 shown]
	v_add_nc_u32_e32 v180, 0x3800, v31
	v_add_nc_u32_e32 v42, 0x3000, v31
	v_dual_max_num_f32 v2, v2, v2 :: v_dual_sub_f32 v9, v9, v20
	v_dual_max_num_f32 v10, v16, v16 :: v_dual_mov_b32 v19, 0
	v_add_nc_u32_e32 v41, 0x2800, v31
	s_delay_alu instid0(VALU_DEP_3) | instskip(NEXT) | instid1(VALU_DEP_3)
	v_cmp_ngt_f32_e32 vcc_lo, 0xc2ce8ed0, v9
	v_max_num_f32_e32 v2, v10, v2
	ds_bpermute_b32 v10, v12, v2
	s_wait_dscnt 0x0
	v_max_num_f32_e32 v10, v10, v10
	s_delay_alu instid0(VALU_DEP_1) | instskip(SKIP_3) | instid1(VALU_DEP_1)
	v_max_num_f32_e32 v2, v2, v10
	ds_bpermute_b32 v10, v13, v2
	s_wait_dscnt 0x0
	v_max_num_f32_e32 v10, v10, v10
	v_max_num_f32_e32 v2, v2, v10
	ds_bpermute_b32 v10, v14, v2
	s_wait_dscnt 0x0
	v_max_num_f32_e32 v10, v10, v10
	s_delay_alu instid0(VALU_DEP_1) | instskip(SKIP_3) | instid1(VALU_DEP_1)
	v_max_num_f32_e32 v2, v2, v10
	ds_bpermute_b32 v10, v15, v2
	s_wait_dscnt 0x0
	v_max_num_f32_e32 v10, v10, v10
	v_dual_max_num_f32 v21, v2, v10 :: v_dual_mul_f32 v2, 0x3fb8aa3b, v9
	s_delay_alu instid0(VALU_DEP_1) | instskip(NEXT) | instid1(VALU_DEP_2)
	v_sub_f32_e32 v8, v8, v21
	v_fma_f32 v11, 0x3fb8aa3b, v9, -v2
	v_rndne_f32_e32 v12, v2
	s_delay_alu instid0(VALU_DEP_3) | instskip(NEXT) | instid1(VALU_DEP_2)
	v_dual_sub_f32 v5, v5, v21 :: v_dual_mul_f32 v10, 0x3fb8aa3b, v8
	v_dual_fmac_f32 v11, 0x32a5705f, v9 :: v_dual_sub_f32 v2, v2, v12
	v_cvt_i32_f32_e32 v12, v12
	v_cmp_nlt_f32_e64 s6, 0x42b17218, v8
	s_delay_alu instid0(VALU_DEP_4) | instskip(SKIP_1) | instid1(VALU_DEP_2)
	v_fma_f32 v13, 0x3fb8aa3b, v8, -v10
	v_rndne_f32_e32 v14, v10
	v_dual_add_f32 v2, v2, v11 :: v_dual_fmac_f32 v13, 0x32a5705f, v8
	s_delay_alu instid0(VALU_DEP_2) | instskip(NEXT) | instid1(VALU_DEP_2)
	v_sub_f32_e32 v10, v10, v14
	v_exp_f32_e32 v11, v2
	v_lshlrev_b64_e32 v[1:2], 2, v[0:1]
	s_delay_alu instid0(VALU_DEP_2) | instskip(SKIP_3) | instid1(VALU_DEP_4)
	v_add_f32_e32 v10, v10, v13
	v_cvt_i32_f32_e32 v13, v14
	v_dual_mov_b32 v14, s28 :: v_dual_mov_b32 v15, s29
	v_mov_b32_e32 v16, s30
	v_exp_f32_e32 v10, v10
	s_delay_alu instid0(TRANS32_DEP_2)
	v_ldexp_f32 v11, v11, v12
	v_add3_u32 v12, 0x6200, v40, v25
	s_clause 0x1
	scratch_store_b32 off, v19, off
	scratch_store_b96 off, v[14:16], off offset:4
	s_wait_alu 0xfffd
	v_cndmask_b32_e32 v11, 0, v11, vcc_lo
	v_cmp_ngt_f32_e32 vcc_lo, 0xc2ce8ed0, v8
	v_ldexp_f32 v10, v10, v13
	s_wait_alu 0xfffd
	s_delay_alu instid0(VALU_DEP_1) | instskip(SKIP_2) | instid1(VALU_DEP_2)
	v_cndmask_b32_e32 v10, 0, v10, vcc_lo
	v_cmp_nlt_f32_e32 vcc_lo, 0x42b17218, v9
	s_wait_alu 0xf1ff
	v_cndmask_b32_e64 v8, 0x7f800000, v10, s6
	s_wait_alu 0xfffd
	v_cndmask_b32_e32 v9, 0x7f800000, v11, vcc_lo
	v_cmp_gt_u32_e32 vcc_lo, s9, v27
	s_wait_alu 0xfffd
	s_delay_alu instid0(VALU_DEP_2) | instskip(SKIP_3) | instid1(VALU_DEP_3)
	v_dual_cndmask_b32 v9, 0, v9 :: v_dual_cndmask_b32 v8, 0, v8
	v_add_co_u32 v1, vcc_lo, s14, v1
	s_wait_alu 0xfffd
	v_add_co_ci_u32_e64 v2, null, s15, v2, vcc_lo
	v_cvt_f16_f32_e32 v10, v9
	s_delay_alu instid0(VALU_DEP_3) | instskip(SKIP_3) | instid1(VALU_DEP_3)
	v_add_co_u32 v1, vcc_lo, v1, v37
	v_cvt_f16_f32_e32 v11, v8
	s_wait_alu 0xfffd
	v_add_co_ci_u32_e64 v2, null, 0, v2, vcc_lo
	v_cndmask_b32_e64 v1, 0, v1, s2
	s_delay_alu instid0(VALU_DEP_3) | instskip(NEXT) | instid1(VALU_DEP_3)
	v_pack_b32_f16 v10, v10, v11
	v_cndmask_b32_e64 v2, s7, v2, s2
	s_lshl_b32 s2, s10, 3
	s_wait_alu 0xfffe
	v_add_nc_u32_e32 v0, s2, v0
	ds_store_b32 v12, v10
	flat_load_b128 v[10:13], v[1:2]
	s_clause 0x1
	scratch_store_b32 off, v19, off
	scratch_store_b96 off, v[14:16], off offset:4
	v_ashrrev_i32_e32 v1, 31, v0
	s_delay_alu instid0(VALU_DEP_1) | instskip(NEXT) | instid1(VALU_DEP_1)
	v_lshlrev_b64_e32 v[1:2], 2, v[0:1]
	v_add_co_u32 v1, vcc_lo, s14, v1
	s_wait_alu 0xfffd
	s_delay_alu instid0(VALU_DEP_2) | instskip(NEXT) | instid1(VALU_DEP_2)
	v_add_co_ci_u32_e64 v2, null, s15, v2, vcc_lo
	v_add_co_u32 v1, vcc_lo, v1, v37
	s_wait_alu 0xfffd
	s_delay_alu instid0(VALU_DEP_2) | instskip(NEXT) | instid1(VALU_DEP_2)
	v_add_co_ci_u32_e64 v2, null, 0, v2, vcc_lo
	v_cndmask_b32_e64 v1, 0, v1, s3
	s_delay_alu instid0(VALU_DEP_2)
	v_cndmask_b32_e64 v2, s7, v2, s3
	s_wait_loadcnt_dscnt 0x0
	ds_store_b128 v17, v[10:13]
	flat_load_b128 v[10:13], v[1:2]
	v_add_nc_u32_e32 v17, s2, v0
	v_lshl_add_u32 v2, v3, 9, v37
	s_clause 0x1
	scratch_store_b32 off, v19, off
	scratch_store_b96 off, v[14:16], off offset:4
	v_ashrrev_i32_e32 v18, 31, v17
	s_delay_alu instid0(VALU_DEP_1) | instskip(NEXT) | instid1(VALU_DEP_1)
	v_lshlrev_b64_e32 v[0:1], 2, v[17:18]
	v_add_co_u32 v0, vcc_lo, s14, v0
	s_wait_alu 0xfffd
	s_delay_alu instid0(VALU_DEP_2) | instskip(NEXT) | instid1(VALU_DEP_2)
	v_add_co_ci_u32_e64 v1, null, s15, v1, vcc_lo
	v_add_co_u32 v0, vcc_lo, v0, v37
	s_wait_alu 0xfffd
	s_delay_alu instid0(VALU_DEP_2) | instskip(NEXT) | instid1(VALU_DEP_2)
	v_add_co_ci_u32_e64 v1, null, 0, v1, vcc_lo
	v_cndmask_b32_e64 v0, 0, v0, s4
	s_delay_alu instid0(VALU_DEP_2)
	v_cndmask_b32_e64 v1, s7, v1, s4
	s_wait_loadcnt_dscnt 0x0
	ds_store_b128 v2, v[10:13]
	flat_load_b128 v[0:3], v[0:1]
	v_add_nc_u32_e32 v10, s2, v17
	s_clause 0x1
	scratch_store_b32 off, v19, off
	scratch_store_b96 off, v[14:16], off offset:4
	v_ashrrev_i32_e32 v11, 31, v10
	s_delay_alu instid0(VALU_DEP_1) | instskip(NEXT) | instid1(VALU_DEP_1)
	v_lshlrev_b64_e32 v[10:11], 2, v[10:11]
	v_add_co_u32 v10, vcc_lo, s14, v10
	s_wait_alu 0xfffd
	s_delay_alu instid0(VALU_DEP_2) | instskip(NEXT) | instid1(VALU_DEP_2)
	v_add_co_ci_u32_e64 v11, null, s15, v11, vcc_lo
	v_add_co_u32 v10, vcc_lo, v10, v37
	s_wait_alu 0xfffd
	s_delay_alu instid0(VALU_DEP_2) | instskip(SKIP_1) | instid1(VALU_DEP_3)
	v_add_co_ci_u32_e64 v11, null, 0, v11, vcc_lo
	v_cmp_ngt_f32_e32 vcc_lo, 0xc2ce8ed0, v4
	v_cndmask_b32_e64 v10, 0, v10, s5
	s_delay_alu instid0(VALU_DEP_3) | instskip(SKIP_4) | instid1(VALU_DEP_1)
	v_cndmask_b32_e64 v11, s7, v11, s5
	s_wait_loadcnt_dscnt 0x0
	ds_store_b128 v7, v[0:3]
	flat_load_b128 v[0:3], v[10:11]
	v_dual_mul_f32 v7, 0x3fb8aa3b, v4 :: v_dual_mul_f32 v10, 0x3fb8aa3b, v5
	v_fma_f32 v11, 0x3fb8aa3b, v4, -v7
	v_rndne_f32_e32 v12, v7
	s_delay_alu instid0(VALU_DEP_3) | instskip(SKIP_1) | instid1(VALU_DEP_4)
	v_fma_f32 v13, 0x3fb8aa3b, v5, -v10
	v_rndne_f32_e32 v14, v10
	v_fmac_f32_e32 v11, 0x32a5705f, v4
	s_delay_alu instid0(VALU_DEP_4) | instskip(NEXT) | instid1(VALU_DEP_3)
	v_sub_f32_e32 v7, v7, v12
	v_dual_fmac_f32 v13, 0x32a5705f, v5 :: v_dual_sub_f32 v10, v10, v14
	s_delay_alu instid0(VALU_DEP_2) | instskip(SKIP_1) | instid1(VALU_DEP_3)
	v_add_f32_e32 v7, v7, v11
	v_cvt_i32_f32_e32 v11, v12
	v_add_f32_e32 v10, v10, v13
	v_cvt_i32_f32_e32 v12, v14
	v_add_nc_u32_e32 v13, 0x2000, v31
	v_exp_f32_e32 v7, v7
	s_delay_alu instid0(VALU_DEP_3) | instskip(NEXT) | instid1(TRANS32_DEP_2)
	v_exp_f32_e32 v10, v10
	v_ldexp_f32 v7, v7, v11
	v_add_nc_u32_e32 v11, 0x1000, v31
	s_delay_alu instid0(TRANS32_DEP_1)
	v_ldexp_f32 v10, v10, v12
	v_add_nc_u32_e32 v12, 0x1800, v31
	s_wait_alu 0xfffd
	v_cndmask_b32_e32 v7, 0, v7, vcc_lo
	v_cmp_ngt_f32_e32 vcc_lo, 0xc2ce8ed0, v5
	s_wait_alu 0xfffd
	v_cndmask_b32_e32 v10, 0, v10, vcc_lo
	v_cmp_nlt_f32_e32 vcc_lo, 0x42b17218, v4
	s_wait_alu 0xfffd
	v_cndmask_b32_e32 v4, 0x7f800000, v7, vcc_lo
	v_cmp_nlt_f32_e32 vcc_lo, 0x42b17218, v5
	v_add_nc_u32_e32 v7, 0x800, v31
	s_delay_alu instid0(VALU_DEP_3) | instskip(SKIP_3) | instid1(VALU_DEP_3)
	v_fmac_f32_e32 v9, v45, v4
	s_wait_alu 0xfffd
	v_cndmask_b32_e32 v5, 0x7f800000, v10, vcc_lo
	v_cvt_f16_f32_e32 v10, v4
	v_mov_b32_e32 v45, v9
	s_delay_alu instid0(VALU_DEP_3) | instskip(NEXT) | instid1(VALU_DEP_3)
	v_cvt_f16_f32_e32 v14, v5
	v_and_b32_e32 v10, 0xffff, v10
	v_fmac_f32_e32 v8, v43, v5
	s_delay_alu instid0(VALU_DEP_3) | instskip(NEXT) | instid1(VALU_DEP_3)
	v_and_b32_e32 v4, 0xffff, v14
	v_mul_u32_u24_e32 v44, 0x10001, v10
	s_delay_alu instid0(VALU_DEP_3) | instskip(NEXT) | instid1(VALU_DEP_3)
	v_mov_b32_e32 v43, v8
	v_mul_u32_u24_e32 v184, 0x10001, v4
	s_delay_alu instid0(VALU_DEP_3) | instskip(SKIP_2) | instid1(VALU_DEP_4)
	v_pk_mul_f16 v185, v39, v44
	v_pk_mul_f16 v186, v36, v44
	;; [unrolled: 1-line block ×6, first 2 shown]
	s_wait_loadcnt_dscnt 0x0
	ds_store_b128 v6, v[0:3]
	s_wait_storecnt_dscnt 0x0
	s_barrier_signal -1
	s_barrier_wait -1
	global_inv scope:SCOPE_SE
	ds_load_2addr_b64 v[32:35], v31 offset1:32
	ds_load_b128 v[36:39], v40 offset:25088
	ds_load_b128 v[52:55], v40 offset:25104
	;; [unrolled: 1-line block ×4, first 2 shown]
	ds_load_2addr_b64 v[64:67], v31 offset0:64 offset1:96
	ds_load_2addr_b64 v[68:71], v31 offset0:128 offset1:160
	ds_load_2addr_b64 v[72:75], v31 offset0:192 offset1:224
	ds_load_2addr_b64 v[76:79], v7 offset1:32
	ds_load_2addr_b64 v[80:83], v7 offset0:64 offset1:96
	ds_load_2addr_b64 v[84:87], v7 offset0:128 offset1:160
	ds_load_2addr_b64 v[88:91], v7 offset0:192 offset1:224
	ds_load_2addr_b64 v[92:95], v11 offset1:32
	;; [unrolled: 4-line block ×5, first 2 shown]
	ds_load_b128 v[144:147], v40 offset:25152
	ds_load_b128 v[148:151], v40 offset:25168
	ds_load_2addr_b64 v[16:19], v41 offset0:64 offset1:96
	ds_load_2addr_b64 v[12:15], v41 offset0:128 offset1:160
	;; [unrolled: 1-line block ×3, first 2 shown]
	ds_load_2addr_b64 v[4:7], v42 offset1:32
	ds_load_2addr_b64 v[0:3], v42 offset0:64 offset1:96
	ds_load_b128 v[152:155], v40 offset:25184
	ds_load_b128 v[156:159], v40 offset:25200
	ds_load_2addr_b64 v[160:163], v42 offset0:128 offset1:160
	ds_load_2addr_b64 v[164:167], v42 offset0:192 offset1:224
	ds_load_2addr_b64 v[168:171], v180 offset1:32
	ds_load_2addr_b64 v[172:175], v180 offset0:64 offset1:96
	ds_load_2addr_b64 v[176:179], v180 offset0:128 offset1:160
	;; [unrolled: 1-line block ×3, first 2 shown]
	s_wait_dscnt 0x26
	v_lshrrev_b32_e32 v31, 16, v36
	v_and_b32_e32 v36, 0xffff, v36
	v_lshrrev_b32_e32 v40, 16, v37
	v_and_b32_e32 v37, 0xffff, v37
	v_lshrrev_b32_e32 v41, 16, v38
	v_mul_u32_u24_e32 v31, 0x10001, v31
	v_mul_u32_u24_e32 v36, 0x10001, v36
	v_and_b32_e32 v38, 0xffff, v38
	v_mul_u32_u24_e32 v37, 0x10001, v37
	v_mul_u32_u24_e32 v40, 0x10001, v40
	v_lshrrev_b32_e32 v42, 16, v39
	v_pk_fma_f16 v185, v33, v36, v185
	v_pk_fma_f16 v186, v34, v36, v186
	;; [unrolled: 1-line block ×3, first 2 shown]
	v_pk_mul_f16 v36, v32, v36
	v_pk_mul_f16 v32, v32, v31
	v_pk_fma_f16 v33, v33, v31, v188
	v_pk_fma_f16 v34, v34, v31, v189
	;; [unrolled: 1-line block ×5, first 2 shown]
	v_and_b32_e32 v39, 0xffff, v39
	v_mul_u32_u24_e32 v38, 0x10001, v38
	v_mul_u32_u24_e32 v41, 0x10001, v41
	s_wait_dscnt 0x22
	v_pk_fma_f16 v32, v65, v37, v185
	v_pk_fma_f16 v35, v66, v37, v186
	v_pk_fma_f16 v33, v65, v40, v33
	v_pk_fma_f16 v36, v67, v37, v187
	v_pk_fma_f16 v34, v66, v40, v34
	v_pk_fma_f16 v31, v67, v40, v31
	v_pk_fma_f16 v30, v64, v37, v30
	v_pk_fma_f16 v29, v64, v40, v29
	v_lshrrev_b32_e32 v191, 16, v52
	v_and_b32_e32 v52, 0xffff, v52
	v_mul_u32_u24_e32 v39, 0x10001, v39
	v_mul_u32_u24_e32 v42, 0x10001, v42
	s_wait_dscnt 0x21
	v_pk_fma_f16 v32, v69, v38, v32
	v_pk_fma_f16 v35, v70, v38, v35
	v_pk_fma_f16 v33, v69, v41, v33
	v_pk_fma_f16 v36, v71, v38, v36
	v_pk_fma_f16 v34, v70, v41, v34
	v_pk_fma_f16 v31, v71, v41, v31
	v_pk_fma_f16 v30, v68, v38, v30
	v_pk_fma_f16 v29, v68, v41, v29
	v_lshrrev_b32_e32 v192, 16, v53
	v_and_b32_e32 v53, 0xffff, v53
	v_mul_u32_u24_e32 v52, 0x10001, v52
	v_mul_u32_u24_e32 v191, 0x10001, v191
	s_wait_dscnt 0x20
	v_pk_fma_f16 v32, v73, v39, v32
	v_pk_fma_f16 v33, v73, v42, v33
	v_pk_fma_f16 v35, v74, v39, v35
	v_pk_fma_f16 v34, v74, v42, v34
	v_pk_fma_f16 v36, v75, v39, v36
	v_pk_fma_f16 v31, v75, v42, v31
	v_pk_fma_f16 v30, v72, v39, v30
	v_pk_fma_f16 v29, v72, v42, v29
	v_lshrrev_b32_e32 v193, 16, v54
	v_and_b32_e32 v54, 0xffff, v54
	v_mul_u32_u24_e32 v53, 0x10001, v53
	v_mul_u32_u24_e32 v192, 0x10001, v192
	s_wait_dscnt 0x1f
	v_pk_fma_f16 v32, v77, v52, v32
	v_pk_fma_f16 v35, v78, v52, v35
	v_pk_fma_f16 v33, v77, v191, v33
	v_pk_fma_f16 v36, v79, v52, v36
	v_pk_fma_f16 v34, v78, v191, v34
	v_pk_fma_f16 v31, v79, v191, v31
	v_pk_fma_f16 v30, v76, v52, v30
	v_pk_fma_f16 v29, v76, v191, v29
	v_lshrrev_b32_e32 v194, 16, v55
	v_and_b32_e32 v55, 0xffff, v55
	v_mul_u32_u24_e32 v54, 0x10001, v54
	v_mul_u32_u24_e32 v193, 0x10001, v193
	s_wait_dscnt 0x1e
	v_pk_fma_f16 v32, v81, v53, v32
	v_pk_fma_f16 v33, v81, v192, v33
	v_pk_fma_f16 v35, v82, v53, v35
	v_pk_fma_f16 v34, v82, v192, v34
	v_pk_fma_f16 v36, v83, v53, v36
	v_pk_fma_f16 v31, v83, v192, v31
	v_pk_fma_f16 v30, v80, v53, v30
	v_pk_fma_f16 v29, v80, v192, v29
	v_lshrrev_b32_e32 v195, 16, v56
	v_and_b32_e32 v56, 0xffff, v56
	v_mul_u32_u24_e32 v55, 0x10001, v55
	v_mul_u32_u24_e32 v194, 0x10001, v194
	s_wait_dscnt 0x1d
	v_pk_fma_f16 v32, v85, v54, v32
	v_pk_fma_f16 v33, v85, v193, v33
	v_pk_fma_f16 v35, v86, v54, v35
	v_pk_fma_f16 v34, v86, v193, v34
	v_pk_fma_f16 v36, v87, v54, v36
	v_pk_fma_f16 v31, v87, v193, v31
	v_pk_fma_f16 v30, v84, v54, v30
	v_pk_fma_f16 v29, v84, v193, v29
	v_lshrrev_b32_e32 v196, 16, v57
	v_and_b32_e32 v57, 0xffff, v57
	v_mul_u32_u24_e32 v56, 0x10001, v56
	v_mul_u32_u24_e32 v195, 0x10001, v195
	s_wait_dscnt 0x1c
	v_pk_fma_f16 v32, v89, v55, v32
	v_pk_fma_f16 v33, v89, v194, v33
	v_pk_fma_f16 v35, v90, v55, v35
	v_pk_fma_f16 v34, v90, v194, v34
	v_pk_fma_f16 v36, v91, v55, v36
	v_pk_fma_f16 v31, v91, v194, v31
	v_pk_fma_f16 v30, v88, v55, v30
	v_pk_fma_f16 v29, v88, v194, v29
	v_lshrrev_b32_e32 v197, 16, v58
	v_and_b32_e32 v58, 0xffff, v58
	v_mul_u32_u24_e32 v57, 0x10001, v57
	v_mul_u32_u24_e32 v196, 0x10001, v196
	s_wait_dscnt 0x1b
	v_pk_fma_f16 v32, v93, v56, v32
	v_pk_fma_f16 v33, v93, v195, v33
	v_pk_fma_f16 v35, v94, v56, v35
	v_pk_fma_f16 v34, v94, v195, v34
	v_pk_fma_f16 v36, v95, v56, v36
	v_pk_fma_f16 v31, v95, v195, v31
	v_pk_fma_f16 v30, v92, v56, v30
	v_pk_fma_f16 v29, v92, v195, v29
	v_lshrrev_b32_e32 v198, 16, v59
	v_and_b32_e32 v59, 0xffff, v59
	v_mul_u32_u24_e32 v58, 0x10001, v58
	v_mul_u32_u24_e32 v197, 0x10001, v197
	s_wait_dscnt 0x1a
	v_pk_fma_f16 v32, v97, v57, v32
	v_pk_fma_f16 v33, v97, v196, v33
	v_pk_fma_f16 v35, v98, v57, v35
	v_pk_fma_f16 v34, v98, v196, v34
	v_pk_fma_f16 v36, v99, v57, v36
	v_pk_fma_f16 v31, v99, v196, v31
	v_pk_fma_f16 v30, v96, v57, v30
	v_pk_fma_f16 v29, v96, v196, v29
	v_lshrrev_b32_e32 v199, 16, v60
	v_and_b32_e32 v60, 0xffff, v60
	v_mul_u32_u24_e32 v59, 0x10001, v59
	v_mul_u32_u24_e32 v198, 0x10001, v198
	s_wait_dscnt 0x19
	v_pk_fma_f16 v32, v101, v58, v32
	v_pk_fma_f16 v33, v101, v197, v33
	v_pk_fma_f16 v35, v102, v58, v35
	v_pk_fma_f16 v34, v102, v197, v34
	v_pk_fma_f16 v36, v103, v58, v36
	v_pk_fma_f16 v31, v103, v197, v31
	v_pk_fma_f16 v30, v100, v58, v30
	v_pk_fma_f16 v29, v100, v197, v29
	v_lshrrev_b32_e32 v200, 16, v61
	v_and_b32_e32 v61, 0xffff, v61
	v_mul_u32_u24_e32 v60, 0x10001, v60
	v_mul_u32_u24_e32 v199, 0x10001, v199
	s_wait_dscnt 0x18
	v_pk_fma_f16 v32, v105, v59, v32
	v_pk_fma_f16 v33, v105, v198, v33
	v_pk_fma_f16 v35, v106, v59, v35
	v_pk_fma_f16 v34, v106, v198, v34
	v_pk_fma_f16 v36, v107, v59, v36
	v_pk_fma_f16 v31, v107, v198, v31
	v_pk_fma_f16 v30, v104, v59, v30
	v_pk_fma_f16 v29, v104, v198, v29
	v_lshrrev_b32_e32 v201, 16, v62
	v_and_b32_e32 v62, 0xffff, v62
	v_mul_u32_u24_e32 v61, 0x10001, v61
	v_mul_u32_u24_e32 v200, 0x10001, v200
	s_wait_dscnt 0x17
	v_pk_fma_f16 v32, v109, v60, v32
	v_pk_fma_f16 v33, v109, v199, v33
	v_pk_fma_f16 v35, v110, v60, v35
	v_pk_fma_f16 v34, v110, v199, v34
	v_pk_fma_f16 v36, v111, v60, v36
	v_pk_fma_f16 v31, v111, v199, v31
	v_pk_fma_f16 v30, v108, v60, v30
	v_pk_fma_f16 v29, v108, v199, v29
	v_lshrrev_b32_e32 v202, 16, v63
	v_and_b32_e32 v63, 0xffff, v63
	v_mul_u32_u24_e32 v62, 0x10001, v62
	v_mul_u32_u24_e32 v201, 0x10001, v201
	s_wait_dscnt 0x16
	v_pk_fma_f16 v32, v113, v61, v32
	v_pk_fma_f16 v33, v113, v200, v33
	;; [unrolled: 1-line block ×8, first 2 shown]
	s_wait_dscnt 0xe
	v_lshrrev_b32_e32 v203, 16, v144
	v_and_b32_e32 v144, 0xffff, v144
	v_mul_u32_u24_e32 v63, 0x10001, v63
	v_mul_u32_u24_e32 v202, 0x10001, v202
	v_pk_fma_f16 v32, v117, v62, v32
	v_pk_fma_f16 v33, v117, v201, v33
	v_pk_fma_f16 v35, v118, v62, v35
	v_pk_fma_f16 v34, v118, v201, v34
	v_pk_fma_f16 v36, v119, v62, v36
	v_pk_fma_f16 v31, v119, v201, v31
	v_pk_fma_f16 v30, v116, v62, v30
	v_pk_fma_f16 v29, v116, v201, v29
	v_lshrrev_b32_e32 v204, 16, v145
	v_and_b32_e32 v145, 0xffff, v145
	v_mul_u32_u24_e32 v144, 0x10001, v144
	v_mul_u32_u24_e32 v203, 0x10001, v203
	v_pk_fma_f16 v32, v121, v63, v32
	v_pk_fma_f16 v33, v121, v202, v33
	v_pk_fma_f16 v35, v122, v63, v35
	v_pk_fma_f16 v34, v122, v202, v34
	v_pk_fma_f16 v36, v123, v63, v36
	v_pk_fma_f16 v31, v123, v202, v31
	v_pk_fma_f16 v30, v120, v63, v30
	v_pk_fma_f16 v29, v120, v202, v29
	;; [unrolled: 12-line block ×4, first 2 shown]
	s_wait_dscnt 0xd
	v_lshrrev_b32_e32 v207, 16, v148
	v_and_b32_e32 v148, 0xffff, v148
	v_mul_u32_u24_e32 v147, 0x10001, v147
	v_mul_u32_u24_e32 v206, 0x10001, v206
	v_pk_fma_f16 v32, v133, v146, v32
	v_pk_fma_f16 v33, v133, v205, v33
	v_pk_fma_f16 v35, v134, v146, v35
	v_pk_fma_f16 v34, v134, v205, v34
	v_pk_fma_f16 v36, v135, v146, v36
	v_pk_fma_f16 v31, v135, v205, v31
	v_pk_fma_f16 v30, v132, v146, v30
	v_pk_fma_f16 v29, v132, v205, v29
	v_lshrrev_b32_e32 v208, 16, v149
	v_and_b32_e32 v149, 0xffff, v149
	v_mul_u32_u24_e32 v148, 0x10001, v148
	v_mul_u32_u24_e32 v207, 0x10001, v207
	v_pk_fma_f16 v32, v137, v147, v32
	v_pk_fma_f16 v33, v137, v206, v33
	v_pk_fma_f16 v35, v138, v147, v35
	v_pk_fma_f16 v34, v138, v206, v34
	v_pk_fma_f16 v36, v139, v147, v36
	v_pk_fma_f16 v31, v139, v206, v31
	v_pk_fma_f16 v30, v136, v147, v30
	v_pk_fma_f16 v29, v136, v206, v29
	;; [unrolled: 12-line block ×3, first 2 shown]
	v_lshrrev_b32_e32 v210, 16, v151
	v_and_b32_e32 v151, 0xffff, v151
	v_mul_u32_u24_e32 v150, 0x10001, v150
	v_mul_u32_u24_e32 v209, 0x10001, v209
	s_wait_dscnt 0xc
	v_pk_fma_f16 v32, v17, v149, v32
	v_pk_fma_f16 v17, v17, v208, v33
	;; [unrolled: 1-line block ×8, first 2 shown]
	s_wait_dscnt 0x7
	v_lshrrev_b32_e32 v211, 16, v152
	v_and_b32_e32 v152, 0xffff, v152
	v_mul_u32_u24_e32 v151, 0x10001, v151
	v_mul_u32_u24_e32 v210, 0x10001, v210
	v_pk_fma_f16 v29, v13, v150, v32
	v_pk_fma_f16 v13, v13, v209, v17
	v_pk_fma_f16 v17, v14, v150, v33
	v_pk_fma_f16 v14, v14, v209, v18
	v_pk_fma_f16 v18, v15, v150, v34
	v_pk_fma_f16 v15, v15, v209, v19
	v_pk_fma_f16 v19, v12, v150, v30
	v_pk_fma_f16 v12, v12, v209, v16
	v_lshrrev_b32_e32 v212, 16, v153
	v_and_b32_e32 v153, 0xffff, v153
	v_mul_u32_u24_e32 v152, 0x10001, v152
	v_mul_u32_u24_e32 v211, 0x10001, v211
	v_pk_fma_f16 v16, v9, v151, v29
	v_pk_fma_f16 v9, v9, v210, v13
	v_pk_fma_f16 v13, v10, v151, v17
	v_pk_fma_f16 v10, v10, v210, v14
	v_pk_fma_f16 v14, v11, v151, v18
	v_pk_fma_f16 v11, v11, v210, v15
	v_pk_fma_f16 v15, v8, v151, v19
	v_pk_fma_f16 v8, v8, v210, v12
	;; [unrolled: 12-line block ×3, first 2 shown]
	v_lshrrev_b32_e32 v214, 16, v155
	v_and_b32_e32 v155, 0xffff, v155
	v_mul_u32_u24_e32 v154, 0x10001, v154
	v_pk_fma_f16 v8, v1, v153, v12
	v_pk_fma_f16 v1, v1, v212, v5
	;; [unrolled: 1-line block ×3, first 2 shown]
	v_mul_u32_u24_e32 v213, 0x10001, v213
	v_pk_fma_f16 v2, v2, v212, v6
	v_pk_fma_f16 v6, v3, v153, v10
	;; [unrolled: 1-line block ×5, first 2 shown]
	s_wait_dscnt 0x6
	v_lshrrev_b32_e32 v215, 16, v156
	v_and_b32_e32 v156, 0xffff, v156
	v_mul_u32_u24_e32 v155, 0x10001, v155
	s_wait_dscnt 0x5
	v_pk_fma_f16 v4, v161, v154, v8
	v_pk_fma_f16 v5, v162, v154, v5
	v_mul_u32_u24_e32 v214, 0x10001, v214
	v_pk_fma_f16 v1, v161, v213, v1
	v_pk_fma_f16 v2, v162, v213, v2
	v_pk_fma_f16 v6, v163, v154, v6
	v_pk_fma_f16 v3, v163, v213, v3
	v_pk_fma_f16 v7, v160, v154, v7
	v_pk_fma_f16 v0, v160, v213, v0
	v_lshrrev_b32_e32 v216, 16, v157
	v_and_b32_e32 v157, 0xffff, v157
	v_mul_u32_u24_e32 v156, 0x10001, v156
	s_wait_dscnt 0x4
	v_pk_fma_f16 v4, v165, v155, v4
	v_pk_fma_f16 v5, v166, v155, v5
	v_mul_u32_u24_e32 v215, 0x10001, v215
	v_pk_fma_f16 v1, v165, v214, v1
	v_pk_fma_f16 v2, v166, v214, v2
	v_pk_fma_f16 v6, v167, v155, v6
	v_pk_fma_f16 v3, v167, v214, v3
	v_pk_fma_f16 v7, v164, v155, v7
	v_pk_fma_f16 v0, v164, v214, v0
	;; [unrolled: 13-line block ×4, first 2 shown]
	v_mul_u32_u24_e32 v159, 0x10001, v159
	s_wait_dscnt 0x1
	v_pk_fma_f16 v4, v177, v158, v4
	v_pk_fma_f16 v5, v178, v158, v5
	v_mul_u32_u24_e32 v218, 0x10001, v218
	v_pk_fma_f16 v1, v177, v217, v1
	v_pk_fma_f16 v2, v178, v217, v2
	;; [unrolled: 1-line block ×6, first 2 shown]
	s_wait_dscnt 0x0
	v_pk_fma_f16 v39, v181, v159, v4
	v_pk_fma_f16 v36, v182, v159, v5
	v_mov_b32_e32 v4, v20
	v_pk_fma_f16 v34, v181, v218, v1
	v_pk_fma_f16 v33, v182, v218, v2
	;; [unrolled: 1-line block ×6, first 2 shown]
	v_mov_b32_e32 v5, v21
	s_wait_loadcnt 0x0
	s_barrier_signal -1
	s_barrier_wait -1
	global_inv scope:SCOPE_SE
.LBB46_30:
	v_cmp_lt_i32_e32 vcc_lo, v47, v50
	s_cmp_eq_u64 s[12:13], 0
	s_cselect_b32 s2, -1, 0
	s_cmp_lg_u32 s8, 0
	s_wait_alu 0xfffd
	v_cndmask_b32_e32 v0, v28, v47, vcc_lo
	v_cmp_lt_i32_e32 vcc_lo, v46, v50
	s_cselect_b32 s3, -1, 0
	s_wait_alu 0xfffe
	s_or_b32 s2, s3, s2
	v_lshlrev_b32_e32 v0, 2, v0
	s_wait_alu 0xfffd
	v_cndmask_b32_e32 v2, v28, v46, vcc_lo
	v_cmp_lt_i32_e32 vcc_lo, v48, v50
	ds_bpermute_b32 v1, v0, v45
	v_lshlrev_b32_e32 v2, 2, v2
	s_wait_alu 0xfffd
	v_cndmask_b32_e32 v6, v28, v48, vcc_lo
	v_cmp_lt_i32_e32 vcc_lo, v49, v50
	s_wait_dscnt 0x0
	s_delay_alu instid0(VALU_DEP_2)
	v_dual_add_f32 v1, v45, v1 :: v_dual_lshlrev_b32 v6, 2, v6
	ds_bpermute_b32 v3, v2, v1
	s_wait_dscnt 0x0
	v_add_f32_e32 v1, v1, v3
	ds_bpermute_b32 v0, v0, v43
	s_wait_dscnt 0x0
	v_add_f32_e32 v0, v43, v0
	;; [unrolled: 3-line block ×3, first 2 shown]
	ds_bpermute_b32 v2, v6, v1
	ds_bpermute_b32 v3, v6, v0
	s_wait_alu 0xfffd
	v_cndmask_b32_e32 v6, v28, v49, vcc_lo
	v_cmp_lt_i32_e32 vcc_lo, v51, v50
	s_delay_alu instid0(VALU_DEP_2)
	v_lshlrev_b32_e32 v6, 2, v6
	s_wait_dscnt 0x0
	v_dual_add_f32 v1, v1, v2 :: v_dual_add_f32 v0, v0, v3
	ds_bpermute_b32 v2, v6, v1
	ds_bpermute_b32 v3, v6, v0
	s_wait_alu 0xfffd
	v_cndmask_b32_e32 v6, v28, v51, vcc_lo
	s_wait_alu 0xfffe
	s_and_b32 vcc_lo, exec_lo, s2
	s_delay_alu instid0(VALU_DEP_1)
	v_lshlrev_b32_e32 v6, 2, v6
	s_wait_dscnt 0x0
	v_dual_add_f32 v1, v1, v2 :: v_dual_add_f32 v2, v0, v3
	ds_bpermute_b32 v0, v6, v1
	ds_bpermute_b32 v3, v6, v2
	s_wait_dscnt 0x0
	v_dual_add_f32 v0, v1, v0 :: v_dual_add_f32 v1, v2, v3
	s_wait_alu 0xfffe
	s_cbranch_vccnz .LBB46_33
; %bb.31:
	v_dual_mov_b32 v2, 0 :: v_dual_max_num_f32 v3, v4, v4
	s_lshl_b64 s[2:3], s[34:35], 2
	v_max_num_f32_e32 v8, v5, v5
	s_wait_alu 0xfffe
	s_add_nc_u64 s[2:3], s[12:13], s[2:3]
	global_load_b32 v2, v2, s[2:3]
	s_wait_loadcnt 0x0
	v_max_num_f32_e32 v7, v2, v2
	s_delay_alu instid0(VALU_DEP_1) | instskip(SKIP_1) | instid1(VALU_DEP_2)
	v_max_num_f32_e32 v6, v3, v7
	v_max_num_f32_e32 v7, v8, v7
	v_sub_f32_e32 v3, v4, v6
	v_sub_f32_e32 v4, v2, v6
	s_delay_alu instid0(VALU_DEP_3) | instskip(NEXT) | instid1(VALU_DEP_2)
	v_sub_f32_e32 v8, v2, v7
	v_dual_mul_f32 v2, 0x3fb8aa3b, v3 :: v_dual_mul_f32 v9, 0x3fb8aa3b, v4
	s_delay_alu instid0(VALU_DEP_2) | instskip(SKIP_1) | instid1(VALU_DEP_3)
	v_mul_f32_e32 v11, 0x3fb8aa3b, v8
	v_cmp_ngt_f32_e32 vcc_lo, 0xc2ce8ed0, v3
	v_fma_f32 v12, 0x3fb8aa3b, v3, -v2
	v_rndne_f32_e32 v13, v2
	v_sub_f32_e32 v5, v5, v7
	v_fma_f32 v14, 0x3fb8aa3b, v4, -v9
	v_rndne_f32_e32 v15, v9
	v_rndne_f32_e32 v19, v11
	v_fma_f32 v18, 0x3fb8aa3b, v8, -v11
	v_sub_f32_e32 v2, v2, v13
	s_delay_alu instid0(VALU_DEP_4) | instskip(NEXT) | instid1(VALU_DEP_4)
	v_dual_mul_f32 v10, 0x3fb8aa3b, v5 :: v_dual_sub_f32 v9, v9, v15
	v_dual_fmac_f32 v14, 0x32a5705f, v4 :: v_dual_sub_f32 v11, v11, v19
	v_fmac_f32_e32 v12, 0x32a5705f, v3
	s_delay_alu instid0(VALU_DEP_3) | instskip(SKIP_1) | instid1(VALU_DEP_3)
	v_fma_f32 v16, 0x3fb8aa3b, v5, -v10
	v_rndne_f32_e32 v17, v10
	v_dual_add_f32 v9, v9, v14 :: v_dual_add_f32 v2, v2, v12
	v_cvt_i32_f32_e32 v12, v13
	v_cvt_i32_f32_e32 v13, v15
	s_delay_alu instid0(VALU_DEP_3) | instskip(SKIP_3) | instid1(TRANS32_DEP_2)
	v_exp_f32_e32 v9, v9
	v_cvt_i32_f32_e32 v15, v19
	v_exp_f32_e32 v2, v2
	v_cvt_i32_f32_e32 v14, v17
	v_ldexp_f32 v9, v9, v13
	s_delay_alu instid0(TRANS32_DEP_1) | instskip(SKIP_1) | instid1(VALU_DEP_1)
	v_ldexp_f32 v2, v2, v12
	s_wait_alu 0xfffd
	v_cndmask_b32_e32 v2, 0, v2, vcc_lo
	v_cmp_ngt_f32_e32 vcc_lo, 0xc2ce8ed0, v4
	s_wait_alu 0xfffd
	v_dual_fmac_f32 v18, 0x32a5705f, v8 :: v_dual_cndmask_b32 v9, 0, v9
	s_delay_alu instid0(VALU_DEP_1) | instskip(SKIP_1) | instid1(VALU_DEP_2)
	v_dual_fmac_f32 v16, 0x32a5705f, v5 :: v_dual_add_f32 v11, v11, v18
	v_cmp_ngt_f32_e32 vcc_lo, 0xc2ce8ed0, v5
	v_exp_f32_e32 v11, v11
	s_delay_alu instid0(TRANS32_DEP_1) | instskip(SKIP_1) | instid1(VALU_DEP_1)
	v_ldexp_f32 v11, v11, v15
	v_sub_f32_e32 v10, v10, v17
	v_add_f32_e32 v10, v10, v16
	s_delay_alu instid0(VALU_DEP_1) | instskip(NEXT) | instid1(TRANS32_DEP_1)
	v_exp_f32_e32 v10, v10
	v_ldexp_f32 v10, v10, v14
	s_wait_alu 0xfffd
	s_delay_alu instid0(VALU_DEP_1)
	v_cndmask_b32_e32 v10, 0, v10, vcc_lo
	v_cmp_nlt_f32_e32 vcc_lo, 0x42b17218, v3
	s_wait_alu 0xfffd
	v_cndmask_b32_e32 v12, 0x7f800000, v2, vcc_lo
	v_cmp_ngt_f32_e32 vcc_lo, 0xc2ce8ed0, v8
	s_wait_alu 0xfffd
	v_cndmask_b32_e32 v3, 0, v11, vcc_lo
	v_cmp_nlt_f32_e32 vcc_lo, 0x42b17218, v5
	s_wait_alu 0xfffd
	v_cndmask_b32_e32 v5, 0x7f800000, v10, vcc_lo
	v_cmp_nlt_f32_e32 vcc_lo, 0x42b17218, v4
	v_cvt_f16_f32_e32 v10, v12
	s_delay_alu instid0(VALU_DEP_3)
	v_cvt_f16_f32_e32 v4, v5
	s_wait_alu 0xfffd
	v_cndmask_b32_e32 v2, 0x7f800000, v9, vcc_lo
	v_cmp_nlt_f32_e32 vcc_lo, 0x42b17218, v8
	v_and_b32_e32 v8, 0xffff, v10
	v_and_b32_e32 v4, 0xffff, v4
	s_wait_alu 0xfffd
	v_cndmask_b32_e32 v3, 0x7f800000, v3, vcc_lo
	s_delay_alu instid0(VALU_DEP_2) | instskip(NEXT) | instid1(VALU_DEP_2)
	v_mul_u32_u24_e32 v4, 0x10001, v4
	v_fmac_f32_e32 v3, v1, v5
	v_mul_u32_u24_e32 v5, 0x10001, v8
	s_delay_alu instid0(VALU_DEP_3) | instskip(SKIP_2) | instid1(VALU_DEP_4)
	v_pk_mul_f16 v29, v29, v4
	v_pk_mul_f16 v34, v34, v4
	;; [unrolled: 1-line block ×8, first 2 shown]
	v_dual_mov_b32 v4, v6 :: v_dual_mov_b32 v5, v7
	v_fmac_f32_e32 v2, v0, v12
	s_delay_alu instid0(VALU_DEP_1)
	v_dual_mov_b32 v0, v2 :: v_dual_mov_b32 v1, v3
	s_mov_b32 s2, exec_lo
	v_cmpx_gt_i32_e64 s22, v26
	s_cbranch_execnz .LBB46_34
.LBB46_32:
	s_nop 0
	s_sendmsg sendmsg(MSG_DEALLOC_VGPRS)
	s_endpgm
.LBB46_33:
	s_delay_alu instid0(VALU_DEP_1)
	v_dual_mov_b32 v2, v0 :: v_dual_mov_b32 v3, v1
	s_mov_b32 s2, exec_lo
	v_cmpx_gt_i32_e64 s22, v26
	s_cbranch_execz .LBB46_32
.LBB46_34:
	s_load_b32 s1, s[0:1], 0xd4
	v_mov_b32_e32 v8, 1.0
	s_wait_kmcnt 0x0
	s_cmp_lg_u32 s1, 1
	s_cselect_b32 s4, -1, 0
	s_cmp_eq_u32 s1, 1
	s_cselect_b32 s2, -1, 0
	s_wait_alu 0xfffe
	s_and_b32 vcc_lo, exec_lo, s4
	s_wait_alu 0xfffe
	s_cbranch_vccnz .LBB46_36
; %bb.35:
	v_div_scale_f32 v6, null, v2, v2, 1.0
	s_delay_alu instid0(VALU_DEP_1) | instskip(NEXT) | instid1(TRANS32_DEP_1)
	v_rcp_f32_e32 v7, v6
	v_fma_f32 v8, -v6, v7, 1.0
	s_delay_alu instid0(VALU_DEP_1) | instskip(SKIP_1) | instid1(VALU_DEP_1)
	v_fmac_f32_e32 v7, v8, v7
	v_div_scale_f32 v8, vcc_lo, 1.0, v2, 1.0
	v_mul_f32_e32 v9, v8, v7
	s_delay_alu instid0(VALU_DEP_1) | instskip(NEXT) | instid1(VALU_DEP_1)
	v_fma_f32 v10, -v6, v9, v8
	v_fmac_f32_e32 v9, v10, v7
	s_delay_alu instid0(VALU_DEP_1) | instskip(SKIP_1) | instid1(VALU_DEP_1)
	v_fma_f32 v6, -v6, v9, v8
	s_wait_alu 0xfffd
	v_div_fmas_f32 v6, v6, v7, v9
	s_delay_alu instid0(VALU_DEP_1)
	v_div_fixup_f32 v8, v6, v2, 1.0
.LBB46_36:
	s_mul_i32 s3, s36, s22
	v_cvt_f32_f16_e32 v9, v39
	s_wait_alu 0xfffe
	s_add_co_i32 s3, s3, s33
	v_lshrrev_b32_e32 v10, 16, v30
	s_wait_alu 0xfffe
	v_add_nc_u32_e32 v2, s3, v24
	v_cvt_f32_f16_e32 v12, v30
	v_dual_mul_f32 v11, v8, v9 :: v_dual_mov_b32 v18, 0
	v_lshrrev_b32_e32 v13, 16, v38
	s_delay_alu instid0(VALU_DEP_4)
	v_mad_co_u64_u32 v[6:7], null, v2, s23, s[34:35]
	v_lshrrev_b32_e32 v2, 16, v39
	v_lshrrev_b32_e32 v14, 16, v36
	v_cvt_f32_f16_e32 v16, v36
	v_cvt_f32_f16_e32 v10, v10
	v_mul_f32_e32 v9, v8, v12
	v_cvt_f32_f16_e32 v2, v2
	v_mad_co_u64_u32 v[6:7], null, s1, v6, s[8:9]
	v_cvt_f32_f16_e32 v7, v38
	v_cvt_f32_f16_e32 v21, v13
	v_mul_f32_e32 v13, v8, v16
	v_mul_f32_e32 v10, v8, v10
	v_cmp_eq_u32_e32 vcc_lo, 0, v27
	v_mul_f32_e32 v15, v8, v7
	v_lshl_add_u32 v17, v6, 8, v25
	v_cvt_f32_f16_e32 v7, v14
	v_mul_f32_e32 v16, v8, v21
	v_mul_f32_e32 v12, v8, v2
	s_delay_alu instid0(VALU_DEP_4) | instskip(NEXT) | instid1(VALU_DEP_4)
	v_lshlrev_b64_e32 v[19:20], 2, v[17:18]
	v_dual_mul_f32 v14, v8, v7 :: v_dual_add_nc_u32 v17, 0x80, v17
	s_delay_alu instid0(VALU_DEP_1) | instskip(NEXT) | instid1(VALU_DEP_3)
	v_lshlrev_b64_e32 v[7:8], 2, v[17:18]
	v_add_co_u32 v17, s0, s16, v19
	s_wait_alu 0xf1ff
	s_delay_alu instid0(VALU_DEP_4) | instskip(NEXT) | instid1(VALU_DEP_3)
	v_add_co_ci_u32_e64 v18, null, s17, v20, s0
	v_add_co_u32 v7, s0, s16, v7
	s_wait_alu 0xf1ff
	v_add_co_ci_u32_e64 v8, null, s17, v8, s0
	s_and_b32 s0, vcc_lo, s4
	s_clause 0x1
	global_store_b128 v[17:18], v[9:12], off
	global_store_b128 v[7:8], v[13:16], off
	s_wait_alu 0xfffe
	s_and_saveexec_b32 s4, s0
	s_cbranch_execz .LBB46_38
; %bb.37:
	v_ashrrev_i32_e32 v7, 31, v6
	v_dual_mov_b32 v8, v4 :: v_dual_mov_b32 v9, v0
	s_delay_alu instid0(VALU_DEP_2) | instskip(NEXT) | instid1(VALU_DEP_1)
	v_lshlrev_b64_e32 v[6:7], 3, v[6:7]
	v_add_co_u32 v6, vcc_lo, s18, v6
	s_wait_alu 0xfffd
	s_delay_alu instid0(VALU_DEP_2)
	v_add_co_ci_u32_e64 v7, null, s19, v7, vcc_lo
	global_store_b64 v[6:7], v[8:9], off
.LBB46_38:
	s_wait_alu 0xfffe
	s_or_b32 exec_lo, exec_lo, s4
	v_cmp_gt_i32_e32 vcc_lo, s22, v23
	s_and_b32 exec_lo, exec_lo, vcc_lo
	s_cbranch_execz .LBB46_32
; %bb.39:
	v_mov_b32_e32 v0, 1.0
	s_and_not1_b32 vcc_lo, exec_lo, s2
	s_wait_alu 0xfffe
	s_cbranch_vccnz .LBB46_41
; %bb.40:
	v_div_scale_f32 v0, null, v3, v3, 1.0
	s_delay_alu instid0(VALU_DEP_1) | instskip(NEXT) | instid1(TRANS32_DEP_1)
	v_rcp_f32_e32 v2, v0
	v_fma_f32 v4, -v0, v2, 1.0
	s_delay_alu instid0(VALU_DEP_1) | instskip(SKIP_1) | instid1(VALU_DEP_1)
	v_fmac_f32_e32 v2, v4, v2
	v_div_scale_f32 v4, vcc_lo, 1.0, v3, 1.0
	v_mul_f32_e32 v6, v4, v2
	s_delay_alu instid0(VALU_DEP_1) | instskip(NEXT) | instid1(VALU_DEP_1)
	v_fma_f32 v7, -v0, v6, v4
	v_fmac_f32_e32 v6, v7, v2
	s_delay_alu instid0(VALU_DEP_1) | instskip(SKIP_1) | instid1(VALU_DEP_1)
	v_fma_f32 v0, -v0, v6, v4
	s_wait_alu 0xfffd
	v_div_fmas_f32 v0, v0, v2, v6
	s_delay_alu instid0(VALU_DEP_1)
	v_div_fixup_f32 v0, v0, v3, 1.0
.LBB46_41:
	v_lshrrev_b32_e32 v6, 16, v34
	v_cvt_f32_f16_e32 v7, v34
	v_lshrrev_b32_e32 v9, 16, v29
	v_cvt_f32_f16_e32 v10, v29
	v_cvt_f32_f16_e32 v14, v33
	;; [unrolled: 1-line block ×3, first 2 shown]
	v_add_nc_u32_e32 v2, s3, v22
	v_mul_f32_e32 v8, v0, v7
	v_cvt_f32_f16_e32 v7, v9
	v_mul_f32_e32 v6, v0, v10
	v_mul_f32_e32 v9, v0, v16
	v_mad_co_u64_u32 v[2:3], null, v2, s23, s[34:35]
	v_mul_f32_e32 v10, v0, v14
	v_lshrrev_b32_e32 v11, 16, v32
	v_lshrrev_b32_e32 v13, 16, v33
	v_cvt_f32_f16_e32 v12, v32
	v_mul_f32_e32 v7, v0, v7
	v_mad_co_u64_u32 v[2:3], null, s1, v2, s[8:9]
	v_cvt_f32_f16_e32 v11, v11
	v_cvt_f32_f16_e32 v17, v13
	v_mul_f32_e32 v12, v0, v12
	s_delay_alu instid0(VALU_DEP_3) | instskip(SKIP_1) | instid1(VALU_DEP_4)
	v_mul_f32_e32 v13, v0, v11
	v_lshl_add_u32 v3, v2, 8, v25
	v_dual_mov_b32 v4, 0 :: v_dual_mul_f32 v11, v0, v17
	s_delay_alu instid0(VALU_DEP_1) | instskip(SKIP_1) | instid1(VALU_DEP_1)
	v_lshlrev_b64_e32 v[14:15], 2, v[3:4]
	v_add_nc_u32_e32 v3, 0x80, v3
	v_lshlrev_b64_e32 v[3:4], 2, v[3:4]
	s_delay_alu instid0(VALU_DEP_3) | instskip(SKIP_1) | instid1(VALU_DEP_4)
	v_add_co_u32 v14, vcc_lo, s16, v14
	s_wait_alu 0xfffd
	v_add_co_ci_u32_e64 v15, null, s17, v15, vcc_lo
	s_delay_alu instid0(VALU_DEP_3)
	v_add_co_u32 v3, vcc_lo, s16, v3
	s_wait_alu 0xfffd
	v_add_co_ci_u32_e64 v4, null, s17, v4, vcc_lo
	s_clause 0x1
	global_store_b128 v[14:15], v[6:9], off
	global_store_b128 v[3:4], v[10:13], off
	s_and_b32 exec_lo, exec_lo, s0
	s_cbranch_execz .LBB46_32
; %bb.42:
	v_ashrrev_i32_e32 v3, 31, v2
	v_mov_b32_e32 v0, v5
	s_delay_alu instid0(VALU_DEP_2) | instskip(NEXT) | instid1(VALU_DEP_1)
	v_lshlrev_b64_e32 v[2:3], 3, v[2:3]
	v_add_co_u32 v2, vcc_lo, s18, v2
	s_wait_alu 0xfffd
	s_delay_alu instid0(VALU_DEP_2)
	v_add_co_ci_u32_e64 v3, null, s19, v3, vcc_lo
	global_store_b64 v[2:3], v[0:1], off
	s_nop 0
	s_sendmsg sendmsg(MSG_DEALLOC_VGPRS)
	s_endpgm
	.section	.rodata,"a",@progbits
	.p2align	6, 0x0
	.amdhsa_kernel _ZL15flash_attn_tileILi256ELi256ELi16ELi1ELb0EEvPKcS1_S1_S1_S1_PKiPfP15HIP_vector_typeIfLj2EEffffjfiS5_IjLj3EEiiiiiiiiiiiliiliiiiil
		.amdhsa_group_segment_fixed_size 26112
		.amdhsa_private_segment_fixed_size 32
		.amdhsa_kernarg_size 464
		.amdhsa_user_sgpr_count 2
		.amdhsa_user_sgpr_dispatch_ptr 0
		.amdhsa_user_sgpr_queue_ptr 0
		.amdhsa_user_sgpr_kernarg_segment_ptr 1
		.amdhsa_user_sgpr_dispatch_id 0
		.amdhsa_user_sgpr_private_segment_size 0
		.amdhsa_wavefront_size32 1
		.amdhsa_uses_dynamic_stack 0
		.amdhsa_enable_private_segment 1
		.amdhsa_system_sgpr_workgroup_id_x 1
		.amdhsa_system_sgpr_workgroup_id_y 1
		.amdhsa_system_sgpr_workgroup_id_z 1
		.amdhsa_system_sgpr_workgroup_info 0
		.amdhsa_system_vgpr_workitem_id 1
		.amdhsa_next_free_vgpr 229
		.amdhsa_next_free_sgpr 47
		.amdhsa_reserve_vcc 1
		.amdhsa_float_round_mode_32 0
		.amdhsa_float_round_mode_16_64 0
		.amdhsa_float_denorm_mode_32 3
		.amdhsa_float_denorm_mode_16_64 3
		.amdhsa_fp16_overflow 0
		.amdhsa_workgroup_processor_mode 1
		.amdhsa_memory_ordered 1
		.amdhsa_forward_progress 1
		.amdhsa_inst_pref_size 148
		.amdhsa_round_robin_scheduling 0
		.amdhsa_exception_fp_ieee_invalid_op 0
		.amdhsa_exception_fp_denorm_src 0
		.amdhsa_exception_fp_ieee_div_zero 0
		.amdhsa_exception_fp_ieee_overflow 0
		.amdhsa_exception_fp_ieee_underflow 0
		.amdhsa_exception_fp_ieee_inexact 0
		.amdhsa_exception_int_div_zero 0
	.end_amdhsa_kernel
	.section	.text._ZL15flash_attn_tileILi256ELi256ELi16ELi1ELb0EEvPKcS1_S1_S1_S1_PKiPfP15HIP_vector_typeIfLj2EEffffjfiS5_IjLj3EEiiiiiiiiiiiliiliiiiil,"axG",@progbits,_ZL15flash_attn_tileILi256ELi256ELi16ELi1ELb0EEvPKcS1_S1_S1_S1_PKiPfP15HIP_vector_typeIfLj2EEffffjfiS5_IjLj3EEiiiiiiiiiiiliiliiiiil,comdat
.Lfunc_end46:
	.size	_ZL15flash_attn_tileILi256ELi256ELi16ELi1ELb0EEvPKcS1_S1_S1_S1_PKiPfP15HIP_vector_typeIfLj2EEffffjfiS5_IjLj3EEiiiiiiiiiiiliiliiiiil, .Lfunc_end46-_ZL15flash_attn_tileILi256ELi256ELi16ELi1ELb0EEvPKcS1_S1_S1_S1_PKiPfP15HIP_vector_typeIfLj2EEffffjfiS5_IjLj3EEiiiiiiiiiiiliiliiiiil
                                        ; -- End function
	.set _ZL15flash_attn_tileILi256ELi256ELi16ELi1ELb0EEvPKcS1_S1_S1_S1_PKiPfP15HIP_vector_typeIfLj2EEffffjfiS5_IjLj3EEiiiiiiiiiiiliiliiiiil.num_vgpr, 229
	.set _ZL15flash_attn_tileILi256ELi256ELi16ELi1ELb0EEvPKcS1_S1_S1_S1_PKiPfP15HIP_vector_typeIfLj2EEffffjfiS5_IjLj3EEiiiiiiiiiiiliiliiiiil.num_agpr, 0
	.set _ZL15flash_attn_tileILi256ELi256ELi16ELi1ELb0EEvPKcS1_S1_S1_S1_PKiPfP15HIP_vector_typeIfLj2EEffffjfiS5_IjLj3EEiiiiiiiiiiiliiliiiiil.numbered_sgpr, 47
	.set _ZL15flash_attn_tileILi256ELi256ELi16ELi1ELb0EEvPKcS1_S1_S1_S1_PKiPfP15HIP_vector_typeIfLj2EEffffjfiS5_IjLj3EEiiiiiiiiiiiliiliiiiil.num_named_barrier, 0
	.set _ZL15flash_attn_tileILi256ELi256ELi16ELi1ELb0EEvPKcS1_S1_S1_S1_PKiPfP15HIP_vector_typeIfLj2EEffffjfiS5_IjLj3EEiiiiiiiiiiiliiliiiiil.private_seg_size, 32
	.set _ZL15flash_attn_tileILi256ELi256ELi16ELi1ELb0EEvPKcS1_S1_S1_S1_PKiPfP15HIP_vector_typeIfLj2EEffffjfiS5_IjLj3EEiiiiiiiiiiiliiliiiiil.uses_vcc, 1
	.set _ZL15flash_attn_tileILi256ELi256ELi16ELi1ELb0EEvPKcS1_S1_S1_S1_PKiPfP15HIP_vector_typeIfLj2EEffffjfiS5_IjLj3EEiiiiiiiiiiiliiliiiiil.uses_flat_scratch, 1
	.set _ZL15flash_attn_tileILi256ELi256ELi16ELi1ELb0EEvPKcS1_S1_S1_S1_PKiPfP15HIP_vector_typeIfLj2EEffffjfiS5_IjLj3EEiiiiiiiiiiiliiliiiiil.has_dyn_sized_stack, 0
	.set _ZL15flash_attn_tileILi256ELi256ELi16ELi1ELb0EEvPKcS1_S1_S1_S1_PKiPfP15HIP_vector_typeIfLj2EEffffjfiS5_IjLj3EEiiiiiiiiiiiliiliiiiil.has_recursion, 0
	.set _ZL15flash_attn_tileILi256ELi256ELi16ELi1ELb0EEvPKcS1_S1_S1_S1_PKiPfP15HIP_vector_typeIfLj2EEffffjfiS5_IjLj3EEiiiiiiiiiiiliiliiiiil.has_indirect_call, 0
	.section	.AMDGPU.csdata,"",@progbits
; Kernel info:
; codeLenInByte = 18836
; TotalNumSgprs: 49
; NumVgprs: 229
; ScratchSize: 32
; MemoryBound: 0
; FloatMode: 240
; IeeeMode: 1
; LDSByteSize: 26112 bytes/workgroup (compile time only)
; SGPRBlocks: 0
; VGPRBlocks: 28
; NumSGPRsForWavesPerEU: 49
; NumVGPRsForWavesPerEU: 229
; Occupancy: 6
; WaveLimiterHint : 1
; COMPUTE_PGM_RSRC2:SCRATCH_EN: 1
; COMPUTE_PGM_RSRC2:USER_SGPR: 2
; COMPUTE_PGM_RSRC2:TRAP_HANDLER: 0
; COMPUTE_PGM_RSRC2:TGID_X_EN: 1
; COMPUTE_PGM_RSRC2:TGID_Y_EN: 1
; COMPUTE_PGM_RSRC2:TGID_Z_EN: 1
; COMPUTE_PGM_RSRC2:TIDIG_COMP_CNT: 1
	.section	.text._ZL33flash_attn_stream_k_fixup_uniformILi256ELi16ELi1EEvPfPK15HIP_vector_typeIfLj2EEiiiiiiS1_IjLj3EES5_S5_,"axG",@progbits,_ZL33flash_attn_stream_k_fixup_uniformILi256ELi16ELi1EEvPfPK15HIP_vector_typeIfLj2EEiiiiiiS1_IjLj3EES5_S5_,comdat
	.globl	_ZL33flash_attn_stream_k_fixup_uniformILi256ELi16ELi1EEvPfPK15HIP_vector_typeIfLj2EEiiiiiiS1_IjLj3EES5_S5_ ; -- Begin function _ZL33flash_attn_stream_k_fixup_uniformILi256ELi16ELi1EEvPfPK15HIP_vector_typeIfLj2EEiiiiiiS1_IjLj3EES5_S5_
	.p2align	8
	.type	_ZL33flash_attn_stream_k_fixup_uniformILi256ELi16ELi1EEvPfPK15HIP_vector_typeIfLj2EEiiiiiiS1_IjLj3EES5_S5_,@function
_ZL33flash_attn_stream_k_fixup_uniformILi256ELi16ELi1EEvPfPK15HIP_vector_typeIfLj2EEiiiiiiS1_IjLj3EES5_S5_: ; @_ZL33flash_attn_stream_k_fixup_uniformILi256ELi16ELi1EEvPfPK15HIP_vector_typeIfLj2EEiiiiiiS1_IjLj3EES5_S5_
; %bb.0:
	s_clause 0x1
	s_load_b256 s[4:11], s[0:1], 0x1c
	s_load_b128 s[12:15], s[0:1], 0x3c
	s_wait_kmcnt 0x0
	s_mul_hi_u32 s2, s7, ttmp9
	s_delay_alu instid0(SALU_CYCLE_1) | instskip(NEXT) | instid1(SALU_CYCLE_1)
	s_add_co_i32 s2, ttmp9, s2
	s_lshr_b32 s2, s2, s8
	s_delay_alu instid0(SALU_CYCLE_1) | instskip(SKIP_2) | instid1(SALU_CYCLE_1)
	s_mul_i32 s3, s2, s9
	s_load_b64 s[8:9], s[0:1], 0x10
	s_sub_co_i32 s7, ttmp9, s3
	s_mul_hi_u32 s3, s7, s10
	s_delay_alu instid0(SALU_CYCLE_1) | instskip(NEXT) | instid1(SALU_CYCLE_1)
	s_add_co_i32 s3, s7, s3
	s_lshr_b32 s3, s3, s11
	s_delay_alu instid0(SALU_CYCLE_1) | instskip(NEXT) | instid1(SALU_CYCLE_1)
	s_mul_i32 s10, s3, s12
	s_sub_co_i32 s7, s7, s10
	s_delay_alu instid0(SALU_CYCLE_1) | instskip(NEXT) | instid1(SALU_CYCLE_1)
	s_mul_hi_u32 s10, s7, s13
	s_add_co_i32 s10, s7, s10
	s_delay_alu instid0(SALU_CYCLE_1) | instskip(NEXT) | instid1(SALU_CYCLE_1)
	s_lshr_b32 s11, s10, s14
	s_mul_i32 s10, s11, s15
	s_delay_alu instid0(SALU_CYCLE_1) | instskip(SKIP_2) | instid1(SALU_CYCLE_1)
	s_sub_co_i32 s12, s7, s10
	s_and_b32 s7, ttmp7, 0xffff
	s_lshl_b32 s10, s12, 4
	s_add_co_i32 s13, s10, s7
	s_lshr_b32 s10, ttmp7, 16
	s_wait_kmcnt 0x0
	s_cmp_lt_i32 s13, s8
	s_cselect_b32 s13, -1, 0
	s_add_co_i32 s14, s11, s10
	s_delay_alu instid0(SALU_CYCLE_1) | instskip(SKIP_1) | instid1(SALU_CYCLE_1)
	s_cmp_lt_i32 s14, s5
	s_cselect_b32 s14, -1, 0
	s_and_b32 s13, s13, s14
	s_delay_alu instid0(SALU_CYCLE_1)
	s_and_not1_b32 vcc_lo, exec_lo, s13
	s_cbranch_vccnz .LBB47_6
; %bb.1:
	s_mul_i32 s2, s2, s8
	s_mul_i32 s5, s3, s5
	s_add_co_i32 s2, s2, s7
	s_delay_alu instid0(SALU_CYCLE_1) | instskip(NEXT) | instid1(SALU_CYCLE_1)
	s_mul_i32 s2, s2, s9
	s_add_co_i32 s8, s2, s10
	s_load_b128 s[0:3], s[0:1], 0x0
	s_add_co_i32 s5, s8, s5
	s_mul_i32 s8, s9, s12
	s_add_co_i32 s5, s5, s11
	s_lshl_b32 s8, s8, 12
	s_lshl_b32 s5, s5, 8
	s_add_co_i32 s9, s7, s10
	s_add_co_i32 s8, s8, s5
	s_delay_alu instid0(SALU_CYCLE_1) | instskip(SKIP_3) | instid1(SALU_CYCLE_1)
	v_or_b32_e32 v1, s8, v0
	s_mul_i32 s8, s6, ttmp9
	s_wait_alu 0xfffe
	s_add_co_i32 s5, s8, s6
	s_add_co_i32 s7, s5, -2
	v_ashrrev_i32_e32 v2, 31, v1
	s_delay_alu instid0(VALU_DEP_1) | instskip(SKIP_1) | instid1(VALU_DEP_1)
	v_lshlrev_b64_e32 v[1:2], 2, v[1:2]
	s_wait_kmcnt 0x0
	v_add_co_u32 v1, vcc_lo, s0, v1
	s_delay_alu instid0(VALU_DEP_1)
	v_add_co_ci_u32_e64 v2, null, s1, v2, vcc_lo
	s_lshl_b32 s0, s5, 4
	s_wait_alu 0xfffe
	s_add_co_i32 s0, s9, s0
	global_load_b32 v5, v[1:2], off
	s_wait_alu 0xfffe
	s_add_co_i32 s0, s0, -16
	s_wait_alu 0xfffe
	s_ashr_i32 s1, s0, 31
	s_wait_alu 0xfffe
	s_lshl_b64 s[0:1], s[0:1], 3
	s_cmp_lt_i32 s7, s8
	s_wait_alu 0xfffe
	s_add_nc_u64 s[0:1], s[2:3], s[0:1]
	s_load_b32 s10, s[0:1], 0x4
	s_cbranch_scc1 .LBB47_4
; %bb.2:
	s_load_b32 s0, s[0:1], 0x0
	s_add_co_i32 s7, ttmp9, 1
	s_wait_kmcnt 0x0
	v_mov_b32_e32 v6, s10
	s_mul_i32 s1, s6, s7
	s_lshl_b32 s7, s9, 8
	s_wait_alu 0xfffe
	s_lshl_b32 s11, s1, 12
	s_lshl_b32 s6, s4, 6
	s_wait_alu 0xfffe
	s_add_co_i32 s11, s7, s11
	s_lshl_b32 s1, s1, 4
	s_wait_alu 0xfffe
	v_or_b32_e32 v0, s11, v0
	s_ashr_i32 s7, s6, 31
	s_add_co_i32 s1, s9, s1
	s_lshl_b32 s4, s4, 4
	s_lshl_b64 s[6:7], s[6:7], 2
	v_add_nc_u32_e32 v3, 0xffffe000, v0
	s_wait_alu 0xfffe
	s_add_co_i32 s4, s1, s4
	s_add_nc_u64 s[6:7], s[2:3], s[6:7]
	s_add_co_i32 s1, s5, -1
	s_sub_co_i32 s4, s4, 32
.LBB47_3:                               ; =>This Inner Loop Header: Depth=1
	v_ashrrev_i32_e32 v4, 31, v3
	s_ashr_i32 s5, s4, 31
	v_mov_b32_e32 v10, v6
	s_lshl_b64 s[10:11], s[4:5], 3
	s_wait_loadcnt 0x0
	v_mov_b32_e32 v9, v5
	v_lshlrev_b64_e32 v[7:8], 2, v[3:4]
	s_wait_alu 0xfffe
	s_add_nc_u64 s[10:11], s[2:3], s[10:11]
	v_max_num_f32_e64 v4, s0, s0
	s_load_b64 s[10:11], s[10:11], 0x0
	v_add_nc_u32_e32 v3, 0xfffff000, v3
	v_add_co_u32 v7, vcc_lo, s6, v7
	s_wait_alu 0xfffd
	v_add_co_ci_u32_e64 v8, null, s7, v8, vcc_lo
	v_readfirstlane_b32 s5, v4
	global_load_b32 v0, v[7:8], off
	s_wait_kmcnt 0x0
	v_max_num_f32_e64 v4, s10, s10
	s_delay_alu instid0(VALU_DEP_1) | instskip(SKIP_1) | instid1(SALU_CYCLE_3)
	v_readfirstlane_b32 s9, v4
	s_max_num_f32 s5, s5, s9
	s_sub_f32 s0, s0, s5
	s_sub_f32 s9, s10, s5
	s_wait_alu 0xfffe
	s_delay_alu instid0(SALU_CYCLE_1) | instskip(NEXT) | instid1(SALU_CYCLE_1)
	s_mul_f32 s10, s0, 0x3fb8aa3b
	s_mul_f32 s12, s9, 0x3fb8aa3b
	s_wait_alu 0xfffe
	s_delay_alu instid0(SALU_CYCLE_1)
	s_xor_b32 s13, s10, 0x80000000
	s_rndne_f32 s14, s10
	s_fmamk_f32 s13, s0, 0x3fb8aa3b, s13
	s_cmp_nlt_f32 s0, 0xc2ce8ed0
	s_rndne_f32 s15, s12
	s_wait_alu 0xfffe
	s_sub_f32 s10, s10, s14
	s_fmamk_f32 s13, s0, 0x32a5705f, s13
	s_cvt_i32_f32 s14, s14
	s_cselect_b32 vcc_lo, -1, 0
	s_cmp_ngt_f32 s0, 0x42b17218
	s_wait_alu 0xfffe
	s_add_f32 s10, s10, s13
	s_sub_f32 s13, s12, s15
	s_wait_alu 0xfffe
	s_delay_alu instid0(SALU_CYCLE_1) | instskip(SKIP_1) | instid1(TRANS32_DEP_1)
	v_s_exp_f32 s10, s10
	s_wait_alu 0xf1ff
	v_ldexp_f32 v4, s10, s14
	s_cvt_i32_f32 s10, s15
	s_delay_alu instid0(VALU_DEP_1) | instskip(SKIP_3) | instid1(VALU_DEP_1)
	v_cndmask_b32_e32 v4, 0, v4, vcc_lo
	s_cselect_b32 vcc_lo, -1, 0
	s_cmp_ge_f32 s0, 0xc1a00000
	s_wait_alu 0xfffe
	v_cndmask_b32_e32 v4, 0x7f800000, v4, vcc_lo
	s_cselect_b32 vcc_lo, -1, 0
	s_xor_b32 s0, s12, 0x80000000
	s_cmp_nlt_f32 s9, 0xc2ce8ed0
	s_wait_alu 0xfffe
	s_fmamk_f32 s0, s9, 0x3fb8aa3b, s0
	s_wait_alu 0xfffe
	s_delay_alu instid0(SALU_CYCLE_2) | instskip(SKIP_1) | instid1(SALU_CYCLE_2)
	s_fmamk_f32 s0, s9, 0x32a5705f, s0
	s_wait_alu 0xfffe
	s_add_f32 s0, s13, s0
	s_wait_alu 0xfffe
	s_delay_alu instid0(SALU_CYCLE_2) | instskip(SKIP_1) | instid1(TRANS32_DEP_1)
	v_s_exp_f32 s0, s0
	s_wait_alu 0xf1ff
	v_ldexp_f32 v7, s0, s10
	s_cselect_b32 s0, -1, 0
	s_cmp_ngt_f32 s9, 0x42b17218
	s_wait_alu 0xfffe
	s_delay_alu instid0(VALU_DEP_1) | instskip(SKIP_3) | instid1(VALU_DEP_1)
	v_cndmask_b32_e64 v7, 0, v7, s0
	s_cselect_b32 s0, -1, 0
	s_cmp_ge_f32 s9, 0xc1a00000
	s_wait_alu 0xfffe
	v_cndmask_b32_e64 v7, 0x7f800000, v7, s0
	s_cselect_b32 s0, -1, 0
	s_add_co_i32 s1, s1, -1
	s_add_co_i32 s4, s4, -16
	s_wait_alu 0xfffe
	s_cmp_le_i32 s1, s8
	v_cndmask_b32_e64 v7, 0, v7, s0
	s_mov_b32 s0, s5
	s_wait_loadcnt 0x0
	s_delay_alu instid0(VALU_DEP_1) | instskip(NEXT) | instid1(VALU_DEP_1)
	v_dual_mul_f32 v5, v0, v7 :: v_dual_cndmask_b32 v4, 0, v4
	v_dual_mul_f32 v8, s11, v7 :: v_dual_fmac_f32 v5, v9, v4
	s_delay_alu instid0(VALU_DEP_1) | instskip(NEXT) | instid1(VALU_DEP_1)
	v_mov_b32_e32 v6, v8
	v_fmac_f32_e32 v6, v10, v4
	s_cbranch_scc0 .LBB47_3
	s_branch .LBB47_5
.LBB47_4:
	s_wait_kmcnt 0x0
	v_mov_b32_e32 v6, s10
.LBB47_5:
	s_wait_loadcnt 0x0
	s_delay_alu instid0(VALU_DEP_1) | instskip(NEXT) | instid1(VALU_DEP_1)
	v_div_scale_f32 v0, null, v6, v6, v5
	v_rcp_f32_e32 v3, v0
	s_delay_alu instid0(TRANS32_DEP_1) | instskip(NEXT) | instid1(VALU_DEP_1)
	v_fma_f32 v4, -v0, v3, 1.0
	v_fmac_f32_e32 v3, v4, v3
	v_div_scale_f32 v4, vcc_lo, v5, v6, v5
	s_delay_alu instid0(VALU_DEP_1) | instskip(NEXT) | instid1(VALU_DEP_1)
	v_mul_f32_e32 v7, v4, v3
	v_fma_f32 v8, -v0, v7, v4
	s_delay_alu instid0(VALU_DEP_1) | instskip(NEXT) | instid1(VALU_DEP_1)
	v_fmac_f32_e32 v7, v8, v3
	v_fma_f32 v0, -v0, v7, v4
	s_wait_alu 0xfffd
	s_delay_alu instid0(VALU_DEP_1) | instskip(NEXT) | instid1(VALU_DEP_1)
	v_div_fmas_f32 v0, v0, v3, v7
	v_div_fixup_f32 v0, v0, v6, v5
	global_store_b32 v[1:2], v0, off
.LBB47_6:
	s_endpgm
	.section	.rodata,"a",@progbits
	.p2align	6, 0x0
	.amdhsa_kernel _ZL33flash_attn_stream_k_fixup_uniformILi256ELi16ELi1EEvPfPK15HIP_vector_typeIfLj2EEiiiiiiS1_IjLj3EES5_S5_
		.amdhsa_group_segment_fixed_size 0
		.amdhsa_private_segment_fixed_size 0
		.amdhsa_kernarg_size 76
		.amdhsa_user_sgpr_count 2
		.amdhsa_user_sgpr_dispatch_ptr 0
		.amdhsa_user_sgpr_queue_ptr 0
		.amdhsa_user_sgpr_kernarg_segment_ptr 1
		.amdhsa_user_sgpr_dispatch_id 0
		.amdhsa_user_sgpr_private_segment_size 0
		.amdhsa_wavefront_size32 1
		.amdhsa_uses_dynamic_stack 0
		.amdhsa_enable_private_segment 0
		.amdhsa_system_sgpr_workgroup_id_x 1
		.amdhsa_system_sgpr_workgroup_id_y 1
		.amdhsa_system_sgpr_workgroup_id_z 1
		.amdhsa_system_sgpr_workgroup_info 0
		.amdhsa_system_vgpr_workitem_id 0
		.amdhsa_next_free_vgpr 11
		.amdhsa_next_free_sgpr 16
		.amdhsa_reserve_vcc 1
		.amdhsa_float_round_mode_32 0
		.amdhsa_float_round_mode_16_64 0
		.amdhsa_float_denorm_mode_32 3
		.amdhsa_float_denorm_mode_16_64 3
		.amdhsa_fp16_overflow 0
		.amdhsa_workgroup_processor_mode 1
		.amdhsa_memory_ordered 1
		.amdhsa_forward_progress 1
		.amdhsa_inst_pref_size 9
		.amdhsa_round_robin_scheduling 0
		.amdhsa_exception_fp_ieee_invalid_op 0
		.amdhsa_exception_fp_denorm_src 0
		.amdhsa_exception_fp_ieee_div_zero 0
		.amdhsa_exception_fp_ieee_overflow 0
		.amdhsa_exception_fp_ieee_underflow 0
		.amdhsa_exception_fp_ieee_inexact 0
		.amdhsa_exception_int_div_zero 0
	.end_amdhsa_kernel
	.section	.text._ZL33flash_attn_stream_k_fixup_uniformILi256ELi16ELi1EEvPfPK15HIP_vector_typeIfLj2EEiiiiiiS1_IjLj3EES5_S5_,"axG",@progbits,_ZL33flash_attn_stream_k_fixup_uniformILi256ELi16ELi1EEvPfPK15HIP_vector_typeIfLj2EEiiiiiiS1_IjLj3EES5_S5_,comdat
.Lfunc_end47:
	.size	_ZL33flash_attn_stream_k_fixup_uniformILi256ELi16ELi1EEvPfPK15HIP_vector_typeIfLj2EEiiiiiiS1_IjLj3EES5_S5_, .Lfunc_end47-_ZL33flash_attn_stream_k_fixup_uniformILi256ELi16ELi1EEvPfPK15HIP_vector_typeIfLj2EEiiiiiiS1_IjLj3EES5_S5_
                                        ; -- End function
	.set _ZL33flash_attn_stream_k_fixup_uniformILi256ELi16ELi1EEvPfPK15HIP_vector_typeIfLj2EEiiiiiiS1_IjLj3EES5_S5_.num_vgpr, 11
	.set _ZL33flash_attn_stream_k_fixup_uniformILi256ELi16ELi1EEvPfPK15HIP_vector_typeIfLj2EEiiiiiiS1_IjLj3EES5_S5_.num_agpr, 0
	.set _ZL33flash_attn_stream_k_fixup_uniformILi256ELi16ELi1EEvPfPK15HIP_vector_typeIfLj2EEiiiiiiS1_IjLj3EES5_S5_.numbered_sgpr, 16
	.set _ZL33flash_attn_stream_k_fixup_uniformILi256ELi16ELi1EEvPfPK15HIP_vector_typeIfLj2EEiiiiiiS1_IjLj3EES5_S5_.num_named_barrier, 0
	.set _ZL33flash_attn_stream_k_fixup_uniformILi256ELi16ELi1EEvPfPK15HIP_vector_typeIfLj2EEiiiiiiS1_IjLj3EES5_S5_.private_seg_size, 0
	.set _ZL33flash_attn_stream_k_fixup_uniformILi256ELi16ELi1EEvPfPK15HIP_vector_typeIfLj2EEiiiiiiS1_IjLj3EES5_S5_.uses_vcc, 1
	.set _ZL33flash_attn_stream_k_fixup_uniformILi256ELi16ELi1EEvPfPK15HIP_vector_typeIfLj2EEiiiiiiS1_IjLj3EES5_S5_.uses_flat_scratch, 0
	.set _ZL33flash_attn_stream_k_fixup_uniformILi256ELi16ELi1EEvPfPK15HIP_vector_typeIfLj2EEiiiiiiS1_IjLj3EES5_S5_.has_dyn_sized_stack, 0
	.set _ZL33flash_attn_stream_k_fixup_uniformILi256ELi16ELi1EEvPfPK15HIP_vector_typeIfLj2EEiiiiiiS1_IjLj3EES5_S5_.has_recursion, 0
	.set _ZL33flash_attn_stream_k_fixup_uniformILi256ELi16ELi1EEvPfPK15HIP_vector_typeIfLj2EEiiiiiiS1_IjLj3EES5_S5_.has_indirect_call, 0
	.section	.AMDGPU.csdata,"",@progbits
; Kernel info:
; codeLenInByte = 1120
; TotalNumSgprs: 18
; NumVgprs: 11
; ScratchSize: 0
; MemoryBound: 0
; FloatMode: 240
; IeeeMode: 1
; LDSByteSize: 0 bytes/workgroup (compile time only)
; SGPRBlocks: 0
; VGPRBlocks: 1
; NumSGPRsForWavesPerEU: 18
; NumVGPRsForWavesPerEU: 11
; Occupancy: 16
; WaveLimiterHint : 0
; COMPUTE_PGM_RSRC2:SCRATCH_EN: 0
; COMPUTE_PGM_RSRC2:USER_SGPR: 2
; COMPUTE_PGM_RSRC2:TRAP_HANDLER: 0
; COMPUTE_PGM_RSRC2:TGID_X_EN: 1
; COMPUTE_PGM_RSRC2:TGID_Y_EN: 1
; COMPUTE_PGM_RSRC2:TGID_Z_EN: 1
; COMPUTE_PGM_RSRC2:TIDIG_COMP_CNT: 0
	.section	.text._ZL33flash_attn_stream_k_fixup_generalILi256ELi16ELi1EEvPfPK15HIP_vector_typeIfLj2EEiiiiS1_IjLj3EES5_S5_S5_,"axG",@progbits,_ZL33flash_attn_stream_k_fixup_generalILi256ELi16ELi1EEvPfPK15HIP_vector_typeIfLj2EEiiiiS1_IjLj3EES5_S5_S5_,comdat
	.globl	_ZL33flash_attn_stream_k_fixup_generalILi256ELi16ELi1EEvPfPK15HIP_vector_typeIfLj2EEiiiiS1_IjLj3EES5_S5_S5_ ; -- Begin function _ZL33flash_attn_stream_k_fixup_generalILi256ELi16ELi1EEvPfPK15HIP_vector_typeIfLj2EEiiiiS1_IjLj3EES5_S5_S5_
	.p2align	8
	.type	_ZL33flash_attn_stream_k_fixup_generalILi256ELi16ELi1EEvPfPK15HIP_vector_typeIfLj2EEiiiiS1_IjLj3EES5_S5_S5_,@function
_ZL33flash_attn_stream_k_fixup_generalILi256ELi16ELi1EEvPfPK15HIP_vector_typeIfLj2EEiiiiS1_IjLj3EES5_S5_S5_: ; @_ZL33flash_attn_stream_k_fixup_generalILi256ELi16ELi1EEvPfPK15HIP_vector_typeIfLj2EEiiiiS1_IjLj3EES5_S5_S5_
; %bb.0:
	s_clause 0x1
	s_load_b128 s[4:7], s[0:1], 0x10
	s_load_b32 s16, s[0:1], 0x50
	s_mov_b32 s2, ttmp9
	s_ashr_i32 s3, ttmp9, 31
	s_mov_b32 s17, 0
	s_delay_alu instid0(SALU_CYCLE_1) | instskip(SKIP_3) | instid1(SALU_CYCLE_1)
	s_mov_b32 s8, s17
	s_wait_kmcnt 0x0
	s_ashr_i32 s19, s7, 31
	s_mov_b32 s18, s7
	s_mul_u64 s[2:3], s[18:19], s[2:3]
	s_delay_alu instid0(SALU_CYCLE_1) | instskip(NEXT) | instid1(SALU_CYCLE_1)
	s_mov_b32 s9, s3
	s_cmp_lg_u64 s[8:9], 0
	s_cbranch_scc0 .LBB48_21
; %bb.1:
	s_add_nc_u64 s[8:9], s[16:17], 0
	s_mov_b32 s15, s17
	s_xor_b64 s[8:9], s[8:9], 0
	s_mov_b32 s23, s17
	s_cvt_f32_u32 s7, s8
	s_cvt_f32_u32 s10, s9
	s_sub_nc_u64 s[12:13], 0, s[8:9]
	s_delay_alu instid0(SALU_CYCLE_2) | instskip(NEXT) | instid1(SALU_CYCLE_3)
	s_fmamk_f32 s7, s10, 0x4f800000, s7
	v_s_rcp_f32 s7, s7
	s_delay_alu instid0(TRANS32_DEP_1) | instskip(SKIP_1) | instid1(SALU_CYCLE_2)
	s_mul_f32 s7, s7, 0x5f7ffffc
	s_wait_alu 0xfffe
	s_mul_f32 s10, s7, 0x2f800000
	s_delay_alu instid0(SALU_CYCLE_3) | instskip(NEXT) | instid1(SALU_CYCLE_3)
	s_trunc_f32 s10, s10
	s_fmamk_f32 s7, s10, 0xcf800000, s7
	s_cvt_u32_f32 s11, s10
	s_wait_alu 0xfffe
	s_delay_alu instid0(SALU_CYCLE_1) | instskip(NEXT) | instid1(SALU_CYCLE_3)
	s_cvt_u32_f32 s10, s7
	s_mul_u64 s[20:21], s[12:13], s[10:11]
	s_delay_alu instid0(SALU_CYCLE_1)
	s_mul_hi_u32 s25, s10, s21
	s_mul_i32 s24, s10, s21
	s_mul_hi_u32 s14, s10, s20
	s_mul_i32 s22, s11, s20
	s_add_nc_u64 s[14:15], s[14:15], s[24:25]
	s_mul_hi_u32 s7, s11, s20
	s_mul_hi_u32 s26, s11, s21
	s_add_co_u32 s14, s14, s22
	s_wait_alu 0xfffe
	s_add_co_ci_u32 s22, s15, s7
	s_mul_i32 s20, s11, s21
	s_add_co_ci_u32 s21, s26, 0
	s_delay_alu instid0(SALU_CYCLE_1)
	s_add_nc_u64 s[14:15], s[22:23], s[20:21]
	s_mov_b32 s21, s17
	s_add_co_u32 s10, s10, s14
	s_cselect_b32 s7, -1, 0
	s_wait_alu 0xfffe
	s_cmp_lg_u32 s7, 0
	s_add_co_ci_u32 s11, s11, s15
	s_mov_b32 s15, s17
	s_mul_u64 s[12:13], s[12:13], s[10:11]
	s_delay_alu instid0(SALU_CYCLE_1)
	s_mul_hi_u32 s23, s10, s13
	s_mul_i32 s22, s10, s13
	s_mul_hi_u32 s14, s10, s12
	s_mul_i32 s20, s11, s12
	s_add_nc_u64 s[14:15], s[14:15], s[22:23]
	s_mul_hi_u32 s7, s11, s12
	s_mul_hi_u32 s24, s11, s13
	s_mul_i32 s12, s11, s13
	s_add_co_u32 s13, s14, s20
	s_wait_alu 0xfffe
	s_add_co_ci_u32 s20, s15, s7
	s_add_co_ci_u32 s13, s24, 0
	s_mov_b32 s15, s17
	s_add_nc_u64 s[12:13], s[20:21], s[12:13]
	s_delay_alu instid0(SALU_CYCLE_1) | instskip(SKIP_1) | instid1(SALU_CYCLE_1)
	s_add_co_u32 s7, s10, s12
	s_cselect_b32 s10, -1, 0
	s_cmp_lg_u32 s10, 0
	s_add_co_ci_u32 s20, s11, s13
	s_ashr_i32 s10, s3, 31
	s_delay_alu instid0(SALU_CYCLE_1) | instskip(NEXT) | instid1(SALU_CYCLE_1)
	s_mov_b32 s11, s10
	s_add_nc_u64 s[12:13], s[2:3], s[10:11]
	s_delay_alu instid0(SALU_CYCLE_1) | instskip(NEXT) | instid1(SALU_CYCLE_1)
	s_xor_b64 s[12:13], s[12:13], s[10:11]
	s_mul_hi_u32 s23, s12, s20
	s_mul_i32 s22, s12, s20
	s_wait_alu 0xfffe
	s_mul_hi_u32 s14, s12, s7
	s_mul_hi_u32 s24, s13, s7
	s_mul_i32 s7, s13, s7
	s_add_nc_u64 s[14:15], s[14:15], s[22:23]
	s_mul_hi_u32 s3, s13, s20
	s_wait_alu 0xfffe
	s_add_co_u32 s7, s14, s7
	s_mul_i32 s22, s13, s20
	s_add_co_ci_u32 s20, s15, s24
	s_add_co_ci_u32 s23, s3, 0
	s_delay_alu instid0(SALU_CYCLE_1) | instskip(NEXT) | instid1(SALU_CYCLE_1)
	s_add_nc_u64 s[14:15], s[20:21], s[22:23]
	s_mul_u64 s[20:21], s[8:9], s[14:15]
	s_delay_alu instid0(SALU_CYCLE_1)
	s_sub_co_u32 s3, s12, s20
	s_cselect_b32 s7, -1, 0
	s_sub_co_i32 s12, s13, s21
	s_wait_alu 0xfffe
	s_cmp_lg_u32 s7, 0
	s_sub_co_ci_u32 s12, s12, s9
	s_sub_co_u32 s20, s3, s8
	s_cselect_b32 s22, -1, 0
	s_delay_alu instid0(SALU_CYCLE_1) | instskip(SKIP_2) | instid1(SALU_CYCLE_1)
	s_cmp_lg_u32 s22, 0
	s_add_nc_u64 s[22:23], s[14:15], 1
	s_sub_co_ci_u32 s12, s12, 0
	s_cmp_ge_u32 s12, s9
	s_cselect_b32 s24, -1, 0
	s_cmp_ge_u32 s20, s8
	s_cselect_b32 s20, -1, 0
	s_cmp_eq_u32 s12, s9
	s_cselect_b32 s12, s20, s24
	s_add_nc_u64 s[24:25], s[14:15], 2
	s_cmp_lg_u32 s12, 0
	s_cselect_b32 s12, s24, s22
	s_cselect_b32 s20, s25, s23
	s_cmp_lg_u32 s7, 0
	s_sub_co_ci_u32 s7, s13, s21
	s_wait_alu 0xfffe
	s_cmp_ge_u32 s7, s9
	s_cselect_b32 s13, -1, 0
	s_cmp_ge_u32 s3, s8
	s_cselect_b32 s3, -1, 0
	s_cmp_eq_u32 s7, s9
	s_cselect_b32 s3, s3, s13
	s_delay_alu instid0(SALU_CYCLE_1) | instskip(SKIP_4) | instid1(SALU_CYCLE_1)
	s_cmp_lg_u32 s3, 0
	s_mov_b32 s3, s17
	s_cselect_b32 s9, s20, s15
	s_cselect_b32 s8, s12, s14
	s_xor_b64 s[10:11], s[10:11], 0
	s_xor_b64 s[8:9], s[8:9], s[10:11]
	s_delay_alu instid0(SALU_CYCLE_1)
	s_sub_nc_u64 s[20:21], s[8:9], s[10:11]
	s_and_not1_b32 vcc_lo, exec_lo, s3
	s_cbranch_vccnz .LBB48_3
.LBB48_2:
	v_cvt_f32_u32_e32 v1, s16
	s_sub_co_i32 s7, 0, s16
	s_delay_alu instid0(VALU_DEP_1) | instskip(NEXT) | instid1(TRANS32_DEP_1)
	v_rcp_iflag_f32_e32 v1, v1
	v_mul_f32_e32 v1, 0x4f7ffffe, v1
	s_delay_alu instid0(VALU_DEP_1) | instskip(NEXT) | instid1(VALU_DEP_1)
	v_cvt_u32_f32_e32 v1, v1
	v_readfirstlane_b32 s3, v1
	s_wait_alu 0xfffe
	s_mul_i32 s7, s7, s3
	s_wait_alu 0xfffe
	s_mul_hi_u32 s7, s3, s7
	s_wait_alu 0xfffe
	s_add_co_i32 s3, s3, s7
	s_delay_alu instid0(SALU_CYCLE_1) | instskip(NEXT) | instid1(SALU_CYCLE_1)
	s_mul_hi_u32 s3, s2, s3
	s_mul_i32 s7, s3, s16
	s_wait_alu 0xfffe
	s_sub_co_i32 s2, s2, s7
	s_add_co_i32 s7, s3, 1
	s_sub_co_i32 s8, s2, s16
	s_cmp_ge_u32 s2, s16
	s_wait_alu 0xfffe
	s_cselect_b32 s3, s7, s3
	s_cselect_b32 s2, s8, s2
	s_add_co_i32 s7, s3, 1
	s_cmp_ge_u32 s2, s16
	s_wait_alu 0xfffe
	s_cselect_b32 s20, s7, s3
.LBB48_3:
	s_add_co_i32 s2, ttmp9, 1
	s_mov_b32 s8, 0
	s_ashr_i32 s3, s2, 31
	s_delay_alu instid0(SALU_CYCLE_1) | instskip(NEXT) | instid1(SALU_CYCLE_1)
	s_mul_u64 s[2:3], s[18:19], s[2:3]
	s_mov_b32 s9, s3
	s_delay_alu instid0(SALU_CYCLE_1)
	s_cmp_lg_u64 s[8:9], 0
	s_cbranch_scc0 .LBB48_22
; %bb.4:
	s_add_nc_u64 s[10:11], s[16:17], 0
	s_mov_b32 s23, s8
	s_xor_b64 s[10:11], s[10:11], 0
	s_mov_b32 s27, s8
	s_cvt_f32_u32 s7, s10
	s_cvt_f32_u32 s9, s11
	s_sub_nc_u64 s[14:15], 0, s[10:11]
	s_wait_alu 0xfffe
	s_delay_alu instid0(SALU_CYCLE_1) | instskip(SKIP_1) | instid1(SALU_CYCLE_2)
	s_fmamk_f32 s7, s9, 0x4f800000, s7
	s_wait_alu 0xfffe
	v_s_rcp_f32 s7, s7
	s_delay_alu instid0(TRANS32_DEP_1) | instskip(SKIP_1) | instid1(SALU_CYCLE_2)
	s_mul_f32 s7, s7, 0x5f7ffffc
	s_wait_alu 0xfffe
	s_mul_f32 s9, s7, 0x2f800000
	s_delay_alu instid0(SALU_CYCLE_3) | instskip(NEXT) | instid1(SALU_CYCLE_3)
	s_trunc_f32 s9, s9
	s_fmamk_f32 s7, s9, 0xcf800000, s7
	s_cvt_u32_f32 s13, s9
	s_wait_alu 0xfffe
	s_delay_alu instid0(SALU_CYCLE_1) | instskip(NEXT) | instid1(SALU_CYCLE_3)
	s_cvt_u32_f32 s12, s7
	s_mul_u64 s[24:25], s[14:15], s[12:13]
	s_delay_alu instid0(SALU_CYCLE_1)
	s_mul_hi_u32 s29, s12, s25
	s_mul_i32 s28, s12, s25
	s_mul_hi_u32 s22, s12, s24
	s_mul_i32 s9, s13, s24
	s_add_nc_u64 s[22:23], s[22:23], s[28:29]
	s_mul_hi_u32 s7, s13, s24
	s_mul_hi_u32 s21, s13, s25
	s_add_co_u32 s9, s22, s9
	s_wait_alu 0xfffe
	s_add_co_ci_u32 s26, s23, s7
	s_mul_i32 s24, s13, s25
	s_add_co_ci_u32 s25, s21, 0
	s_delay_alu instid0(SALU_CYCLE_1)
	s_add_nc_u64 s[22:23], s[26:27], s[24:25]
	s_mov_b32 s25, s8
	s_add_co_u32 s12, s12, s22
	s_cselect_b32 s7, -1, 0
	s_wait_alu 0xfffe
	s_cmp_lg_u32 s7, 0
	s_add_co_ci_u32 s13, s13, s23
	s_mov_b32 s23, s8
	s_mul_u64 s[14:15], s[14:15], s[12:13]
	s_delay_alu instid0(SALU_CYCLE_1)
	s_mul_hi_u32 s27, s12, s15
	s_mul_i32 s26, s12, s15
	s_mul_hi_u32 s22, s12, s14
	s_mul_i32 s9, s13, s14
	s_add_nc_u64 s[22:23], s[22:23], s[26:27]
	s_mul_hi_u32 s7, s13, s14
	s_mul_hi_u32 s21, s13, s15
	s_add_co_u32 s9, s22, s9
	s_wait_alu 0xfffe
	s_add_co_ci_u32 s24, s23, s7
	s_mul_i32 s14, s13, s15
	s_add_co_ci_u32 s15, s21, 0
	s_mov_b32 s23, s8
	s_add_nc_u64 s[14:15], s[24:25], s[14:15]
	s_delay_alu instid0(SALU_CYCLE_1) | instskip(SKIP_1) | instid1(SALU_CYCLE_1)
	s_add_co_u32 s7, s12, s14
	s_cselect_b32 s9, -1, 0
	s_cmp_lg_u32 s9, 0
	s_add_co_ci_u32 s9, s13, s15
	s_ashr_i32 s12, s3, 31
	s_delay_alu instid0(SALU_CYCLE_1) | instskip(NEXT) | instid1(SALU_CYCLE_1)
	s_mov_b32 s13, s12
	s_add_nc_u64 s[14:15], s[2:3], s[12:13]
	s_delay_alu instid0(SALU_CYCLE_1) | instskip(NEXT) | instid1(SALU_CYCLE_1)
	s_xor_b64 s[14:15], s[14:15], s[12:13]
	s_mul_hi_u32 s27, s14, s9
	s_mul_i32 s26, s14, s9
	s_wait_alu 0xfffe
	s_mul_hi_u32 s22, s14, s7
	s_mul_hi_u32 s21, s15, s7
	s_mul_i32 s7, s15, s7
	s_add_nc_u64 s[22:23], s[22:23], s[26:27]
	s_mul_hi_u32 s3, s15, s9
	s_wait_alu 0xfffe
	s_add_co_u32 s7, s22, s7
	s_add_co_ci_u32 s24, s23, s21
	s_mul_i32 s26, s15, s9
	s_add_co_ci_u32 s27, s3, 0
	s_delay_alu instid0(SALU_CYCLE_1) | instskip(NEXT) | instid1(SALU_CYCLE_1)
	s_add_nc_u64 s[22:23], s[24:25], s[26:27]
	s_mul_u64 s[24:25], s[10:11], s[22:23]
	s_add_nc_u64 s[26:27], s[22:23], 1
	s_sub_co_u32 s3, s14, s24
	s_cselect_b32 s7, -1, 0
	s_sub_co_i32 s9, s15, s25
	s_wait_alu 0xfffe
	s_cmp_lg_u32 s7, 0
	s_add_nc_u64 s[28:29], s[22:23], 2
	s_sub_co_ci_u32 s9, s9, s11
	s_sub_co_u32 s14, s3, s10
	s_cselect_b32 s21, -1, 0
	s_delay_alu instid0(SALU_CYCLE_1) | instskip(SKIP_1) | instid1(SALU_CYCLE_1)
	s_cmp_lg_u32 s21, 0
	s_sub_co_ci_u32 s9, s9, 0
	s_cmp_ge_u32 s9, s11
	s_cselect_b32 s21, -1, 0
	s_cmp_ge_u32 s14, s10
	s_cselect_b32 s14, -1, 0
	s_cmp_eq_u32 s9, s11
	s_cselect_b32 s9, s14, s21
	s_delay_alu instid0(SALU_CYCLE_1)
	s_cmp_lg_u32 s9, 0
	s_cselect_b32 s9, s28, s26
	s_cselect_b32 s14, s29, s27
	s_cmp_lg_u32 s7, 0
	s_sub_co_ci_u32 s7, s15, s25
	s_wait_alu 0xfffe
	s_cmp_ge_u32 s7, s11
	s_cselect_b32 s15, -1, 0
	s_cmp_ge_u32 s3, s10
	s_cselect_b32 s3, -1, 0
	s_cmp_eq_u32 s7, s11
	s_cselect_b32 s3, s3, s15
	s_delay_alu instid0(SALU_CYCLE_1) | instskip(SKIP_3) | instid1(SALU_CYCLE_1)
	s_cmp_lg_u32 s3, 0
	s_cselect_b32 s11, s14, s23
	s_cselect_b32 s10, s9, s22
	s_xor_b64 s[12:13], s[12:13], 0
	s_xor_b64 s[10:11], s[10:11], s[12:13]
	s_delay_alu instid0(SALU_CYCLE_1)
	s_sub_nc_u64 s[10:11], s[10:11], s[12:13]
	s_load_b96 s[12:14], s[0:1], 0x44
	s_and_not1_b32 vcc_lo, exec_lo, s8
	s_cbranch_vccnz .LBB48_6
.LBB48_5:
	v_cvt_f32_u32_e32 v1, s16
	s_sub_co_i32 s7, 0, s16
	s_delay_alu instid0(VALU_DEP_1) | instskip(NEXT) | instid1(TRANS32_DEP_1)
	v_rcp_iflag_f32_e32 v1, v1
	v_mul_f32_e32 v1, 0x4f7ffffe, v1
	s_delay_alu instid0(VALU_DEP_1) | instskip(NEXT) | instid1(VALU_DEP_1)
	v_cvt_u32_f32_e32 v1, v1
	v_readfirstlane_b32 s3, v1
	s_wait_alu 0xfffe
	s_mul_i32 s7, s7, s3
	s_wait_alu 0xfffe
	s_mul_hi_u32 s7, s3, s7
	s_wait_alu 0xfffe
	s_add_co_i32 s3, s3, s7
	s_delay_alu instid0(SALU_CYCLE_1) | instskip(NEXT) | instid1(SALU_CYCLE_1)
	s_mul_hi_u32 s3, s2, s3
	s_mul_i32 s7, s3, s16
	s_wait_alu 0xfffe
	s_sub_co_i32 s2, s2, s7
	s_add_co_i32 s7, s3, 1
	s_sub_co_i32 s8, s2, s16
	s_cmp_ge_u32 s2, s16
	s_wait_alu 0xfffe
	s_cselect_b32 s3, s7, s3
	s_cselect_b32 s2, s8, s2
	s_add_co_i32 s7, s3, 1
	s_cmp_ge_u32 s2, s16
	s_wait_alu 0xfffe
	s_cselect_b32 s10, s7, s3
.LBB48_6:
	s_mov_b32 s21, 0
	s_wait_kmcnt 0x0
	s_mov_b32 s22, s12
	s_mov_b32 s23, s21
	s_cmp_eq_u32 s20, s10
	s_mul_u64 s[2:3], s[20:21], s[22:23]
	s_cselect_b32 s7, -1, 0
	s_add_co_i32 s2, s3, s20
	s_mov_b32 s11, s21
	s_lshr_b32 s12, s2, s13
	s_mul_u64 s[2:3], s[10:11], s[22:23]
	s_mul_i32 s2, s12, s14
	s_delay_alu instid0(SALU_CYCLE_1) | instskip(SKIP_2) | instid1(SALU_CYCLE_1)
	s_cmp_eq_u32 s2, s20
	s_cselect_b32 s2, -1, 0
	s_add_co_i32 s3, s3, s10
	s_lshr_b32 s3, s3, s13
	s_delay_alu instid0(SALU_CYCLE_1)
	s_cmp_eq_u32 s12, s3
	s_mul_i32 s3, s3, s14
	s_cselect_b32 s8, -1, 0
	s_cmp_lg_u32 s3, s10
	s_cselect_b32 s3, -1, 0
	s_wait_alu 0xfffe
	s_or_b32 s2, s7, s2
	s_and_b32 s3, s8, s3
	s_delay_alu instid0(SALU_CYCLE_1) | instskip(NEXT) | instid1(SALU_CYCLE_1)
	s_or_b32 s2, s2, s3
	s_and_b32 vcc_lo, exec_lo, s2
	s_cbranch_vccnz .LBB48_24
; %bb.7:
	s_load_b256 s[24:31], s[0:1], 0x20
	s_mov_b32 s3, s21
	s_and_b32 s15, ttmp7, 0xffff
	s_wait_kmcnt 0x0
	s_mov_b32 s2, s24
	s_delay_alu instid0(SALU_CYCLE_1) | instskip(NEXT) | instid1(SALU_CYCLE_1)
	s_mul_u64 s[2:3], s[20:21], s[2:3]
	s_add_co_i32 s2, s3, s20
	s_delay_alu instid0(SALU_CYCLE_1) | instskip(SKIP_4) | instid1(SALU_CYCLE_1)
	s_lshr_b32 s3, s2, s25
	s_load_b32 s2, s[0:1], 0x40
	s_mul_i32 s7, s3, s26
	s_wait_alu 0xfffe
	s_sub_co_i32 s8, s20, s7
	s_mul_hi_u32 s7, s8, s27
	s_wait_alu 0xfffe
	s_add_co_i32 s7, s8, s7
	s_wait_alu 0xfffe
	s_lshr_b32 s7, s7, s28
	s_wait_alu 0xfffe
	s_mul_i32 s9, s7, s29
	s_delay_alu instid0(SALU_CYCLE_1) | instskip(NEXT) | instid1(SALU_CYCLE_1)
	s_sub_co_i32 s8, s8, s9
	s_mul_hi_u32 s9, s8, s30
	s_delay_alu instid0(SALU_CYCLE_1) | instskip(NEXT) | instid1(SALU_CYCLE_1)
	s_add_co_i32 s9, s8, s9
	s_lshr_b32 s24, s9, s31
	s_mov_b32 s9, s21
	s_wait_kmcnt 0x0
	s_mul_i32 s2, s24, s2
	s_delay_alu instid0(SALU_CYCLE_1) | instskip(NEXT) | instid1(SALU_CYCLE_1)
	s_sub_co_i32 s8, s8, s2
	s_mul_u64 s[10:11], s[8:9], s[22:23]
	s_delay_alu instid0(SALU_CYCLE_1) | instskip(NEXT) | instid1(SALU_CYCLE_1)
	s_add_co_i32 s2, s8, s11
	s_lshr_b32 s21, s2, s13
	s_delay_alu instid0(SALU_CYCLE_1) | instskip(NEXT) | instid1(SALU_CYCLE_1)
	s_lshl_b32 s2, s21, 4
	s_add_co_i32 s8, s2, s15
	s_lshr_b32 s2, ttmp7, 16
	s_cmp_lt_i32 s8, s4
	s_cselect_b32 s8, -1, 0
	s_add_co_i32 s9, s24, s2
	s_delay_alu instid0(SALU_CYCLE_1) | instskip(SKIP_1) | instid1(SALU_CYCLE_1)
	s_cmp_lt_i32 s9, s6
	s_cselect_b32 s9, -1, 0
	s_and_b32 s8, s8, s9
	s_delay_alu instid0(SALU_CYCLE_1)
	s_and_not1_b32 vcc_lo, exec_lo, s8
	s_cbranch_vccnz .LBB48_24
; %bb.8:
	s_mul_i32 s3, s3, s4
	s_mul_i32 s7, s7, s6
	s_add_co_i32 s3, s3, s15
	s_load_b128 s[8:11], s[0:1], 0x0
	s_mul_i32 s3, s3, s5
	s_mul_i32 s1, s5, s21
	s_add_co_i32 s3, s3, s2
	s_lshl_b32 s1, s1, 12
	s_add_co_i32 s0, s3, s7
	s_add_co_i32 s15, s15, s2
	;; [unrolled: 1-line block ×3, first 2 shown]
	v_cvt_f32_u32_e32 v4, s16
	s_lshl_b32 s0, s0, 8
	s_add_co_i32 s34, ttmp9, -1
	s_add_co_i32 s1, s1, s0
	s_delay_alu instid0(VALU_DEP_1)
	v_rcp_iflag_f32_e32 v4, v4
	v_or_b32_e32 v1, s1, v0
	s_add_nc_u64 s[0:1], s[16:17], 0
	v_lshl_or_b32 v0, s15, 8, v0
	s_wait_alu 0xfffe
	s_xor_b64 s[6:7], s[0:1], 0
	s_lshl_b32 s0, ttmp9, 4
	v_ashrrev_i32_e32 v2, 31, v1
	s_wait_alu 0xfffe
	s_cvt_f32_u32 s1, s6
	s_cvt_f32_u32 s2, s7
	s_add_co_i32 s0, s0, s15
	s_sub_nc_u64 s[30:31], 0, s[6:7]
	v_lshlrev_b64_e32 v[1:2], 2, v[1:2]
	s_wait_alu 0xfffe
	s_fmamk_f32 s2, s2, 0x4f800000, s1
	s_ashr_i32 s1, s0, 31
	s_wait_alu 0xfffe
	s_lshl_b64 s[0:1], s[0:1], 3
	v_s_rcp_f32 s2, s2
	s_wait_kmcnt 0x0
	v_add_co_u32 v1, vcc_lo, s8, v1
	s_delay_alu instid0(VALU_DEP_1)
	v_add_co_ci_u32_e64 v2, null, s9, v2, vcc_lo
	s_wait_alu 0xfffe
	s_add_nc_u64 s[0:1], s[10:11], s[0:1]
	s_mov_b32 s8, 0
	s_load_b64 s[26:27], s[0:1], 0x0
	global_load_b32 v3, v[1:2], off
	s_mul_f32 s2, s2, 0x5f7ffffc
	v_mul_f32_e32 v4, 0x4f7ffffe, v4
	s_lshl_b32 s0, s16, 6
	s_wait_alu 0xfffe
	s_mul_f32 s1, s2, 0x2f800000
	s_wait_alu 0xfffe
	s_delay_alu instid0(SALU_CYCLE_2)
	s_trunc_f32 s3, s1
	s_mov_b32 s1, s8
	s_wait_alu 0xfffe
	s_lshl_b64 s[0:1], s[0:1], 2
	s_fmamk_f32 s2, s3, 0xcf800000, s2
	s_cvt_u32_f32 s29, s3
	s_wait_alu 0xfffe
	s_add_nc_u64 s[24:25], s[10:11], s[0:1]
	s_cvt_u32_f32 s28, s2
	s_wait_kmcnt 0x0
	v_mov_b32_e32 v5, s27
	v_cvt_u32_f32_e32 v4, v4
.LBB48_9:                               ; =>This Inner Loop Header: Depth=1
	s_wait_alu 0xfffe
	s_ashr_i32 s35, s34, 31
	s_mov_b32 s2, -1
	s_wait_alu 0xfffe
	s_mul_u64 s[0:1], s[34:35], s[18:19]
                                        ; implicit-def: $sgpr38_sgpr39
	s_wait_alu 0xfffe
	s_mov_b32 s9, s1
	s_wait_alu 0xfffe
	s_cmp_lg_u64 s[8:9], 0
	s_cbranch_scc0 .LBB48_11
; %bb.10:                               ;   in Loop: Header=BB48_9 Depth=1
	s_mul_u64 s[2:3], s[30:31], s[28:29]
	s_mov_b32 s37, s8
	s_wait_alu 0xfffe
	s_mul_hi_u32 s5, s28, s3
	s_mul_i32 s4, s28, s3
	s_mul_hi_u32 s36, s28, s2
	s_mul_hi_u32 s9, s29, s2
	s_wait_alu 0xfffe
	s_add_nc_u64 s[4:5], s[36:37], s[4:5]
	s_mul_i32 s2, s29, s2
	s_mul_hi_u32 s17, s29, s3
	s_wait_alu 0xfffe
	s_add_co_u32 s2, s4, s2
	s_add_co_ci_u32 s2, s5, s9
	s_add_co_ci_u32 s5, s17, 0
	s_mul_i32 s4, s29, s3
	s_mov_b32 s3, s8
	s_mov_b32 s39, s8
	s_wait_alu 0xfffe
	s_add_nc_u64 s[2:3], s[2:3], s[4:5]
	s_wait_alu 0xfffe
	s_add_co_u32 s2, s28, s2
	s_cselect_b32 s4, -1, 0
	s_wait_alu 0xfffe
	s_cmp_lg_u32 s4, 0
	s_add_co_ci_u32 s3, s29, s3
	s_wait_alu 0xfffe
	s_mul_u64 s[4:5], s[30:31], s[2:3]
	s_wait_alu 0xfffe
	s_mul_hi_u32 s37, s2, s5
	s_mul_i32 s36, s2, s5
	s_mul_hi_u32 s38, s2, s4
	s_mul_hi_u32 s9, s3, s4
	s_mul_i32 s4, s3, s4
	s_wait_alu 0xfffe
	s_add_nc_u64 s[36:37], s[38:39], s[36:37]
	s_mul_hi_u32 s17, s3, s5
	s_wait_alu 0xfffe
	s_add_co_u32 s4, s36, s4
	s_add_co_ci_u32 s4, s37, s9
	s_add_co_ci_u32 s37, s17, 0
	s_mul_i32 s36, s3, s5
	s_mov_b32 s5, s8
	s_wait_alu 0xfffe
	s_add_nc_u64 s[4:5], s[4:5], s[36:37]
	s_mov_b32 s37, s8
	s_wait_alu 0xfffe
	s_add_co_u32 s9, s2, s4
	s_cselect_b32 s2, -1, 0
	s_wait_alu 0xfffe
	s_cmp_lg_u32 s2, 0
	s_add_co_ci_u32 s17, s3, s5
	s_ashr_i32 s2, s1, 31
	s_wait_alu 0xfffe
	s_mov_b32 s3, s2
	s_wait_alu 0xfffe
	s_add_nc_u64 s[4:5], s[0:1], s[2:3]
	s_wait_alu 0xfffe
	s_xor_b64 s[4:5], s[4:5], s[2:3]
	s_wait_alu 0xfffe
	s_mul_hi_u32 s39, s4, s17
	s_mul_i32 s38, s4, s17
	s_mul_hi_u32 s36, s4, s9
	s_mul_i32 s21, s5, s9
	s_wait_alu 0xfffe
	s_add_nc_u64 s[36:37], s[36:37], s[38:39]
	s_mul_hi_u32 s9, s5, s9
	s_mul_hi_u32 s1, s5, s17
	s_wait_alu 0xfffe
	s_add_co_u32 s21, s36, s21
	s_add_co_ci_u32 s36, s37, s9
	s_add_co_ci_u32 s39, s1, 0
	s_mul_i32 s38, s5, s17
	s_mov_b32 s37, s8
	s_wait_alu 0xfffe
	s_add_nc_u64 s[36:37], s[36:37], s[38:39]
	s_wait_alu 0xfffe
	s_mul_u64 s[38:39], s[6:7], s[36:37]
	s_add_nc_u64 s[40:41], s[36:37], 1
	s_sub_co_u32 s1, s4, s38
	s_cselect_b32 s4, -1, 0
	s_sub_co_i32 s9, s5, s39
	s_wait_alu 0xfffe
	s_cmp_lg_u32 s4, 0
	s_add_nc_u64 s[42:43], s[36:37], 2
	s_sub_co_ci_u32 s9, s9, s7
	s_sub_co_u32 s17, s1, s6
	s_cselect_b32 s21, -1, 0
	s_delay_alu instid0(SALU_CYCLE_1)
	s_cmp_lg_u32 s21, 0
	s_wait_alu 0xfffe
	s_sub_co_ci_u32 s9, s9, 0
	s_wait_alu 0xfffe
	s_cmp_ge_u32 s9, s7
	s_cselect_b32 s21, -1, 0
	s_cmp_ge_u32 s17, s6
	s_cselect_b32 s17, -1, 0
	s_cmp_eq_u32 s9, s7
	s_wait_alu 0xfffe
	s_cselect_b32 s9, s17, s21
	s_wait_alu 0xfffe
	s_cmp_lg_u32 s9, 0
	s_cselect_b32 s9, s42, s40
	s_cselect_b32 s17, s43, s41
	s_cmp_lg_u32 s4, 0
	s_sub_co_ci_u32 s4, s5, s39
	s_wait_alu 0xfffe
	s_cmp_ge_u32 s4, s7
	s_cselect_b32 s5, -1, 0
	s_cmp_ge_u32 s1, s6
	s_cselect_b32 s1, -1, 0
	s_cmp_eq_u32 s4, s7
	s_wait_alu 0xfffe
	s_cselect_b32 s1, s1, s5
	s_wait_alu 0xfffe
	s_cmp_lg_u32 s1, 0
	s_cselect_b32 s5, s17, s37
	s_cselect_b32 s4, s9, s36
	s_xor_b64 s[2:3], s[2:3], 0
	s_wait_alu 0xfffe
	s_xor_b64 s[4:5], s[4:5], s[2:3]
	s_wait_alu 0xfffe
	s_sub_nc_u64 s[38:39], s[4:5], s[2:3]
	s_mov_b32 s2, 0
.LBB48_11:                              ;   in Loop: Header=BB48_9 Depth=1
	s_wait_alu 0xfffe
	s_and_not1_b32 vcc_lo, exec_lo, s2
	s_wait_alu 0xfffe
	s_cbranch_vccnz .LBB48_13
; %bb.12:                               ;   in Loop: Header=BB48_9 Depth=1
	v_readfirstlane_b32 s1, v4
	s_sub_co_i32 s2, 0, s16
	s_wait_alu 0xfffe
	s_mul_i32 s2, s2, s1
	s_wait_alu 0xfffe
	s_mul_hi_u32 s2, s1, s2
	s_wait_alu 0xfffe
	s_add_co_i32 s1, s1, s2
	s_wait_alu 0xfffe
	s_mul_hi_u32 s1, s0, s1
	s_wait_alu 0xfffe
	s_mul_i32 s2, s1, s16
	s_wait_alu 0xfffe
	s_sub_co_i32 s0, s0, s2
	s_add_co_i32 s2, s1, 1
	s_wait_alu 0xfffe
	s_sub_co_i32 s3, s0, s16
	s_cmp_ge_u32 s0, s16
	s_cselect_b32 s1, s2, s1
	s_wait_alu 0xfffe
	s_cselect_b32 s0, s3, s0
	s_add_co_i32 s2, s1, 1
	s_wait_alu 0xfffe
	s_cmp_ge_u32 s0, s16
	s_cselect_b32 s38, s2, s1
.LBB48_13:                              ;   in Loop: Header=BB48_9 Depth=1
	v_readfirstlane_b32 s9, v0
	s_cmp_lg_u32 s20, s38
	s_mov_b32 s0, -1
                                        ; implicit-def: $sgpr21
                                        ; implicit-def: $vgpr6
                                        ; implicit-def: $vgpr7
                                        ; implicit-def: $sgpr17
                                        ; implicit-def: $sgpr27
	s_cbranch_scc1 .LBB48_16
; %bb.14:                               ;   in Loop: Header=BB48_9 Depth=1
	s_wait_alu 0xfffe
	s_and_not1_b32 vcc_lo, exec_lo, s0
	s_wait_alu 0xfffe
	s_cbranch_vccz .LBB48_19
.LBB48_15:                              ;   in Loop: Header=BB48_9 Depth=1
	s_and_not1_b32 vcc_lo, exec_lo, s21
	s_wait_alu 0xfffe
	s_cbranch_vccnz .LBB48_20
	s_branch .LBB48_23
.LBB48_16:                              ;   in Loop: Header=BB48_9 Depth=1
	s_add_co_i32 s0, s34, s16
	s_mov_b32 s1, s8
	s_wait_alu 0xfffe
	s_lshl_b32 s0, s0, 4
	v_max_num_f32_e64 v6, s26, s26
	s_wait_alu 0xfffe
	s_add_co_i32 s0, s0, s15
	s_mov_b32 s39, s8
	s_wait_alu 0xfffe
	s_lshl_b64 s[0:1], s[0:1], 3
	s_mul_u64 s[40:41], s[38:39], s[22:23]
	s_wait_alu 0xfffe
	s_add_nc_u64 s[0:1], s[10:11], s[0:1]
	s_mov_b32 s27, s20
	s_load_b64 s[36:37], s[0:1], 0x0
	v_readfirstlane_b32 s0, v6
	s_wait_kmcnt 0x0
	v_max_num_f32_e64 v7, s36, s36
	s_delay_alu instid0(VALU_DEP_1) | instskip(SKIP_2) | instid1(SALU_CYCLE_2)
	v_readfirstlane_b32 s1, v7
	s_max_num_f32 s9, s0, s1
	s_wait_alu 0xfffe
	s_sub_f32 s33, s26, s9
	s_sub_f32 s35, s36, s9
	s_wait_alu 0xfffe
	s_delay_alu instid0(SALU_CYCLE_1)
	s_cmp_nlt_f32 s33, 0xc2ce8ed0
	s_cselect_b32 s0, -1, 0
	s_cmp_ngt_f32 s33, 0x42b17218
	s_cselect_b32 s1, -1, 0
	s_cmp_ge_f32 s33, 0xc1a00000
	s_cselect_b32 s2, -1, 0
	s_cmp_nlt_f32 s35, 0xc2ce8ed0
	s_cselect_b32 s3, -1, 0
	s_cmp_ngt_f32 s35, 0x42b17218
	s_cselect_b32 s4, -1, 0
	s_cmp_ge_f32 s35, 0xc1a00000
	s_cselect_b32 s5, -1, 0
	s_add_co_i32 s17, s41, s38
	s_wait_alu 0xfffe
	s_lshr_b32 s17, s17, s13
	s_wait_alu 0xfffe
	s_mul_i32 s21, s17, s14
	s_delay_alu instid0(SALU_CYCLE_1)
	s_cmp_eq_u32 s21, s38
	s_cselect_b32 s21, -1, 0
	s_cmp_lt_u32 s17, s12
	s_cselect_b32 s17, -1, 0
	s_wait_alu 0xfffe
	s_or_b32 s17, s17, s21
	s_mov_b32 s21, -1
	s_wait_alu 0xfffe
	s_and_b32 vcc_lo, exec_lo, s17
	s_mov_b32 s17, s34
	s_wait_alu 0xfffe
	s_cbranch_vccnz .LBB48_18
; %bb.17:                               ;   in Loop: Header=BB48_9 Depth=1
	s_add_co_i32 s17, s34, -1
	s_mov_b32 s21, 0
	s_mov_b32 s27, s38
.LBB48_18:                              ;   in Loop: Header=BB48_9 Depth=1
	v_lshl_add_u32 v6, s34, 12, v0
	s_mul_f32 s36, s35, 0x3fb8aa3b
	s_mul_f32 s38, s33, 0x3fb8aa3b
	s_wait_alu 0xfffe
	s_delay_alu instid0(SALU_CYCLE_1)
	s_xor_b32 s39, s36, 0x80000000
	v_ashrrev_i32_e32 v7, 31, v6
	s_rndne_f32 s40, s36
	s_fmamk_f32 s39, s35, 0x3fb8aa3b, s39
	s_xor_b32 s41, s38, 0x80000000
	s_rndne_f32 s42, s38
	v_lshlrev_b64_e32 v[6:7], 2, v[6:7]
	s_sub_f32 s36, s36, s40
	s_fmamk_f32 s35, s35, 0x32a5705f, s39
	s_fmamk_f32 s39, s33, 0x3fb8aa3b, s41
	s_sub_f32 s38, s38, s42
	s_delay_alu instid0(VALU_DEP_1)
	v_add_co_u32 v6, vcc_lo, s24, v6
	s_wait_alu 0xfffd
	v_add_co_ci_u32_e64 v7, null, s25, v7, vcc_lo
	s_wait_alu 0xfffe
	s_add_f32 s35, s36, s35
	s_fmamk_f32 s33, s33, 0x32a5705f, s39
	s_cvt_i32_f32 s36, s40
	global_load_b32 v6, v[6:7], off
	s_wait_alu 0xfffe
	v_s_exp_f32 s35, s35
	s_add_f32 s33, s38, s33
	s_wait_alu 0xfffe
	s_delay_alu instid0(SALU_CYCLE_2) | instskip(NEXT) | instid1(TRANS32_DEP_2)
	v_s_exp_f32 s33, s33
	v_ldexp_f32 v7, s35, s36
	s_cvt_i32_f32 s35, s42
	s_wait_alu 0xf1fe
	s_delay_alu instid0(TRANS32_DEP_1) | instid1(SALU_CYCLE_2)
	v_ldexp_f32 v8, s33, s35
	s_delay_alu instid0(VALU_DEP_2) | instskip(NEXT) | instid1(VALU_DEP_2)
	v_cndmask_b32_e64 v7, 0, v7, s3
	v_cndmask_b32_e64 v8, 0, v8, s0
	s_delay_alu instid0(VALU_DEP_2) | instskip(NEXT) | instid1(VALU_DEP_2)
	v_cndmask_b32_e64 v7, 0x7f800000, v7, s4
	v_cndmask_b32_e64 v8, 0x7f800000, v8, s1
	;; [unrolled: 3-line block ×3, first 2 shown]
	s_wait_loadcnt 0x0
	s_delay_alu instid0(VALU_DEP_2) | instskip(SKIP_1) | instid1(VALU_DEP_1)
	v_mul_f32_e32 v6, v6, v7
	v_mul_f32_e32 v7, s37, v7
	v_fmac_f32_e32 v7, v5, v8
	s_delay_alu instid0(VALU_DEP_3)
	v_fmac_f32_e32 v6, v3, v8
	s_cbranch_execnz .LBB48_15
.LBB48_19:                              ;   in Loop: Header=BB48_9 Depth=1
	s_wait_loadcnt 0x0
	v_dual_mov_b32 v7, v5 :: v_dual_mov_b32 v6, v3
	s_add_co_i32 s17, s34, -1
	s_mov_b32 s27, s20
	s_mov_b32 s9, s26
	s_cbranch_execz .LBB48_23
.LBB48_20:                              ;   in Loop: Header=BB48_9 Depth=1
	v_mov_b32_e32 v5, v7
	s_wait_loadcnt 0x0
	v_mov_b32_e32 v3, v6
	s_wait_alu 0xfffe
	s_mov_b32 s20, s27
	s_mov_b32 s34, s17
	;; [unrolled: 1-line block ×3, first 2 shown]
	s_branch .LBB48_9
.LBB48_21:
                                        ; implicit-def: $sgpr20_sgpr21
	s_branch .LBB48_2
.LBB48_22:
                                        ; implicit-def: $sgpr10_sgpr11
	s_load_b96 s[12:14], s[0:1], 0x44
	s_branch .LBB48_5
.LBB48_23:
	v_div_scale_f32 v0, null, v7, v7, v6
	s_wait_loadcnt 0x0
	s_delay_alu instid0(VALU_DEP_1) | instskip(NEXT) | instid1(TRANS32_DEP_1)
	v_rcp_f32_e32 v3, v0
	v_fma_f32 v4, -v0, v3, 1.0
	s_delay_alu instid0(VALU_DEP_1) | instskip(SKIP_1) | instid1(VALU_DEP_1)
	v_fmac_f32_e32 v3, v4, v3
	v_div_scale_f32 v4, vcc_lo, v6, v7, v6
	v_mul_f32_e32 v5, v4, v3
	s_delay_alu instid0(VALU_DEP_1) | instskip(NEXT) | instid1(VALU_DEP_1)
	v_fma_f32 v8, -v0, v5, v4
	v_fmac_f32_e32 v5, v8, v3
	s_delay_alu instid0(VALU_DEP_1) | instskip(SKIP_1) | instid1(VALU_DEP_1)
	v_fma_f32 v0, -v0, v5, v4
	s_wait_alu 0xfffd
	v_div_fmas_f32 v0, v0, v3, v5
	s_delay_alu instid0(VALU_DEP_1)
	v_div_fixup_f32 v0, v0, v7, v6
	global_store_b32 v[1:2], v0, off
.LBB48_24:
	s_endpgm
	.section	.rodata,"a",@progbits
	.p2align	6, 0x0
	.amdhsa_kernel _ZL33flash_attn_stream_k_fixup_generalILi256ELi16ELi1EEvPfPK15HIP_vector_typeIfLj2EEiiiiS1_IjLj3EES5_S5_S5_
		.amdhsa_group_segment_fixed_size 0
		.amdhsa_private_segment_fixed_size 0
		.amdhsa_kernarg_size 336
		.amdhsa_user_sgpr_count 2
		.amdhsa_user_sgpr_dispatch_ptr 0
		.amdhsa_user_sgpr_queue_ptr 0
		.amdhsa_user_sgpr_kernarg_segment_ptr 1
		.amdhsa_user_sgpr_dispatch_id 0
		.amdhsa_user_sgpr_private_segment_size 0
		.amdhsa_wavefront_size32 1
		.amdhsa_uses_dynamic_stack 0
		.amdhsa_enable_private_segment 0
		.amdhsa_system_sgpr_workgroup_id_x 1
		.amdhsa_system_sgpr_workgroup_id_y 1
		.amdhsa_system_sgpr_workgroup_id_z 1
		.amdhsa_system_sgpr_workgroup_info 0
		.amdhsa_system_vgpr_workitem_id 0
		.amdhsa_next_free_vgpr 9
		.amdhsa_next_free_sgpr 44
		.amdhsa_reserve_vcc 1
		.amdhsa_float_round_mode_32 0
		.amdhsa_float_round_mode_16_64 0
		.amdhsa_float_denorm_mode_32 3
		.amdhsa_float_denorm_mode_16_64 3
		.amdhsa_fp16_overflow 0
		.amdhsa_workgroup_processor_mode 1
		.amdhsa_memory_ordered 1
		.amdhsa_forward_progress 1
		.amdhsa_inst_pref_size 28
		.amdhsa_round_robin_scheduling 0
		.amdhsa_exception_fp_ieee_invalid_op 0
		.amdhsa_exception_fp_denorm_src 0
		.amdhsa_exception_fp_ieee_div_zero 0
		.amdhsa_exception_fp_ieee_overflow 0
		.amdhsa_exception_fp_ieee_underflow 0
		.amdhsa_exception_fp_ieee_inexact 0
		.amdhsa_exception_int_div_zero 0
	.end_amdhsa_kernel
	.section	.text._ZL33flash_attn_stream_k_fixup_generalILi256ELi16ELi1EEvPfPK15HIP_vector_typeIfLj2EEiiiiS1_IjLj3EES5_S5_S5_,"axG",@progbits,_ZL33flash_attn_stream_k_fixup_generalILi256ELi16ELi1EEvPfPK15HIP_vector_typeIfLj2EEiiiiS1_IjLj3EES5_S5_S5_,comdat
.Lfunc_end48:
	.size	_ZL33flash_attn_stream_k_fixup_generalILi256ELi16ELi1EEvPfPK15HIP_vector_typeIfLj2EEiiiiS1_IjLj3EES5_S5_S5_, .Lfunc_end48-_ZL33flash_attn_stream_k_fixup_generalILi256ELi16ELi1EEvPfPK15HIP_vector_typeIfLj2EEiiiiS1_IjLj3EES5_S5_S5_
                                        ; -- End function
	.set _ZL33flash_attn_stream_k_fixup_generalILi256ELi16ELi1EEvPfPK15HIP_vector_typeIfLj2EEiiiiS1_IjLj3EES5_S5_S5_.num_vgpr, 9
	.set _ZL33flash_attn_stream_k_fixup_generalILi256ELi16ELi1EEvPfPK15HIP_vector_typeIfLj2EEiiiiS1_IjLj3EES5_S5_S5_.num_agpr, 0
	.set _ZL33flash_attn_stream_k_fixup_generalILi256ELi16ELi1EEvPfPK15HIP_vector_typeIfLj2EEiiiiS1_IjLj3EES5_S5_S5_.numbered_sgpr, 44
	.set _ZL33flash_attn_stream_k_fixup_generalILi256ELi16ELi1EEvPfPK15HIP_vector_typeIfLj2EEiiiiS1_IjLj3EES5_S5_S5_.num_named_barrier, 0
	.set _ZL33flash_attn_stream_k_fixup_generalILi256ELi16ELi1EEvPfPK15HIP_vector_typeIfLj2EEiiiiS1_IjLj3EES5_S5_S5_.private_seg_size, 0
	.set _ZL33flash_attn_stream_k_fixup_generalILi256ELi16ELi1EEvPfPK15HIP_vector_typeIfLj2EEiiiiS1_IjLj3EES5_S5_S5_.uses_vcc, 1
	.set _ZL33flash_attn_stream_k_fixup_generalILi256ELi16ELi1EEvPfPK15HIP_vector_typeIfLj2EEiiiiS1_IjLj3EES5_S5_S5_.uses_flat_scratch, 0
	.set _ZL33flash_attn_stream_k_fixup_generalILi256ELi16ELi1EEvPfPK15HIP_vector_typeIfLj2EEiiiiS1_IjLj3EES5_S5_S5_.has_dyn_sized_stack, 0
	.set _ZL33flash_attn_stream_k_fixup_generalILi256ELi16ELi1EEvPfPK15HIP_vector_typeIfLj2EEiiiiS1_IjLj3EES5_S5_S5_.has_recursion, 0
	.set _ZL33flash_attn_stream_k_fixup_generalILi256ELi16ELi1EEvPfPK15HIP_vector_typeIfLj2EEiiiiS1_IjLj3EES5_S5_S5_.has_indirect_call, 0
	.section	.AMDGPU.csdata,"",@progbits
; Kernel info:
; codeLenInByte = 3556
; TotalNumSgprs: 46
; NumVgprs: 9
; ScratchSize: 0
; MemoryBound: 0
; FloatMode: 240
; IeeeMode: 1
; LDSByteSize: 0 bytes/workgroup (compile time only)
; SGPRBlocks: 0
; VGPRBlocks: 1
; NumSGPRsForWavesPerEU: 46
; NumVGPRsForWavesPerEU: 9
; Occupancy: 16
; WaveLimiterHint : 0
; COMPUTE_PGM_RSRC2:SCRATCH_EN: 0
; COMPUTE_PGM_RSRC2:USER_SGPR: 2
; COMPUTE_PGM_RSRC2:TRAP_HANDLER: 0
; COMPUTE_PGM_RSRC2:TGID_X_EN: 1
; COMPUTE_PGM_RSRC2:TGID_Y_EN: 1
; COMPUTE_PGM_RSRC2:TGID_Z_EN: 1
; COMPUTE_PGM_RSRC2:TIDIG_COMP_CNT: 0
	.section	.text._ZL15flash_attn_tileILi256ELi256ELi8ELi1ELb0EEvPKcS1_S1_S1_S1_PKiPfP15HIP_vector_typeIfLj2EEffffjfiS5_IjLj3EEiiiiiiiiiiiliiliiiiil,"axG",@progbits,_ZL15flash_attn_tileILi256ELi256ELi8ELi1ELb0EEvPKcS1_S1_S1_S1_PKiPfP15HIP_vector_typeIfLj2EEffffjfiS5_IjLj3EEiiiiiiiiiiiliiliiiiil,comdat
	.globl	_ZL15flash_attn_tileILi256ELi256ELi8ELi1ELb0EEvPKcS1_S1_S1_S1_PKiPfP15HIP_vector_typeIfLj2EEffffjfiS5_IjLj3EEiiiiiiiiiiiliiliiiiil ; -- Begin function _ZL15flash_attn_tileILi256ELi256ELi8ELi1ELb0EEvPKcS1_S1_S1_S1_PKiPfP15HIP_vector_typeIfLj2EEffffjfiS5_IjLj3EEiiiiiiiiiiiliiliiiiil
	.p2align	8
	.type	_ZL15flash_attn_tileILi256ELi256ELi8ELi1ELb0EEvPKcS1_S1_S1_S1_PKiPfP15HIP_vector_typeIfLj2EEffffjfiS5_IjLj3EEiiiiiiiiiiiliiliiiiil,@function
_ZL15flash_attn_tileILi256ELi256ELi8ELi1ELb0EEvPKcS1_S1_S1_S1_PKiPfP15HIP_vector_typeIfLj2EEffffjfiS5_IjLj3EEiiiiiiiiiiiliiliiiiil: ; @_ZL15flash_attn_tileILi256ELi256ELi8ELi1ELb0EEvPKcS1_S1_S1_S1_PKiPfP15HIP_vector_typeIfLj2EEffffjfiS5_IjLj3EEiiiiiiiiiiiliiliiiiil
; %bb.0:
	s_clause 0x1
	s_load_b128 s[20:23], s[0:1], 0x5c
	s_load_b64 s[2:3], s[0:1], 0x80
	s_lshr_b32 s6, ttmp7, 16
	s_load_b64 s[30:31], s[0:1], 0xb8
	s_mov_b32 s41, 0
	s_mov_b64 s[38:39], 0
	s_wait_kmcnt 0x0
	s_cvt_f32_u32 s4, s23
	s_sub_co_i32 s5, 0, s23
	s_delay_alu instid0(SALU_CYCLE_2) | instskip(NEXT) | instid1(TRANS32_DEP_1)
	v_rcp_iflag_f32_e32 v1, s4
	v_readfirstlane_b32 s4, v1
	s_mul_f32 s4, s4, 0x4f7ffffe
	s_wait_alu 0xfffe
	s_delay_alu instid0(SALU_CYCLE_2) | instskip(SKIP_1) | instid1(SALU_CYCLE_2)
	s_cvt_u32_f32 s4, s4
	s_wait_alu 0xfffe
	s_mul_i32 s5, s5, s4
	s_wait_alu 0xfffe
	s_mul_hi_u32 s5, s4, s5
	s_wait_alu 0xfffe
	s_add_co_i32 s4, s4, s5
	s_wait_alu 0xfffe
	s_mul_hi_u32 s4, s6, s4
	s_wait_alu 0xfffe
	s_mul_i32 s5, s4, s23
	s_add_co_i32 s7, s4, 1
	s_wait_alu 0xfffe
	s_sub_co_i32 s5, s6, s5
	s_wait_alu 0xfffe
	s_sub_co_i32 s8, s5, s23
	s_cmp_ge_u32 s5, s23
	s_cselect_b32 s4, s7, s4
	s_cselect_b32 s5, s8, s5
	s_wait_alu 0xfffe
	s_add_co_i32 s7, s4, 1
	s_cmp_ge_u32 s5, s23
	s_cselect_b32 s36, s7, s4
	s_abs_i32 s4, s3
	s_abs_i32 s9, s23
	s_wait_alu 0xfffe
	s_cvt_f32_u32 s5, s4
	s_sub_co_i32 s7, 0, s4
	s_mul_i32 s8, s36, s23
	s_xor_b32 s3, s23, s3
	s_wait_alu 0xfffe
	v_rcp_iflag_f32_e32 v1, s5
	s_sub_co_i32 s34, s6, s8
	s_ashr_i32 s3, s3, 31
	s_delay_alu instid0(TRANS32_DEP_1) | instskip(SKIP_2) | instid1(SALU_CYCLE_2)
	v_readfirstlane_b32 s5, v1
	s_mul_f32 s5, s5, 0x4f7ffffe
	s_wait_alu 0xfffe
	s_cvt_u32_f32 s5, s5
	s_wait_alu 0xfffe
	s_delay_alu instid0(SALU_CYCLE_2) | instskip(NEXT) | instid1(SALU_CYCLE_1)
	s_mul_i32 s7, s7, s5
	s_mul_hi_u32 s7, s5, s7
	s_delay_alu instid0(SALU_CYCLE_1)
	s_add_co_i32 s5, s5, s7
	s_wait_alu 0xfffe
	s_mul_hi_u32 s5, s9, s5
	s_wait_alu 0xfffe
	s_mul_i32 s6, s5, s4
	s_add_co_i32 s7, s5, 1
	s_sub_co_i32 s6, s9, s6
	s_delay_alu instid0(SALU_CYCLE_1)
	s_sub_co_i32 s8, s6, s4
	s_cmp_ge_u32 s6, s4
	s_cselect_b32 s5, s7, s5
	s_cselect_b32 s6, s8, s6
	s_wait_alu 0xfffe
	s_add_co_i32 s7, s5, 1
	s_cmp_ge_u32 s6, s4
	s_cselect_b32 s4, s7, s5
	s_abs_i32 s40, s34
	s_wait_alu 0xfffe
	s_xor_b32 s4, s4, s3
	s_wait_alu 0xfffe
	s_sub_co_i32 s37, s4, s3
	s_delay_alu instid0(SALU_CYCLE_1) | instskip(NEXT) | instid1(SALU_CYCLE_1)
	s_abs_i32 s3, s37
	s_cvt_f32_u32 s4, s3
	s_sub_co_i32 s25, 0, s3
	s_wait_alu 0xfffe
	s_delay_alu instid0(SALU_CYCLE_1) | instskip(SKIP_1) | instid1(TRANS32_DEP_1)
	v_rcp_iflag_f32_e32 v1, s4
	s_load_b512 s[4:19], s[0:1], 0x0
	v_readfirstlane_b32 s24, v1
	s_mul_f32 s24, s24, 0x4f7ffffe
	s_delay_alu instid0(SALU_CYCLE_3) | instskip(NEXT) | instid1(SALU_CYCLE_3)
	s_cvt_u32_f32 s24, s24
	s_mul_i32 s25, s25, s24
	s_delay_alu instid0(SALU_CYCLE_1) | instskip(NEXT) | instid1(SALU_CYCLE_1)
	s_mul_hi_u32 s25, s24, s25
	s_add_co_i32 s42, s24, s25
	s_wait_kmcnt 0x0
	s_cmp_eq_u64 s[10:11], 0
	s_cbranch_scc1 .LBB49_2
; %bb.1:
	s_abs_i32 s26, s30
	s_delay_alu instid0(SALU_CYCLE_1) | instskip(NEXT) | instid1(SALU_CYCLE_3)
	s_cvt_f32_u32 s24, s26
	v_rcp_iflag_f32_e32 v1, s24
	s_delay_alu instid0(TRANS32_DEP_1) | instskip(SKIP_2) | instid1(SALU_CYCLE_2)
	v_readfirstlane_b32 s24, v1
	s_mul_f32 s24, s24, 0x4f7ffffe
	s_wait_alu 0xfffe
	s_cvt_u32_f32 s27, s24
	s_sub_co_i32 s24, 0, s26
	s_wait_alu 0xfffe
	s_delay_alu instid0(SALU_CYCLE_1) | instskip(SKIP_4) | instid1(SALU_CYCLE_1)
	s_mul_i32 s24, s24, s27
	s_wait_alu 0xfffe
	s_mul_hi_u32 s28, s27, s24
	s_load_b64 s[24:25], s[0:1], 0xc8
	s_add_co_i32 s27, s27, s28
	s_mul_hi_u32 s27, s36, s27
	s_delay_alu instid0(SALU_CYCLE_1) | instskip(NEXT) | instid1(SALU_CYCLE_1)
	s_mul_i32 s27, s27, s26
	s_sub_co_i32 s27, s36, s27
	s_delay_alu instid0(SALU_CYCLE_1) | instskip(SKIP_2) | instid1(SALU_CYCLE_1)
	s_sub_co_i32 s28, s27, s26
	s_cmp_ge_u32 s27, s26
	s_cselect_b32 s27, s28, s27
	s_sub_co_i32 s28, s27, s26
	s_cmp_ge_u32 s27, s26
	s_cselect_b32 s26, s28, s27
	s_delay_alu instid0(SALU_CYCLE_1)
	s_ashr_i32 s27, s26, 31
	s_wait_kmcnt 0x0
	s_mul_u64 s[24:25], s[24:25], s[26:27]
	s_wait_alu 0xfffe
	s_add_nc_u64 s[38:39], s[10:11], s[24:25]
.LBB49_2:
	s_clause 0x1
	s_load_b128 s[24:27], s[0:1], 0x40
	s_load_b32 s10, s[0:1], 0x50
	v_mov_b32_e32 v56, 1.0
	s_mov_b32 s43, s41
	s_wait_kmcnt 0x0
	s_cmp_le_f32 s25, 0
	s_cbranch_scc1 .LBB49_4
; %bb.3:
	v_sub_co_u32 v1, s10, s34, s10
	s_and_b32 s25, s10, exec_lo
	s_cselect_b32 s25, s26, s27
	s_add_co_i32 s26, s34, 1
	v_readfirstlane_b32 s11, v1
	s_lshl_b32 s11, s11, 1
	s_wait_alu 0xfffe
	s_or_b32 s11, s11, 1
	s_and_b32 s10, s10, exec_lo
	s_wait_alu 0xfffe
	s_cselect_b32 s10, s26, s11
	s_cmp_neq_f32 s25, 1.0
	s_wait_alu 0xfffe
	s_cvt_f32_i32 s10, s10
	s_wait_alu 0xfffe
	s_delay_alu instid0(SALU_CYCLE_2)
	s_cselect_b32 s11, s10, 1.0
	s_wait_alu 0xfffe
	s_cmp_neq_f32 s11, 0
	s_cselect_b32 s10, s25, 1.0
	s_wait_alu 0xfffe
	v_frexp_mant_f32_e64 v1, |s10|
	s_delay_alu instid0(VALU_DEP_1) | instskip(SKIP_3) | instid1(SALU_CYCLE_1)
	v_readfirstlane_b32 s25, v1
	v_cvt_f64_f32_e64 v[1:2], |s10|
	s_cmp_lt_f32 s25, 0x3f2aaaab
	s_cselect_b32 s26, -1, 0
	s_and_b32 s27, s26, exec_lo
	s_cselect_b32 s27, 2.0, 1.0
	s_delay_alu instid0(SALU_CYCLE_1) | instskip(SKIP_1) | instid1(SALU_CYCLE_2)
	s_mul_f32 s25, s25, s27
	s_wait_alu 0xfffe
	s_add_f32 s27, s25, 1.0
	s_add_f32 s29, s25, -1.0
	s_delay_alu instid0(SALU_CYCLE_2) | instskip(SKIP_2) | instid1(SALU_CYCLE_2)
	v_s_rcp_f32 s28, s27
	s_add_f32 s35, s27, -1.0
	s_wait_alu 0xfffe
	s_sub_f32 s25, s25, s35
	s_delay_alu instid0(TRANS32_DEP_1) | instskip(NEXT) | instid1(SALU_CYCLE_3)
	s_mul_f32 s30, s29, s28
	s_mul_f32 s33, s27, s30
	s_delay_alu instid0(SALU_CYCLE_3) | instskip(NEXT) | instid1(VALU_DEP_1)
	s_xor_b32 s44, s33, 0x80000000
	v_frexp_exp_i32_f64_e32 v1, v[1:2]
	s_fmac_f32 s44, s30, s27
	s_wait_alu 0xfffe
	s_delay_alu instid0(SALU_CYCLE_2) | instskip(NEXT) | instid1(SALU_CYCLE_3)
	s_fmac_f32 s44, s30, s25
	s_add_f32 s25, s33, s44
	s_wait_alu 0xfffe
	s_delay_alu instid0(SALU_CYCLE_2) | instskip(SKIP_2) | instid1(SALU_CYCLE_1)
	s_sub_f32 s27, s29, s25
	s_sub_f32 s33, s25, s33
	s_wait_alu 0xfffe
	s_sub_f32 s29, s29, s27
	s_delay_alu instid0(SALU_CYCLE_1) | instskip(NEXT) | instid1(SALU_CYCLE_2)
	s_sub_f32 s33, s33, s44
	s_sub_f32 s25, s29, s25
	s_wait_alu 0xfffe
	s_delay_alu instid0(SALU_CYCLE_2) | instskip(SKIP_2) | instid1(SALU_CYCLE_1)
	s_add_f32 s25, s33, s25
	s_mov_b32 s33, 0x3e76c4e1
	s_wait_alu 0xfffe
	s_add_f32 s25, s27, s25
	s_wait_alu 0xfffe
	s_delay_alu instid0(SALU_CYCLE_2) | instskip(SKIP_1) | instid1(SALU_CYCLE_2)
	s_mul_f32 s25, s28, s25
	s_wait_alu 0xfffe
	s_add_f32 s27, s30, s25
	s_wait_alu 0xfffe
	s_delay_alu instid0(SALU_CYCLE_2) | instskip(SKIP_1) | instid1(SALU_CYCLE_2)
	s_sub_f32 s28, s27, s30
	s_mul_f32 s29, s27, s27
	s_sub_f32 s25, s25, s28
	s_delay_alu instid0(SALU_CYCLE_2) | instskip(NEXT) | instid1(SALU_CYCLE_1)
	s_xor_b32 s28, s29, 0x80000000
	s_fmac_f32 s28, s27, s27
	s_wait_alu 0xfffe
	s_add_f32 s30, s25, s25
	s_delay_alu instid0(SALU_CYCLE_3) | instskip(NEXT) | instid1(SALU_CYCLE_3)
	s_fmac_f32 s28, s27, s30
	s_add_f32 s30, s29, s28
	s_delay_alu instid0(SALU_CYCLE_3) | instskip(SKIP_1) | instid1(SALU_CYCLE_2)
	s_fmaak_f32 s33, s30, s33, 0x3e91f4c4
	s_sub_f32 s29, s30, s29
	s_fmaak_f32 s33, s30, s33, 0x3ecccdef
	s_delay_alu instid0(SALU_CYCLE_2) | instskip(SKIP_1) | instid1(SALU_CYCLE_1)
	s_sub_f32 s28, s28, s29
	s_mul_f32 s29, s27, s30
	s_mul_f32 s35, s30, s33
	s_delay_alu instid0(SALU_CYCLE_2) | instskip(SKIP_1) | instid1(SALU_CYCLE_1)
	s_xor_b32 s45, s29, 0x80000000
	s_wait_alu 0xfffe
	s_xor_b32 s44, s35, 0x80000000
	s_fmac_f32 s45, s30, s27
	s_fmac_f32 s44, s30, s33
	s_delay_alu instid0(SALU_CYCLE_2) | instskip(NEXT) | instid1(SALU_CYCLE_2)
	s_fmac_f32 s45, s30, s25
	s_fmac_f32 s44, s28, s33
	s_delay_alu instid0(SALU_CYCLE_2) | instskip(NEXT) | instid1(SALU_CYCLE_2)
	s_fmac_f32 s45, s28, s27
	s_add_f32 s33, s35, s44
	s_delay_alu instid0(SALU_CYCLE_3) | instskip(SKIP_2) | instid1(SALU_CYCLE_1)
	s_sub_f32 s35, s33, s35
	s_add_f32 s46, s33, 0x3f2aaaaa
	s_wait_alu 0xfffe
	s_sub_f32 s35, s44, s35
	s_delay_alu instid0(SALU_CYCLE_1) | instskip(SKIP_1) | instid1(SALU_CYCLE_1)
	s_add_f32 s44, s46, 0xbf2aaaaa
	s_wait_alu 0xfffe
	s_add_f32 s30, s35, 0x31739010
	s_delay_alu instid0(SALU_CYCLE_1) | instskip(NEXT) | instid1(SALU_CYCLE_3)
	s_sub_f32 s33, s33, s44
	s_add_f32 s28, s30, s33
	s_add_f32 s30, s29, s45
	s_delay_alu instid0(SALU_CYCLE_2) | instskip(NEXT) | instid1(SALU_CYCLE_2)
	s_add_f32 s33, s46, s28
	s_sub_f32 s29, s30, s29
	s_delay_alu instid0(SALU_CYCLE_2) | instskip(SKIP_1) | instid1(SALU_CYCLE_1)
	s_mul_f32 s35, s30, s33
	s_sub_f32 s44, s46, s33
	s_sub_f32 s29, s45, s29
	s_wait_alu 0xfffe
	s_xor_b32 s46, s35, 0x80000000
	s_add_f32 s28, s28, s44
	s_fmac_f32 s46, s30, s33
	v_readfirstlane_b32 s44, v1
	v_ldexp_f32 v1, s27, 1
	s_cmp_lg_u32 s26, 0
	s_fmac_f32 s46, s30, s28
	s_sub_co_ci_u32 s26, s44, 0
	s_delay_alu instid0(VALU_DEP_1) | instskip(NEXT) | instid1(SALU_CYCLE_1)
	v_readfirstlane_b32 s27, v1
	s_fmac_f32 s46, s29, s33
	s_wait_alu 0xfffe
	s_cvt_f32_i32 s26, s26
	v_ldexp_f32 v1, s25, 1
	s_add_f32 s28, s35, s46
	s_wait_alu 0xfffe
	s_mul_f32 s25, s26, 0x3f317218
	s_delay_alu instid0(VALU_DEP_1)
	v_readfirstlane_b32 s33, v1
	s_add_f32 s29, s27, s28
	s_sub_f32 s30, s28, s35
	s_wait_alu 0xfffe
	s_xor_b32 s35, s25, 0x80000000
	s_sub_f32 s27, s29, s27
	s_sub_f32 s30, s46, s30
	s_wait_alu 0xfffe
	s_fmamk_f32 s35, s26, 0x3f317218, s35
	s_sub_f32 s27, s28, s27
	s_add_f32 s28, s33, s30
	s_wait_alu 0xfffe
	s_fmamk_f32 s26, s26, 0xb102e308, s35
	s_delay_alu instid0(SALU_CYCLE_1) | instskip(SKIP_1) | instid1(SALU_CYCLE_1)
	s_add_f32 s27, s28, s27
	s_wait_alu 0xfffe
	s_add_f32 s28, s25, s26
	s_delay_alu instid0(SALU_CYCLE_1) | instskip(NEXT) | instid1(SALU_CYCLE_2)
	s_add_f32 s30, s29, s27
	s_sub_f32 s25, s28, s25
	s_delay_alu instid0(SALU_CYCLE_2)
	s_add_f32 s33, s28, s30
	s_sub_f32 s29, s30, s29
	s_wait_alu 0xfffe
	s_sub_f32 s25, s26, s25
	s_sub_f32 s35, s33, s28
	;; [unrolled: 1-line block ×3, first 2 shown]
	s_wait_alu 0xfffe
	s_delay_alu instid0(SALU_CYCLE_1) | instskip(SKIP_2) | instid1(SALU_CYCLE_1)
	s_sub_f32 s44, s33, s35
	s_sub_f32 s27, s30, s35
	s_add_f32 s29, s25, s26
	s_sub_f32 s28, s28, s44
	s_wait_alu 0xfffe
	s_delay_alu instid0(SALU_CYCLE_2) | instskip(SKIP_2) | instid1(SALU_CYCLE_1)
	s_add_f32 s27, s27, s28
	s_sub_f32 s28, s29, s25
	s_wait_alu 0xfffe
	s_add_f32 s27, s29, s27
	s_delay_alu instid0(SALU_CYCLE_1) | instskip(SKIP_4) | instid1(SALU_CYCLE_2)
	s_sub_f32 s29, s29, s28
	s_sub_f32 s26, s26, s28
	s_wait_alu 0xfffe
	s_add_f32 s30, s33, s27
	s_sub_f32 s25, s25, s29
	s_sub_f32 s28, s30, s33
	s_wait_alu 0xfffe
	s_delay_alu instid0(SALU_CYCLE_1) | instskip(NEXT) | instid1(SALU_CYCLE_1)
	s_add_f32 s25, s26, s25
	s_sub_f32 s26, s27, s28
	s_wait_alu 0xfffe
	s_delay_alu instid0(SALU_CYCLE_2) | instskip(SKIP_1) | instid1(SALU_CYCLE_2)
	s_add_f32 s25, s25, s26
	s_wait_alu 0xfffe
	s_add_f32 s26, s30, s25
	s_wait_alu 0xfffe
	s_delay_alu instid0(SALU_CYCLE_2) | instskip(SKIP_2) | instid1(SALU_CYCLE_1)
	s_mul_f32 s27, s11, s26
	s_sub_f32 s28, s26, s30
	s_wait_alu 0xfffe
	s_xor_b32 s29, s27, 0x80000000
	s_delay_alu instid0(SALU_CYCLE_1) | instskip(SKIP_2) | instid1(SALU_CYCLE_2)
	s_sub_f32 s25, s25, s28
	s_fmac_f32 s29, s11, s26
	s_wait_alu 0xfffe
	s_fmac_f32 s29, s11, s25
	v_cmp_class_f32_e64 s25, s27, 0x204
	s_delay_alu instid0(SALU_CYCLE_2) | instskip(SKIP_2) | instid1(SALU_CYCLE_1)
	s_add_f32 s26, s27, s29
	s_and_b32 s25, s25, exec_lo
	s_wait_alu 0xfffe
	s_sub_f32 s25, s26, s27
	s_cselect_b32 s26, s27, s26
	s_wait_alu 0xfffe
	s_and_b32 s27, s26, 0x7fffffff
	s_sub_f32 s25, s29, s25
	s_wait_alu 0xfffe
	s_cmp_neq_f32 s27, 0x7f800000
	s_delay_alu instid0(SALU_CYCLE_1)
	s_cselect_b32 s25, s25, 0
	s_cmp_eq_f32 s26, 0x42b17218
	s_cselect_b32 s27, 0x37000000, 0
	s_wait_alu 0xfffe
	s_sub_f32 s26, s26, s27
	s_add_f32 s25, s27, s25
	s_wait_alu 0xfffe
	s_delay_alu instid0(SALU_CYCLE_1) | instskip(NEXT) | instid1(SALU_CYCLE_3)
	s_mul_f32 s28, s26, 0x3fb8aa3b
	s_xor_b32 s29, s28, 0x80000000
	s_rndne_f32 s30, s28
	s_fmamk_f32 s29, s26, 0x3fb8aa3b, s29
	s_cmp_nlt_f32 s26, 0xc2ce8ed0
	s_delay_alu instid0(SALU_CYCLE_1) | instskip(NEXT) | instid1(SALU_CYCLE_1)
	s_sub_f32 s28, s28, s30
	s_fmamk_f32 s29, s26, 0x32a5705f, s29
	s_cselect_b32 vcc_lo, -1, 0
	s_cmp_ngt_f32 s26, 0x42b17218
	s_trunc_f32 s26, s11
	s_add_f32 s28, s28, s29
	s_cvt_i32_f32 s29, s30
	s_delay_alu instid0(SALU_CYCLE_2)
	v_s_exp_f32 s28, s28
	s_wait_alu 0xf1ff
	s_delay_alu instid0(TRANS32_DEP_1) | instid1(SALU_CYCLE_1)
	v_ldexp_f32 v1, s28, s29
	s_mul_f32 s28, s11, 0.5
	s_delay_alu instid0(VALU_DEP_1)
	v_cndmask_b32_e32 v1, 0, v1, vcc_lo
	s_cselect_b32 vcc_lo, -1, 0
	s_wait_alu 0xfffe
	s_cmp_eq_f32 s26, s11
	s_trunc_f32 s29, s28
	v_cndmask_b32_e32 v1, 0x7f800000, v1, vcc_lo
	s_cselect_b32 s30, -1, 0
	s_wait_alu 0xfffe
	s_cmp_neq_f32 s29, s28
	s_delay_alu instid0(VALU_DEP_1)
	v_fma_f32 v2, s25, v1, v1
	v_cmp_class_f32_e64 vcc_lo, v1, 0x204
	s_cselect_b32 s27, -1, 0
	s_wait_alu 0xfffe
	s_and_b32 s25, s30, s27
	s_wait_alu 0xfffd
	v_cndmask_b32_e32 v1, v2, v1, vcc_lo
	s_wait_alu 0xfffe
	s_and_b32 s27, s25, exec_lo
	s_cselect_b32 s27, s10, 1.0
	s_cmp_eq_f32 s26, s11
	v_cmp_class_f32_e64 s26, s10, 0x204
	s_wait_alu 0xfffe
	v_bfi_b32 v1, 0x7fffffff, v1, s27
	s_cselect_b32 vcc_lo, -1, 0
	s_cmp_lt_f32 s10, 0
	s_wait_alu 0xfffe
	s_delay_alu instid0(VALU_DEP_1) | instskip(SKIP_3) | instid1(VALU_DEP_1)
	v_cndmask_b32_e32 v2, 0x7fc00000, v1, vcc_lo
	s_cselect_b32 vcc_lo, -1, 0
	s_cmp_eq_f32 s10, 0
	s_wait_alu 0xfffe
	v_cndmask_b32_e32 v1, v1, v2, vcc_lo
	s_cselect_b32 s27, -1, 0
	s_wait_alu 0xfffe
	s_or_b32 vcc_lo, s27, s26
	s_cmp_lt_f32 s11, 0
	s_cselect_b32 s11, -1, 0
	s_wait_alu 0xfffe
	s_xor_b32 s11, s11, s27
	s_wait_alu 0xfffe
	s_and_b32 s11, s11, exec_lo
	s_cselect_b32 s11, 0, 0x7f800000
	s_and_b32 s25, s25, exec_lo
	s_cselect_b32 s25, s10, 0
	s_cmp_o_f32 s10, s10
	s_wait_alu 0xfffe
	v_mov_b32_e32 v2, s25
	s_delay_alu instid0(VALU_DEP_1) | instskip(NEXT) | instid1(VALU_DEP_1)
	v_bfi_b32 v2, 0x7fffffff, s11, v2
	v_cndmask_b32_e32 v1, v1, v2, vcc_lo
	s_cselect_b32 vcc_lo, -1, 0
	s_wait_alu 0xfffe
	s_delay_alu instid0(VALU_DEP_1)
	v_cndmask_b32_e32 v56, 0x7fc00000, v1, vcc_lo
.LBB49_4:
	v_bfe_u32 v51, v0, 10, 10
	s_lshl_b32 s33, ttmp9, 3
	s_load_b96 s[28:30], s[0:1], 0x70
	v_and_b32_e32 v43, 0x3ff, v0
	s_ashr_i32 s35, s34, 31
	v_lshlrev_b32_e32 v40, 1, v51
	v_lshlrev_b32_e32 v58, 10, v51
	s_delay_alu instid0(VALU_DEP_3) | instskip(SKIP_1) | instid1(VALU_DEP_4)
	v_dual_mov_b32 v60, 0 :: v_dual_lshlrev_b32 v45, 3, v43
	v_lshlrev_b32_e32 v41, 2, v43
	v_or_b32_e32 v38, 1, v40
	v_add_nc_u32_e32 v42, s33, v40
	s_delay_alu instid0(VALU_DEP_4) | instskip(NEXT) | instid1(VALU_DEP_3)
	v_add_nc_u32_e32 v16, 0x4200, v45
	v_add_nc_u32_e32 v39, s33, v38
	s_delay_alu instid0(VALU_DEP_3) | instskip(NEXT) | instid1(VALU_DEP_3)
	v_mul_hi_u32 v1, v42, s20
	v_add_nc_u32_e32 v17, v16, v58
	v_lshl_add_u32 v16, v38, 9, v16
	s_delay_alu instid0(VALU_DEP_4)
	v_mul_hi_u32 v2, v39, s20
	s_wait_kmcnt 0x0
	s_mul_i32 s10, s34, s29
	s_ashr_i32 s29, s28, 31
	s_wait_alu 0xfffe
	s_ashr_i32 s11, s10, 31
	s_lshr_b64 s[26:27], s[28:29], 2
	s_lshr_b32 s25, s29, 2
	s_mul_i32 s28, s36, s30
	v_add_nc_u32_e32 v2, v39, v2
	s_wait_alu 0xfffe
	s_ashr_i32 s29, s28, 31
	s_wait_alu 0xfffe
	s_add_nc_u64 s[4:5], s[4:5], s[28:29]
	s_wait_alu 0xfffe
	s_add_nc_u64 s[4:5], s[4:5], s[10:11]
	v_lshrrev_b32_e32 v3, s21, v2
	s_ashr_i32 s10, s37, 31
	s_mov_b32 s37, 0
	s_cmp_eq_u64 s[14:15], 0
	s_delay_alu instid0(VALU_DEP_1) | instskip(NEXT) | instid1(VALU_DEP_1)
	v_mul_lo_u32 v3, v3, s22
	v_sub_nc_u32_e32 v6, v39, v3
	s_delay_alu instid0(VALU_DEP_1) | instskip(NEXT) | instid1(VALU_DEP_1)
	v_mad_co_u64_u32 v[4:5], null, s26, v6, 0
	v_dual_mov_b32 v0, v5 :: v_dual_add_nc_u32 v1, v42, v1
	s_delay_alu instid0(VALU_DEP_1) | instskip(NEXT) | instid1(VALU_DEP_1)
	v_lshrrev_b32_e32 v1, s21, v1
	v_mul_lo_u32 v1, v1, s22
	s_delay_alu instid0(VALU_DEP_1) | instskip(NEXT) | instid1(VALU_DEP_1)
	v_sub_nc_u32_e32 v57, v42, v1
	v_mad_co_u64_u32 v[1:2], null, s26, v57, 0
	s_delay_alu instid0(VALU_DEP_1) | instskip(SKIP_2) | instid1(VALU_DEP_1)
	v_mad_co_u64_u32 v[2:3], null, s25, v57, v[2:3]
	v_lshlrev_b32_e32 v3, 4, v43
	s_wait_alu 0xfffe
	v_add_co_u32 v10, s4, s4, v3
	s_delay_alu instid0(VALU_DEP_3)
	v_lshlrev_b64_e32 v[1:2], 2, v[1:2]
	s_wait_alu 0xf1ff
	v_add_co_ci_u32_e64 v11, null, s5, 0, s4
	s_mul_u64 s[4:5], s[40:41], s[42:43]
	v_mad_co_u64_u32 v[5:6], null, s25, v6, v[0:1]
	v_add_co_u32 v6, vcc_lo, v10, v1
	s_wait_alu 0xfffd
	v_add_co_ci_u32_e64 v7, null, v11, v2, vcc_lo
	s_delay_alu instid0(VALU_DEP_3)
	v_lshlrev_b64_e32 v[8:9], 2, v[4:5]
	s_clause 0x1
	global_load_b128 v[0:3], v[6:7], off
	global_load_b128 v[4:7], v[6:7], off offset:512
	v_add_co_u32 v12, vcc_lo, v10, v8
	s_wait_alu 0xfffd
	v_add_co_ci_u32_e64 v13, null, v11, v9, vcc_lo
	s_clause 0x1
	global_load_b128 v[8:11], v[12:13], off
	global_load_b128 v[12:15], v[12:13], off offset:512
	s_wait_loadcnt 0x3
	v_fma_mixlo_f16 v0, s24, v0, 0
	v_fma_mixlo_f16 v1, s24, v1, 0
	v_fma_mixlo_f16 v2, s24, v2, 0
	v_fma_mixlo_f16 v3, s24, v3, 0
	s_wait_loadcnt 0x2
	v_fma_mixlo_f16 v4, s24, v4, 0
	v_fma_mixlo_f16 v5, s24, v5, 0
	;; [unrolled: 1-line block ×4, first 2 shown]
	v_lshlrev_b32_e32 v1, 16, v1
	v_and_b32_e32 v0, 0xffff, v0
	v_lshlrev_b32_e32 v3, 16, v3
	v_and_b32_e32 v2, 0xffff, v2
	;; [unrolled: 2-line block ×3, first 2 shown]
	s_wait_loadcnt 0x1
	v_fma_mixlo_f16 v8, s24, v8, 0
	v_fma_mixlo_f16 v9, s24, v9, 0
	s_wait_loadcnt 0x0
	v_fma_mixlo_f16 v12, s24, v12, 0
	v_fma_mixlo_f16 v13, s24, v13, 0
	v_lshlrev_b32_e32 v7, 16, v7
	v_and_b32_e32 v6, 0xffff, v6
	v_fma_mixlo_f16 v10, s24, v10, 0
	v_fma_mixlo_f16 v11, s24, v11, 0
	;; [unrolled: 1-line block ×4, first 2 shown]
	v_or_b32_e32 v0, v1, v0
	v_or3_b32 v1, v3, v2, 0
	v_or_b32_e32 v2, v5, v4
	v_lshlrev_b32_e32 v4, 16, v9
	v_and_b32_e32 v5, 0xffff, v8
	v_lshlrev_b32_e32 v8, 16, v13
	v_and_b32_e32 v9, 0xffff, v12
	v_or3_b32 v3, v7, v6, 0
	v_lshlrev_b32_e32 v6, 16, v11
	v_and_b32_e32 v7, 0xffff, v10
	v_lshlrev_b32_e32 v10, 16, v15
	v_and_b32_e32 v11, 0xffff, v14
	v_or_b32_e32 v4, v4, v5
	v_or_b32_e32 v8, v8, v9
	v_or3_b32 v0, 0, 0, v0
	v_or3_b32 v2, 0, 0, v2
	;; [unrolled: 1-line block ×6, first 2 shown]
	ds_store_2addr_b64 v17, v[0:1], v[2:3] offset1:32
	ds_store_2addr_b64 v16, v[4:5], v[6:7] offset1:32
	s_wait_dscnt 0x0
	s_barrier_signal -1
	s_barrier_wait -1
	global_inv scope:SCOPE_SE
	s_cbranch_scc1 .LBB49_6
; %bb.5:
	s_load_b32 s2, s[0:1], 0xd0
	s_mov_b32 s25, s37
	s_wait_kmcnt 0x0
	s_mul_i32 s2, s2, s36
	s_delay_alu instid0(SALU_CYCLE_1)
	s_add_co_i32 s24, s2, ttmp9
	s_wait_alu 0xfffe
	s_lshl_b64 s[24:25], s[24:25], 2
	s_wait_alu 0xfffe
	s_add_nc_u64 s[14:15], s[14:15], s[24:25]
	s_load_b32 s2, s[14:15], 0x0
.LBB49_6:
	s_clause 0x2
	s_load_b64 s[28:29], s[0:1], 0x8c
	s_load_b128 s[24:27], s[0:1], 0x98
	s_load_b64 s[42:43], s[0:1], 0xa8
	s_mul_i32 s4, s5, s3
	s_ashr_i32 s15, s31, 1
	s_wait_alu 0xfffe
	s_sub_co_i32 s31, s40, s4
	s_xor_b32 s30, s35, s10
	s_add_co_i32 s14, s5, 1
	s_sub_co_i32 s40, s31, s3
	v_lshlrev_b32_e32 v55, 2, v41
	v_mul_u32_u24_e32 v59, 0x210, v43
	v_mbcnt_lo_u32_b32 v44, -1, 0
	s_wait_kmcnt 0x0
	s_ashr_i32 s4, s28, 2
	s_ashr_i32 s26, s26, 2
	s_cmp_ge_u32 s31, s3
	s_mul_u64 s[10:11], s[24:25], s[36:37]
	s_cselect_b32 s5, s14, s5
	s_wait_alu 0xfffe
	s_add_nc_u64 s[6:7], s[6:7], s[10:11]
	s_cselect_b32 s10, s40, s31
	s_add_co_i32 s11, s5, 1
	s_wait_alu 0xfffe
	s_cmp_ge_u32 s10, s3
	v_mul_lo_u32 v2, s4, v51
	v_mul_lo_u32 v0, s26, v51
	s_cselect_b32 s5, s11, s5
	s_mul_u64 s[24:25], s[42:43], s[36:37]
	s_wait_alu 0xfffe
	s_xor_b32 s5, s5, s30
	s_add_nc_u64 s[8:9], s[8:9], s[24:25]
	s_wait_alu 0xfffe
	s_sub_co_i32 s5, s5, s30
	s_and_b32 s14, ttmp7, 0xffff
	s_wait_alu 0xfffe
	s_mul_i32 s10, s5, s29
	s_mul_i32 s24, s5, s27
	v_ashrrev_i32_e32 v3, 31, v2
	v_ashrrev_i32_e32 v1, 31, v0
	s_sub_co_i32 s3, s2, 32
	s_lshl_b32 s28, s14, 5
	s_wait_alu 0xfffe
	s_ashr_i32 s11, s10, 31
	s_ashr_i32 s25, s24, 31
	s_cmp_ge_i32 s28, s3
	s_wait_alu 0xfffe
	s_add_nc_u64 s[6:7], s[6:7], s[10:11]
	s_add_nc_u64 s[24:25], s[8:9], s[24:25]
	s_cbranch_scc1 .LBB49_15
; %bb.7:
	s_lshl_b32 s8, s4, 2
	s_ashr_i32 s5, s4, 31
	s_cmp_lg_u64 s[38:39], 0
	v_dual_mov_b32 v83, 0 :: v_dual_add_nc_u32 v4, s8, v2
	s_cselect_b32 s10, -1, 0
	s_lshl_b32 s9, s26, 2
	v_or_b32_e32 v6, 1, v42
	s_wait_alu 0xfffe
	v_add_nc_u32_e32 v24, s9, v0
	v_dual_mov_b32 v85, 0xfeffffff :: v_dual_add_nc_u32 v10, s8, v4
	v_mad_u32_u24 v62, 0x210, v51, v55
	v_mul_hi_u32 v5, s20, v6
	s_delay_alu instid0(VALU_DEP_4) | instskip(NEXT) | instid1(VALU_DEP_4)
	v_add_nc_u32_e32 v26, s9, v24
	v_dual_mov_b32 v49, 0 :: v_dual_add_nc_u32 v12, s8, v10
	v_dual_mov_b32 v52, 0 :: v_dual_mov_b32 v47, 0
	s_delay_alu instid0(VALU_DEP_3) | instskip(NEXT) | instid1(VALU_DEP_3)
	v_add_nc_u32_e32 v28, s9, v26
	v_add_nc_u32_e32 v14, s8, v12
	;; [unrolled: 1-line block ×3, first 2 shown]
	v_ashrrev_i32_e32 v11, 31, v10
	v_ashrrev_i32_e32 v13, 31, v12
	v_add_nc_u32_e32 v30, s9, v28
	v_add_nc_u32_e32 v16, s8, v14
	v_lshrrev_b32_e32 v5, s21, v5
	v_ashrrev_i32_e32 v15, 31, v14
	v_ashrrev_i32_e32 v25, 31, v24
	v_add_nc_u32_e32 v32, s9, v30
	v_add_nc_u32_e32 v18, s8, v16
	v_mul_lo_u32 v7, v5, s22
	v_ashrrev_i32_e32 v5, 31, v4
	v_ashrrev_i32_e32 v17, 31, v16
	v_add_nc_u32_e32 v34, s9, v32
	v_add_nc_u32_e32 v20, s8, v18
	v_ashrrev_i32_e32 v19, 31, v18
	v_ashrrev_i32_e32 v27, 31, v26
	;; [unrolled: 1-line block ×3, first 2 shown]
	v_add_nc_u32_e32 v36, s9, v34
	v_sub_nc_u32_e32 v6, v6, v7
	v_ashrrev_i32_e32 v21, 31, v20
	v_ashrrev_i32_e32 v31, 31, v30
	;; [unrolled: 1-line block ×5, first 2 shown]
	v_lshl_add_u32 v64, v51, 9, v55
	v_mul_lo_u32 v72, v57, s15
	v_mul_lo_u32 v73, v6, s15
	v_lshlrev_b64_e32 v[6:7], 2, v[2:3]
	v_lshlrev_b64_e32 v[8:9], 2, v[4:5]
	;; [unrolled: 1-line block ×16, first 2 shown]
	v_dual_mov_b32 v48, 0 :: v_dual_add_nc_u32 v63, 0x4200, v58
	v_dual_mov_b32 v50, 0 :: v_dual_add_nc_u32 v65, 0x840, v62
	;; [unrolled: 1-line block ×4, first 2 shown]
	v_add_nc_u32_e32 v68, 0x2100, v62
	v_dual_mov_b32 v54, 0 :: v_dual_add_nc_u32 v69, 0x2940, v62
	v_add_nc_u32_e32 v70, 0x3180, v62
	v_dual_mov_b32 v84, 0 :: v_dual_add_nc_u32 v71, 0x39c0, v62
	v_lshl_add_u32 v74, v51, 7, 0x5200
	v_add_nc_u32_e32 v75, 0x800, v64
	v_add_nc_u32_e32 v76, 0x1000, v64
	v_add_nc_u32_e32 v77, 0x1800, v64
	v_add_nc_u32_e32 v78, 0x2000, v64
	v_add_nc_u32_e32 v79, 0x2800, v64
	v_add_nc_u32_e32 v80, 0x3000, v64
	v_add_nc_u32_e32 v81, 0x3800, v64
	v_mbcnt_lo_u32_b32 v82, -1, 0
	v_mov_b32_e32 v86, 0xfeffffff
	s_ashr_i32 s27, s26, 31
	s_add_nc_u64 s[8:9], s[0:1], 0xd0
.LBB49_8:                               ; =>This Inner Loop Header: Depth=1
	s_ashr_i32 s29, s28, 31
	s_wait_alu 0xfffe
	s_mul_u64 s[30:31], s[28:29], s[4:5]
	s_wait_alu 0xfffe
	s_lshl_b64 s[30:31], s[30:31], 2
	s_wait_alu 0xfffe
	s_add_nc_u64 s[30:31], s[6:7], s[30:31]
	s_wait_alu 0xfffe
	v_add_co_u32 v4, vcc_lo, s30, v6
	s_wait_alu 0xfffd
	v_add_co_ci_u32_e64 v5, null, s31, v7, vcc_lo
	v_add_co_u32 v60, vcc_lo, s30, v8
	s_wait_alu 0xfffd
	v_add_co_ci_u32_e64 v61, null, s31, v9, vcc_lo
	v_add_co_u32 v4, vcc_lo, v4, v55
	s_wait_alu 0xfffd
	v_add_co_ci_u32_e64 v5, null, 0, v5, vcc_lo
	v_add_co_u32 v60, vcc_lo, v60, v55
	s_wait_alu 0xfffd
	v_add_co_ci_u32_e64 v61, null, 0, v61, vcc_lo
	s_clause 0x1
	global_load_b128 v[87:90], v[4:5], off
	global_load_b128 v[91:94], v[60:61], off
	v_add_co_u32 v4, vcc_lo, s30, v10
	s_wait_alu 0xfffd
	v_add_co_ci_u32_e64 v5, null, s31, v11, vcc_lo
	v_add_co_u32 v60, vcc_lo, s30, v12
	s_wait_alu 0xfffd
	v_add_co_ci_u32_e64 v61, null, s31, v13, vcc_lo
	;; [unrolled: 3-line block ×12, first 2 shown]
	s_clause 0x5
	global_load_b128 v[95:98], v[4:5], off
	global_load_b128 v[99:102], v[60:61], off
	;; [unrolled: 1-line block ×6, first 2 shown]
	v_dual_mov_b32 v5, 0 :: v_dual_mov_b32 v4, 0
	v_mov_b32_e32 v60, 0
	s_and_not1_b32 vcc_lo, exec_lo, s10
	s_wait_loadcnt 0x7
	ds_store_b128 v62, v[87:90]
	s_wait_loadcnt 0x6
	ds_store_b128 v65, v[91:94]
	;; [unrolled: 2-line block ×8, first 2 shown]
	s_wait_dscnt 0x0
	s_barrier_signal -1
	s_barrier_wait -1
	global_inv scope:SCOPE_SE
	ds_load_b128 v[87:90], v59
	ds_load_b128 v[91:94], v63
	ds_load_b128 v[95:98], v63 offset:512
	s_wait_dscnt 0x1
	;;#ASMSTART
	v_dot2_f32_f16 v5, v87, v91, v5
	;;#ASMEND
	;;#ASMSTART
	v_dot2_f32_f16 v5, v88, v92, v5
	;;#ASMEND
	;;#ASMSTART
	v_dot2_f32_f16 v5, v89, v93, v5
	;;#ASMEND
	;;#ASMSTART
	v_dot2_f32_f16 v5, v90, v94, v5
	;;#ASMEND
	s_wait_dscnt 0x0
	;;#ASMSTART
	v_dot2_f32_f16 v4, v87, v95, v4
	;;#ASMEND
	;;#ASMSTART
	v_dot2_f32_f16 v4, v88, v96, v4
	;;#ASMEND
	;;#ASMSTART
	v_dot2_f32_f16 v4, v89, v97, v4
	;;#ASMEND
	;;#ASMSTART
	v_dot2_f32_f16 v4, v90, v98, v4
	;;#ASMEND
	ds_load_b128 v[87:90], v59 offset:16
	ds_load_b128 v[91:94], v63 offset:16
	ds_load_b128 v[95:98], v63 offset:528
	s_wait_dscnt 0x1
	;;#ASMSTART
	v_dot2_f32_f16 v5, v87, v91, v5
	;;#ASMEND
	;;#ASMSTART
	v_dot2_f32_f16 v5, v88, v92, v5
	;;#ASMEND
	;;#ASMSTART
	v_dot2_f32_f16 v5, v89, v93, v5
	;;#ASMEND
	;;#ASMSTART
	v_dot2_f32_f16 v5, v90, v94, v5
	;;#ASMEND
	s_wait_dscnt 0x0
	;;#ASMSTART
	v_dot2_f32_f16 v4, v87, v95, v4
	;;#ASMEND
	;;#ASMSTART
	v_dot2_f32_f16 v4, v88, v96, v4
	;;#ASMEND
	;;#ASMSTART
	v_dot2_f32_f16 v4, v89, v97, v4
	;;#ASMEND
	;;#ASMSTART
	v_dot2_f32_f16 v4, v90, v98, v4
	;;#ASMEND
	ds_load_b128 v[87:90], v59 offset:32
	ds_load_b128 v[91:94], v63 offset:32
	;; [unrolled: 29-line block ×31, first 2 shown]
	ds_load_b128 v[97:100], v63 offset:1008
	s_wait_dscnt 0x1
	;;#ASMSTART
	v_dot2_f32_f16 v5, v87, v93, v5
	;;#ASMEND
	v_add_nc_u32_e32 v92, s28, v43
	;;#ASMSTART
	v_dot2_f32_f16 v5, v88, v94, v5
	;;#ASMEND
	;;#ASMSTART
	v_dot2_f32_f16 v5, v89, v95, v5
	;;#ASMEND
	;; [unrolled: 3-line block ×3, first 2 shown]
	s_wait_dscnt 0x0
	;;#ASMSTART
	v_dot2_f32_f16 v4, v87, v97, v4
	;;#ASMEND
	;;#ASMSTART
	v_dot2_f32_f16 v4, v88, v98, v4
	;;#ASMEND
	;; [unrolled: 3-line block ×4, first 2 shown]
	s_wait_alu 0xfffe
	s_cbranch_vccnz .LBB49_10
; %bb.9:                                ;   in Loop: Header=BB49_8 Depth=1
	v_add_nc_u32_e32 v60, v92, v72
	s_delay_alu instid0(VALU_DEP_1) | instskip(NEXT) | instid1(VALU_DEP_1)
	v_ashrrev_i32_e32 v61, 31, v60
	v_lshlrev_b64_e32 v[60:61], 1, v[60:61]
	s_delay_alu instid0(VALU_DEP_1) | instskip(SKIP_1) | instid1(VALU_DEP_2)
	v_add_co_u32 v60, vcc_lo, s38, v60
	s_wait_alu 0xfffd
	v_add_co_ci_u32_e64 v61, null, s39, v61, vcc_lo
	global_load_u16 v60, v[60:61], off
	s_wait_loadcnt 0x0
	v_cvt_f32_f16_e32 v60, v60
	s_delay_alu instid0(VALU_DEP_1)
	v_mul_f32_e32 v60, v56, v60
.LBB49_10:                              ;   in Loop: Header=BB49_8 Depth=1
	v_xor_b32_e32 v61, 16, v82
	v_xor_b32_e32 v88, 8, v82
	s_delay_alu instid0(VALU_DEP_2) | instskip(SKIP_4) | instid1(VALU_DEP_3)
	v_cmp_gt_i32_e32 vcc_lo, 32, v61
	s_wait_alu 0xfffd
	v_dual_add_f32 v5, v5, v60 :: v_dual_cndmask_b32 v60, v82, v61
	v_max_num_f32_e32 v87, v85, v85
	v_cmp_gt_i32_e32 vcc_lo, 32, v88
	v_dual_add_f32 v61, 0x40051340, v5 :: v_dual_lshlrev_b32 v60, 2, v60
	s_wait_alu 0xfffd
	s_delay_alu instid0(VALU_DEP_1) | instskip(SKIP_3) | instid1(VALU_DEP_1)
	v_dual_cndmask_b32 v88, v82, v88 :: v_dual_max_num_f32 v87, v87, v61
	ds_bpermute_b32 v61, v60, v87
	s_wait_dscnt 0x0
	v_max_num_f32_e32 v89, v61, v61
	v_dual_max_num_f32 v88, v87, v89 :: v_dual_lshlrev_b32 v61, 2, v88
	v_xor_b32_e32 v89, 4, v82
	ds_bpermute_b32 v87, v61, v88
	v_cmp_gt_i32_e32 vcc_lo, 32, v89
	s_wait_dscnt 0x0
	s_wait_alu 0xfffd
	v_dual_cndmask_b32 v89, v82, v89 :: v_dual_max_num_f32 v90, v87, v87
	s_delay_alu instid0(VALU_DEP_1) | instskip(NEXT) | instid1(VALU_DEP_2)
	v_lshlrev_b32_e32 v87, 2, v89
	v_max_num_f32_e32 v89, v88, v90
	v_xor_b32_e32 v90, 2, v82
	ds_bpermute_b32 v88, v87, v89
	v_cmp_gt_i32_e32 vcc_lo, 32, v90
	s_wait_dscnt 0x0
	s_wait_alu 0xfffd
	v_dual_cndmask_b32 v90, v82, v90 :: v_dual_max_num_f32 v91, v88, v88
	s_delay_alu instid0(VALU_DEP_1)
	v_dual_max_num_f32 v89, v89, v91 :: v_dual_lshlrev_b32 v88, 2, v90
	v_xor_b32_e32 v91, 1, v82
	ds_bpermute_b32 v90, v88, v89
	v_cmp_gt_i32_e32 vcc_lo, 32, v91
	s_wait_alu 0xfffd
	v_cndmask_b32_e32 v91, v82, v91, vcc_lo
	s_and_not1_b32 vcc_lo, exec_lo, s10
	s_wait_dscnt 0x0
	s_delay_alu instid0(VALU_DEP_1) | instskip(NEXT) | instid1(VALU_DEP_1)
	v_dual_max_num_f32 v93, v90, v90 :: v_dual_lshlrev_b32 v90, 2, v91
	v_max_num_f32_e32 v89, v89, v93
	ds_bpermute_b32 v91, v90, v89
	s_wait_alu 0xfffe
	s_cbranch_vccnz .LBB49_12
; %bb.11:                               ;   in Loop: Header=BB49_8 Depth=1
	v_add_nc_u32_e32 v92, v92, v73
	s_delay_alu instid0(VALU_DEP_1) | instskip(NEXT) | instid1(VALU_DEP_1)
	v_ashrrev_i32_e32 v93, 31, v92
	v_lshlrev_b64_e32 v[92:93], 1, v[92:93]
	s_delay_alu instid0(VALU_DEP_1) | instskip(SKIP_1) | instid1(VALU_DEP_2)
	v_add_co_u32 v92, vcc_lo, s38, v92
	s_wait_alu 0xfffd
	v_add_co_ci_u32_e64 v93, null, s39, v93, vcc_lo
	global_load_u16 v92, v[92:93], off
	s_wait_loadcnt 0x0
	v_cvt_f32_f16_e32 v92, v92
	s_delay_alu instid0(VALU_DEP_1)
	v_mul_f32_e32 v92, v56, v92
	s_branch .LBB49_13
.LBB49_12:                              ;   in Loop: Header=BB49_8 Depth=1
	v_mov_b32_e32 v92, 0
.LBB49_13:                              ;   in Loop: Header=BB49_8 Depth=1
	s_mul_u64 s[30:31], s[28:29], s[26:27]
	s_wait_loadcnt_dscnt 0x0
	s_wait_alu 0xfffe
	s_lshl_b64 s[30:31], s[30:31], 2
	s_barrier_signal -1
	s_wait_alu 0xfffe
	s_add_nc_u64 s[30:31], s[24:25], s[30:31]
	s_barrier_wait -1
	s_wait_alu 0xfffe
	v_add_co_u32 v93, vcc_lo, s30, v22
	s_wait_alu 0xfffd
	v_add_co_ci_u32_e64 v94, null, s31, v23, vcc_lo
	v_add_co_u32 v95, vcc_lo, s30, v24
	s_wait_alu 0xfffd
	v_add_co_ci_u32_e64 v96, null, s31, v25, vcc_lo
	;; [unrolled: 3-line block ×16, first 2 shown]
	global_inv scope:SCOPE_SE
	s_clause 0x7
	global_load_b128 v[93:96], v[93:94], off
	global_load_b128 v[97:100], v[97:98], off
	;; [unrolled: 1-line block ×8, first 2 shown]
	v_add_f32_e32 v92, v4, v92
	v_max_num_f32_e32 v4, v86, v86
	v_add_nc_u32_e32 v200, 0x2800, v45
	v_add_nc_u32_e32 v127, 0x800, v45
	;; [unrolled: 1-line block ×3, first 2 shown]
	v_add_f32_e32 v125, 0x40051340, v92
	v_add_nc_u32_e32 v159, 0x1800, v45
	v_add_nc_u32_e32 v175, 0x2000, v45
	s_delay_alu instid0(VALU_DEP_3) | instskip(SKIP_3) | instid1(VALU_DEP_1)
	v_max_num_f32_e32 v4, v4, v125
	ds_bpermute_b32 v60, v60, v4
	s_wait_dscnt 0x0
	v_max_num_f32_e32 v60, v60, v60
	v_max_num_f32_e32 v4, v4, v60
	ds_bpermute_b32 v60, v61, v4
	s_wait_dscnt 0x0
	v_max_num_f32_e32 v60, v60, v60
	s_delay_alu instid0(VALU_DEP_1) | instskip(SKIP_4) | instid1(VALU_DEP_1)
	v_max_num_f32_e32 v4, v4, v60
	ds_bpermute_b32 v60, v87, v4
	v_max_num_f32_e32 v87, v89, v89
	s_wait_dscnt 0x0
	v_dual_max_num_f32 v60, v60, v60 :: v_dual_add_nc_u32 v89, v74, v41
	v_max_num_f32_e32 v4, v4, v60
	ds_bpermute_b32 v60, v88, v4
	s_wait_dscnt 0x0
	v_max_num_f32_e32 v60, v60, v60
	s_delay_alu instid0(VALU_DEP_1) | instskip(SKIP_3) | instid1(VALU_DEP_1)
	v_max_num_f32_e32 v60, v4, v60
	v_max_num_f32_e32 v4, v91, v91
	ds_bpermute_b32 v61, v90, v60
	v_max_num_f32_e32 v4, v87, v4
	v_sub_f32_e32 v87, v5, v4
	s_wait_dscnt 0x0
	v_max_num_f32_e32 v5, v61, v61
	s_delay_alu instid0(VALU_DEP_1) | instskip(NEXT) | instid1(VALU_DEP_1)
	v_max_num_f32_e32 v5, v60, v5
	v_dual_sub_f32 v85, v85, v4 :: v_dual_sub_f32 v86, v86, v5
	s_delay_alu instid0(VALU_DEP_1) | instskip(SKIP_2) | instid1(VALU_DEP_3)
	v_mul_f32_e32 v88, 0x3fb8aa3b, v85
	v_dual_sub_f32 v92, v92, v5 :: v_dual_mul_f32 v61, 0x3fb8aa3b, v87
	v_cmp_ngt_f32_e32 vcc_lo, 0xc2ce8ed0, v85
	v_fma_f32 v90, 0x3fb8aa3b, v85, -v88
	v_rndne_f32_e32 v60, v88
	s_delay_alu instid0(VALU_DEP_4) | instskip(SKIP_2) | instid1(VALU_DEP_4)
	v_mul_f32_e32 v128, 0x3fb8aa3b, v92
	v_fma_f32 v91, 0x3fb8aa3b, v87, -v61
	v_rndne_f32_e32 v125, v61
	v_sub_f32_e32 v88, v88, v60
	s_delay_alu instid0(VALU_DEP_4) | instskip(SKIP_4) | instid1(VALU_DEP_4)
	v_fma_f32 v129, 0x3fb8aa3b, v92, -v128
	v_fmac_f32_e32 v90, 0x32a5705f, v85
	v_cvt_i32_f32_e32 v60, v60
	v_fmac_f32_e32 v91, 0x32a5705f, v87
	v_sub_f32_e32 v61, v61, v125
	v_dual_fmac_f32 v129, 0x32a5705f, v92 :: v_dual_add_f32 v88, v88, v90
	v_rndne_f32_e32 v130, v128
	s_delay_alu instid0(VALU_DEP_3) | instskip(NEXT) | instid1(VALU_DEP_3)
	v_add_f32_e32 v61, v61, v91
	v_exp_f32_e32 v88, v88
	s_delay_alu instid0(VALU_DEP_2) | instskip(NEXT) | instid1(VALU_DEP_2)
	v_sub_f32_e32 v128, v128, v130
	v_exp_f32_e32 v61, v61
	s_delay_alu instid0(TRANS32_DEP_2) | instskip(SKIP_1) | instid1(VALU_DEP_1)
	v_ldexp_f32 v60, v88, v60
	s_wait_alu 0xfffd
	v_cndmask_b32_e32 v60, 0, v60, vcc_lo
	v_cmp_nlt_f32_e32 vcc_lo, 0x42b17218, v85
	s_wait_alu 0xfffd
	s_delay_alu instid0(VALU_DEP_2) | instskip(SKIP_2) | instid1(VALU_DEP_2)
	v_cndmask_b32_e32 v85, 0x7f800000, v60, vcc_lo
	v_mul_f32_e32 v126, 0x3fb8aa3b, v86
	v_cmp_ngt_f32_e32 vcc_lo, 0xc2ce8ed0, v87
	v_fma_f32 v90, 0x3fb8aa3b, v86, -v126
	v_rndne_f32_e32 v91, v126
	s_delay_alu instid0(VALU_DEP_2) | instskip(NEXT) | instid1(VALU_DEP_2)
	v_fmac_f32_e32 v90, 0x32a5705f, v86
	v_sub_f32_e32 v126, v126, v91
	v_cvt_i32_f32_e32 v91, v91
	s_delay_alu instid0(VALU_DEP_2) | instskip(SKIP_1) | instid1(VALU_DEP_2)
	v_add_f32_e32 v90, v126, v90
	v_add_f32_e32 v126, v128, v129
	v_exp_f32_e32 v88, v90
	v_cvt_i32_f32_e32 v90, v125
	s_delay_alu instid0(VALU_DEP_2) | instskip(NEXT) | instid1(VALU_DEP_1)
	v_exp_f32_e32 v125, v126
	v_ldexp_f32 v61, v61, v90
	v_cvt_i32_f32_e32 v90, v130
	s_delay_alu instid0(TRANS32_DEP_2) | instskip(SKIP_1) | instid1(VALU_DEP_3)
	v_ldexp_f32 v60, v88, v91
	s_wait_alu 0xfffd
	v_cndmask_b32_e32 v61, 0, v61, vcc_lo
	v_cmp_ngt_f32_e32 vcc_lo, 0xc2ce8ed0, v86
	s_delay_alu instid0(TRANS32_DEP_1)
	v_ldexp_f32 v88, v125, v90
	v_cvt_f16_f32_e32 v90, v85
	s_wait_alu 0xfffd
	v_cndmask_b32_e32 v60, 0, v60, vcc_lo
	v_cmp_ngt_f32_e32 vcc_lo, 0xc2ce8ed0, v92
	s_wait_alu 0xfffd
	v_cndmask_b32_e32 v88, 0, v88, vcc_lo
	v_cmp_nlt_f32_e32 vcc_lo, 0x42b17218, v86
	s_wait_alu 0xfffd
	v_cndmask_b32_e32 v86, 0x7f800000, v60, vcc_lo
	v_cmp_nlt_f32_e32 vcc_lo, 0x42b17218, v87
	v_and_b32_e32 v87, 0xffff, v90
	s_wait_alu 0xfffd
	v_cndmask_b32_e32 v61, 0x7f800000, v61, vcc_lo
	v_cmp_nlt_f32_e32 vcc_lo, 0x42b17218, v92
	s_delay_alu instid0(VALU_DEP_3) | instskip(NEXT) | instid1(VALU_DEP_3)
	v_mul_u32_u24_e32 v199, 0x10001, v87
	v_cvt_f16_f32_e32 v90, v61
	s_wait_alu 0xfffd
	v_cndmask_b32_e32 v60, 0x7f800000, v88, vcc_lo
	v_cvt_f16_f32_e32 v88, v86
	v_fmac_f32_e32 v61, v83, v85
	v_pk_mul_f16 v54, v54, v199
	v_pk_mul_f16 v52, v52, v199
	v_cvt_f16_f32_e32 v87, v60
	v_and_b32_e32 v88, 0xffff, v88
	v_fmac_f32_e32 v60, v84, v86
	v_pk_mul_f16 v53, v53, v199
	s_delay_alu instid0(VALU_DEP_4) | instskip(NEXT) | instid1(VALU_DEP_4)
	v_pack_b32_f16 v83, v90, v87
	v_mul_u32_u24_e32 v201, 0x10001, v88
	ds_store_b32 v89, v83
	v_pk_mul_f16 v49, v49, v201
	v_pk_mul_f16 v50, v50, v201
	s_wait_loadcnt 0x7
	ds_store_b128 v64, v[93:96]
	s_wait_loadcnt 0x6
	ds_store_b128 v75, v[97:100]
	;; [unrolled: 2-line block ×8, first 2 shown]
	s_wait_dscnt 0x0
	s_barrier_signal -1
	s_barrier_wait -1
	global_inv scope:SCOPE_SE
	ds_load_2addr_b64 v[83:86], v45 offset1:32
	ds_load_b128 v[87:90], v74
	ds_load_b128 v[91:94], v74 offset:16
	ds_load_b128 v[95:98], v74 offset:32
	;; [unrolled: 1-line block ×3, first 2 shown]
	ds_load_2addr_b64 v[103:106], v45 offset0:64 offset1:96
	ds_load_2addr_b64 v[107:110], v45 offset0:128 offset1:160
	ds_load_2addr_b64 v[111:114], v45 offset0:192 offset1:224
	ds_load_2addr_b64 v[115:118], v127 offset1:32
	ds_load_2addr_b64 v[119:122], v127 offset0:64 offset1:96
	ds_load_2addr_b64 v[123:126], v127 offset0:128 offset1:160
	ds_load_2addr_b64 v[127:130], v127 offset0:192 offset1:224
	ds_load_2addr_b64 v[131:134], v143 offset1:32
	;; [unrolled: 4-line block ×5, first 2 shown]
	ds_load_b128 v[183:186], v74 offset:64
	ds_load_b128 v[187:190], v74 offset:80
	ds_load_2addr_b64 v[191:194], v200 offset0:64 offset1:96
	ds_load_2addr_b64 v[195:198], v200 offset0:128 offset1:160
	s_wait_dscnt 0x1b
	v_lshrrev_b32_e32 v202, 16, v87
	v_and_b32_e32 v87, 0xffff, v87
	v_lshrrev_b32_e32 v203, 16, v88
	v_and_b32_e32 v88, 0xffff, v88
	v_lshrrev_b32_e32 v204, 16, v89
	v_mul_u32_u24_e32 v202, 0x10001, v202
	v_mul_u32_u24_e32 v87, 0x10001, v87
	v_and_b32_e32 v89, 0xffff, v89
	v_mul_u32_u24_e32 v88, 0x10001, v88
	v_pk_mul_f16 v48, v48, v201
	v_lshrrev_b32_e32 v205, 16, v90
	v_pk_mul_f16 v224, v83, v87
	v_pk_mul_f16 v83, v83, v202
	v_pk_fma_f16 v54, v84, v87, v54
	v_pk_fma_f16 v52, v85, v87, v52
	;; [unrolled: 1-line block ×4, first 2 shown]
	v_and_b32_e32 v90, 0xffff, v90
	v_mul_u32_u24_e32 v203, 0x10001, v203
	v_mul_u32_u24_e32 v89, 0x10001, v89
	v_pk_fma_f16 v49, v85, v202, v49
	v_pk_fma_f16 v46, v46, v201, v83
	s_wait_dscnt 0x17
	v_pk_fma_f16 v54, v104, v88, v54
	v_pk_fma_f16 v52, v105, v88, v52
	v_pk_fma_f16 v53, v106, v88, v53
	v_pk_fma_f16 v47, v103, v88, v47
	v_lshrrev_b32_e32 v206, 16, v91
	v_and_b32_e32 v91, 0xffff, v91
	v_mul_u32_u24_e32 v204, 0x10001, v204
	v_mul_u32_u24_e32 v90, 0x10001, v90
	v_pk_fma_f16 v50, v84, v202, v50
	v_pk_fma_f16 v48, v86, v202, v48
	v_pk_fma_f16 v49, v105, v203, v49
	v_pk_fma_f16 v46, v103, v203, v46
	s_wait_dscnt 0x16
	v_pk_fma_f16 v54, v108, v89, v54
	v_pk_fma_f16 v52, v109, v89, v52
	v_pk_fma_f16 v53, v110, v89, v53
	v_pk_fma_f16 v47, v107, v89, v47
	v_lshrrev_b32_e32 v207, 16, v92
	v_and_b32_e32 v92, 0xffff, v92
	v_mul_u32_u24_e32 v205, 0x10001, v205
	v_mul_u32_u24_e32 v91, 0x10001, v91
	v_pk_fma_f16 v50, v104, v203, v50
	v_pk_fma_f16 v48, v106, v203, v48
	;; [unrolled: 13-line block ×12, first 2 shown]
	v_pk_fma_f16 v49, v149, v214, v49
	v_pk_fma_f16 v46, v147, v214, v46
	s_wait_dscnt 0xb
	v_pk_fma_f16 v54, v152, v100, v54
	v_pk_fma_f16 v52, v153, v100, v52
	;; [unrolled: 1-line block ×4, first 2 shown]
	s_wait_dscnt 0x3
	v_lshrrev_b32_e32 v218, 16, v183
	v_and_b32_e32 v183, 0xffff, v183
	v_mul_u32_u24_e32 v216, 0x10001, v216
	v_mul_u32_u24_e32 v102, 0x10001, v102
	v_pk_fma_f16 v50, v148, v214, v50
	v_pk_fma_f16 v48, v150, v214, v48
	v_pk_fma_f16 v49, v153, v215, v49
	v_pk_fma_f16 v46, v151, v215, v46
	v_pk_fma_f16 v54, v156, v101, v54
	v_pk_fma_f16 v52, v157, v101, v52
	v_pk_fma_f16 v53, v158, v101, v53
	v_pk_fma_f16 v47, v155, v101, v47
	v_lshrrev_b32_e32 v219, 16, v184
	v_and_b32_e32 v184, 0xffff, v184
	v_mul_u32_u24_e32 v217, 0x10001, v217
	v_mul_u32_u24_e32 v183, 0x10001, v183
	v_pk_fma_f16 v50, v152, v215, v50
	v_pk_fma_f16 v48, v154, v215, v48
	v_pk_fma_f16 v49, v157, v216, v49
	v_pk_fma_f16 v46, v155, v216, v46
	v_pk_fma_f16 v54, v160, v102, v54
	v_pk_fma_f16 v52, v161, v102, v52
	v_pk_fma_f16 v53, v162, v102, v53
	v_pk_fma_f16 v47, v159, v102, v47
	;; [unrolled: 12-line block ×4, first 2 shown]
	s_wait_dscnt 0x2
	v_lshrrev_b32_e32 v222, 16, v187
	v_and_b32_e32 v187, 0xffff, v187
	v_mul_u32_u24_e32 v220, 0x10001, v220
	v_mul_u32_u24_e32 v186, 0x10001, v186
	v_pk_fma_f16 v50, v164, v218, v50
	v_pk_fma_f16 v48, v166, v218, v48
	;; [unrolled: 1-line block ×8, first 2 shown]
	v_lshrrev_b32_e32 v223, 16, v188
	v_and_b32_e32 v188, 0xffff, v188
	v_mul_u32_u24_e32 v221, 0x10001, v221
	v_mul_u32_u24_e32 v187, 0x10001, v187
	v_pk_fma_f16 v50, v168, v219, v50
	v_pk_fma_f16 v48, v170, v219, v48
	;; [unrolled: 1-line block ×8, first 2 shown]
	v_mul_u32_u24_e32 v222, 0x10001, v222
	v_pk_fma_f16 v50, v172, v220, v50
	v_pk_fma_f16 v48, v174, v220, v48
	;; [unrolled: 1-line block ×7, first 2 shown]
	v_mul_u32_u24_e32 v83, 0x10001, v188
	v_pk_fma_f16 v53, v182, v187, v53
	v_and_b32_e32 v84, 0xffff, v189
	v_lshrrev_b32_e32 v85, 16, v189
	v_pk_fma_f16 v50, v176, v221, v50
	v_pk_fma_f16 v48, v178, v221, v48
	;; [unrolled: 1-line block ×3, first 2 shown]
	v_mul_u32_u24_e32 v87, 0x10001, v223
	v_pk_fma_f16 v49, v181, v222, v49
	s_wait_dscnt 0x1
	v_pk_fma_f16 v89, v191, v83, v47
	v_pk_fma_f16 v54, v192, v83, v54
	;; [unrolled: 1-line block ×3, first 2 shown]
	v_mul_u32_u24_e32 v92, 0x10001, v84
	v_mul_u32_u24_e32 v93, 0x10001, v85
	v_pk_fma_f16 v53, v194, v83, v53
	ds_load_b128 v[83:86], v74 offset:96
	v_pk_fma_f16 v50, v180, v222, v50
	v_pk_fma_f16 v88, v182, v222, v48
	;; [unrolled: 1-line block ×4, first 2 shown]
	ds_load_2addr_b64 v[46:49], v200 offset0:192 offset1:224
	v_add_nc_u32_e32 v99, 0x3000, v45
	v_pk_fma_f16 v50, v192, v87, v50
	v_pk_fma_f16 v94, v194, v87, v88
	s_wait_dscnt 0x2
	v_pk_fma_f16 v95, v195, v92, v89
	v_pk_fma_f16 v96, v195, v93, v90
	ds_load_2addr_b64 v[87:90], v99 offset1:32
	v_and_b32_e32 v97, 0xffff, v190
	v_lshrrev_b32_e32 v98, 16, v190
	v_pk_fma_f16 v54, v196, v92, v54
	v_pk_fma_f16 v50, v196, v93, v50
	;; [unrolled: 1-line block ×3, first 2 shown]
	v_mul_u32_u24_e32 v100, 0x10001, v97
	v_mul_u32_u24_e32 v101, 0x10001, v98
	v_pk_fma_f16 v102, v197, v93, v91
	v_pk_fma_f16 v53, v198, v92, v53
	;; [unrolled: 1-line block ×3, first 2 shown]
	ds_load_b128 v[91:94], v74 offset:112
	s_wait_dscnt 0x3
	v_and_b32_e32 v105, 0xffff, v83
	v_lshrrev_b32_e32 v83, 16, v83
	s_wait_dscnt 0x2
	v_pk_fma_f16 v104, v46, v100, v95
	v_pk_fma_f16 v46, v46, v101, v96
	v_pk_fma_f16 v54, v47, v100, v54
	v_pk_fma_f16 v47, v47, v101, v50
	ds_load_2addr_b64 v[95:98], v99 offset0:64 offset1:96
	v_pk_fma_f16 v50, v48, v100, v52
	v_mul_u32_u24_e32 v52, 0x10001, v105
	v_mul_u32_u24_e32 v83, 0x10001, v83
	v_pk_fma_f16 v102, v48, v101, v102
	v_pk_fma_f16 v53, v49, v100, v53
	;; [unrolled: 1-line block ×3, first 2 shown]
	s_wait_dscnt 0x2
	v_pk_fma_f16 v101, v87, v52, v104
	v_pk_fma_f16 v87, v87, v83, v46
	v_pk_fma_f16 v54, v88, v52, v54
	v_pk_fma_f16 v88, v88, v83, v47
	ds_load_2addr_b64 v[46:49], v99 offset0:128 offset1:160
	v_and_b32_e32 v103, 0xffff, v84
	v_lshrrev_b32_e32 v84, 16, v84
	v_pk_fma_f16 v50, v89, v52, v50
	v_pk_fma_f16 v52, v90, v52, v53
	;; [unrolled: 1-line block ×3, first 2 shown]
	v_mul_u32_u24_e32 v103, 0x10001, v103
	v_mul_u32_u24_e32 v84, 0x10001, v84
	v_and_b32_e32 v100, 0xffff, v85
	v_lshrrev_b32_e32 v85, 16, v85
	v_pk_fma_f16 v102, v89, v83, v102
	s_wait_dscnt 0x1
	v_pk_fma_f16 v83, v95, v103, v101
	v_pk_fma_f16 v95, v95, v84, v87
	v_pk_fma_f16 v54, v96, v103, v54
	v_pk_fma_f16 v96, v96, v84, v88
	ds_load_2addr_b64 v[87:90], v99 offset0:192 offset1:224
	v_mul_u32_u24_e32 v99, 0x10001, v100
	v_mul_u32_u24_e32 v100, 0x10001, v85
	v_pk_fma_f16 v52, v98, v103, v52
	v_pk_fma_f16 v53, v98, v84, v53
	;; [unrolled: 1-line block ×3, first 2 shown]
	s_wait_dscnt 0x1
	v_pk_fma_f16 v98, v46, v99, v83
	v_pk_fma_f16 v46, v46, v100, v95
	v_add_nc_u32_e32 v95, 0x3800, v45
	v_pk_fma_f16 v97, v97, v84, v102
	v_and_b32_e32 v101, 0xffff, v86
	v_lshrrev_b32_e32 v102, 16, v86
	v_pk_fma_f16 v54, v47, v99, v54
	ds_load_2addr_b64 v[83:86], v95 offset1:32
	v_pk_fma_f16 v47, v47, v100, v96
	v_mul_u32_u24_e32 v96, 0x10001, v101
	v_mul_u32_u24_e32 v101, 0x10001, v102
	v_pk_fma_f16 v50, v48, v99, v50
	v_pk_fma_f16 v52, v49, v99, v52
	v_and_b32_e32 v99, 0xffff, v91
	v_lshrrev_b32_e32 v91, 16, v91
	v_pk_fma_f16 v97, v48, v100, v97
	v_pk_fma_f16 v53, v49, v100, v53
	s_wait_dscnt 0x1
	v_pk_fma_f16 v98, v87, v96, v98
	v_pk_fma_f16 v87, v87, v101, v46
	;; [unrolled: 1-line block ×4, first 2 shown]
	ds_load_2addr_b64 v[46:49], v95 offset0:64 offset1:96
	v_mul_u32_u24_e32 v99, 0x10001, v99
	v_mul_u32_u24_e32 v91, 0x10001, v91
	v_pk_fma_f16 v50, v89, v96, v50
	v_pk_fma_f16 v89, v89, v101, v97
	;; [unrolled: 1-line block ×4, first 2 shown]
	s_wait_dscnt 0x1
	v_pk_fma_f16 v96, v83, v99, v98
	v_pk_fma_f16 v83, v83, v91, v87
	v_and_b32_e32 v87, 0xffff, v92
	v_lshrrev_b32_e32 v90, 16, v92
	v_pk_fma_f16 v54, v84, v99, v54
	v_pk_fma_f16 v84, v84, v91, v88
	;; [unrolled: 1-line block ×4, first 2 shown]
	v_mul_u32_u24_e32 v92, 0x10001, v87
	v_mul_u32_u24_e32 v97, 0x10001, v90
	ds_load_2addr_b64 v[87:90], v95 offset0:128 offset1:160
	v_pk_fma_f16 v52, v86, v99, v52
	v_pk_fma_f16 v53, v86, v91, v53
	s_wait_dscnt 0x1
	v_pk_fma_f16 v91, v46, v92, v96
	v_pk_fma_f16 v46, v46, v97, v83
	;; [unrolled: 1-line block ×6, first 2 shown]
	ds_load_2addr_b64 v[83:86], v95 offset0:192 offset1:224
	s_wait_loadcnt_dscnt 0x0
	s_barrier_signal -1
	s_barrier_wait -1
	global_inv scope:SCOPE_SE
	s_load_b32 s11, s[8:9], 0x4
	v_and_b32_e32 v96, 0xffff, v93
	v_lshrrev_b32_e32 v93, 16, v93
	v_pk_fma_f16 v52, v49, v92, v52
	v_pk_fma_f16 v49, v49, v97, v53
	s_delay_alu instid0(VALU_DEP_4) | instskip(NEXT) | instid1(VALU_DEP_4)
	v_mul_u32_u24_e32 v53, 0x10001, v96
	v_mul_u32_u24_e32 v92, 0x10001, v93
	v_lshrrev_b32_e32 v93, 16, v94
	s_delay_alu instid0(VALU_DEP_3) | instskip(NEXT) | instid1(VALU_DEP_3)
	v_pk_fma_f16 v91, v87, v53, v91
	v_pk_fma_f16 v46, v87, v92, v46
	v_and_b32_e32 v87, 0xffff, v94
	v_pk_fma_f16 v54, v88, v53, v54
	v_pk_fma_f16 v88, v88, v92, v47
	;; [unrolled: 1-line block ×3, first 2 shown]
	v_mul_u32_u24_e32 v93, 0x10001, v93
	v_mul_u32_u24_e32 v87, 0x10001, v87
	v_pk_fma_f16 v48, v89, v92, v48
	v_pk_fma_f16 v53, v90, v53, v52
	;; [unrolled: 1-line block ×3, first 2 shown]
	s_wait_kmcnt 0x0
	s_lshl_b32 s11, s11, 5
	v_pk_fma_f16 v47, v83, v87, v91
	v_pk_fma_f16 v46, v83, v93, v46
	;; [unrolled: 1-line block ×8, first 2 shown]
	s_wait_alu 0xfffe
	s_add_co_i32 s28, s11, s28
	s_wait_alu 0xfffe
	s_cmp_lt_i32 s28, s3
	s_cbranch_scc0 .LBB49_16
; %bb.14:                               ;   in Loop: Header=BB49_8 Depth=1
	v_dual_mov_b32 v85, v4 :: v_dual_mov_b32 v86, v5
	v_dual_mov_b32 v83, v61 :: v_dual_mov_b32 v84, v60
	s_branch .LBB49_8
.LBB49_15:
	v_dual_mov_b32 v4, 0xfeffffff :: v_dual_mov_b32 v47, 0
	v_dual_mov_b32 v61, 0 :: v_dual_mov_b32 v54, 0
	s_delay_alu instid0(VALU_DEP_2)
	v_dual_mov_b32 v52, 0 :: v_dual_mov_b32 v5, v4
	v_dual_mov_b32 v53, 0 :: v_dual_mov_b32 v46, 0
	;; [unrolled: 1-line block ×3, first 2 shown]
	v_mov_b32_e32 v48, 0
.LBB49_16:
	s_cmp_gt_i32 s2, s28
	s_cbranch_scc1 .LBB49_19
; %bb.17:
	v_mbcnt_lo_u32_b32 v6, -1, 0
	v_mov_b32_e32 v18, 32
	s_delay_alu instid0(VALU_DEP_2)
	v_xor_b32_e32 v15, 16, v6
	v_xor_b32_e32 v14, 8, v6
	;; [unrolled: 1-line block ×5, first 2 shown]
	s_cbranch_execz .LBB49_20
; %bb.18:
	v_mov_b32_e32 v44, v6
	s_branch .LBB49_30
.LBB49_19:
                                        ; implicit-def: $vgpr6
                                        ; implicit-def: $vgpr18
                                        ; implicit-def: $vgpr15
                                        ; implicit-def: $vgpr14
                                        ; implicit-def: $vgpr16
                                        ; implicit-def: $vgpr17
                                        ; implicit-def: $vgpr19
.LBB49_20:
	s_ashr_i32 s29, s28, 31
	s_ashr_i32 s5, s4, 31
	v_lshlrev_b64_e32 v[6:7], 2, v[2:3]
	s_wait_alu 0xfffe
	s_mul_u64 s[8:9], s[28:29], s[4:5]
	s_mov_b64 s[10:11], src_private_base
	s_wait_alu 0xfffe
	s_lshl_b64 s[8:9], s[8:9], 2
	s_sub_co_i32 s37, s2, s28
	s_wait_alu 0xfffe
	s_add_nc_u64 s[30:31], s[6:7], s[8:9]
	s_mov_b32 s8, 0
	s_wait_alu 0xfffe
	v_add_co_u32 v3, vcc_lo, s30, v6
	s_wait_alu 0xfffd
	v_add_co_ci_u32_e64 v6, null, s31, v7, vcc_lo
	s_mov_b32 s10, s8
	v_add_co_u32 v3, vcc_lo, v3, v55
	s_mov_b32 s9, s8
	s_wait_alu 0xfffe
	v_mov_b32_e32 v20, s10
	s_wait_alu 0xfffd
	v_add_co_ci_u32_e64 v7, null, 0, v6, vcc_lo
	v_dual_mov_b32 v6, 0 :: v_dual_mov_b32 v19, s9
	v_mov_b32_e32 v18, s8
	s_lshl_b32 s9, s4, 2
	v_cmp_gt_i32_e64 s2, s37, v51
	s_wait_alu 0xfffe
	v_add_nc_u32_e32 v2, s9, v2
	v_mad_u32_u24 v23, 0x210, v51, v55
	s_cmp_lg_u64 s[38:39], 0
	v_cmp_gt_i32_e64 s10, s37, v43
	v_cndmask_b32_e64 v8, s11, v7, s2
	v_cndmask_b32_e64 v7, 0, v3, s2
	v_ashrrev_i32_e32 v3, 31, v2
	s_cselect_b32 s27, -1, 0
	s_delay_alu instid0(VALU_DEP_1)
	v_lshlrev_b64_e32 v[11:12], 2, v[2:3]
	v_add_nc_u32_e32 v3, 4, v51
	s_clause 0x1
	scratch_store_b32 off, v6, off
	scratch_store_b96 off, v[18:20], off offset:4
	flat_load_b128 v[7:10], v[7:8]
	s_clause 0x1
	scratch_store_b32 off, v6, off
	scratch_store_b96 off, v[18:20], off offset:4
	v_add_co_u32 v11, vcc_lo, s30, v11
	s_wait_alu 0xfffd
	v_add_co_ci_u32_e64 v12, null, s31, v12, vcc_lo
	v_cmp_gt_i32_e64 s3, s37, v3
	s_delay_alu instid0(VALU_DEP_3) | instskip(SKIP_1) | instid1(VALU_DEP_3)
	v_add_co_u32 v11, vcc_lo, v11, v55
	s_wait_alu 0xfffd
	v_add_co_ci_u32_e64 v12, null, 0, v12, vcc_lo
	s_wait_alu 0xf1ff
	s_delay_alu instid0(VALU_DEP_2) | instskip(NEXT) | instid1(VALU_DEP_2)
	v_cndmask_b32_e64 v11, 0, v11, s3
	v_cndmask_b32_e64 v12, s11, v12, s3
	s_wait_loadcnt_dscnt 0x0
	ds_store_b128 v23, v[7:10]
	flat_load_b128 v[10:13], v[11:12]
	v_add_nc_u32_e32 v7, s9, v2
	s_clause 0x1
	scratch_store_b32 off, v6, off
	scratch_store_b96 off, v[18:20], off offset:4
	v_ashrrev_i32_e32 v8, 31, v7
	s_delay_alu instid0(VALU_DEP_1) | instskip(SKIP_1) | instid1(VALU_DEP_2)
	v_lshlrev_b64_e32 v[8:9], 2, v[7:8]
	v_add_nc_u32_e32 v7, s9, v7
	v_add_co_u32 v2, vcc_lo, s30, v8
	s_wait_alu 0xfffd
	s_delay_alu instid0(VALU_DEP_3) | instskip(SKIP_1) | instid1(VALU_DEP_3)
	v_add_co_ci_u32_e64 v8, null, s31, v9, vcc_lo
	v_add_nc_u32_e32 v9, 8, v51
	v_add_co_u32 v2, vcc_lo, v2, v55
	s_wait_alu 0xfffd
	s_delay_alu instid0(VALU_DEP_3) | instskip(NEXT) | instid1(VALU_DEP_3)
	v_add_co_ci_u32_e64 v8, null, 0, v8, vcc_lo
	v_cmp_gt_i32_e64 s4, s37, v9
	s_wait_alu 0xf1ff
	s_delay_alu instid0(VALU_DEP_1)
	v_cndmask_b32_e64 v15, s11, v8, s4
	v_cndmask_b32_e64 v14, 0, v2, s4
	v_ashrrev_i32_e32 v8, 31, v7
	s_wait_loadcnt_dscnt 0x0
	ds_store_b128 v23, v[10:13] offset:2112
	flat_load_b128 v[11:14], v[14:15]
	v_lshlrev_b64_e32 v[15:16], 2, v[7:8]
	v_add_nc_u32_e32 v10, 12, v51
	s_clause 0x1
	scratch_store_b32 off, v6, off
	scratch_store_b96 off, v[18:20], off offset:4
	v_add_nc_u32_e32 v7, s9, v7
	v_add_co_u32 v2, vcc_lo, s30, v15
	s_wait_alu 0xfffd
	v_add_co_ci_u32_e64 v8, null, s31, v16, vcc_lo
	v_cmp_gt_i32_e64 s5, s37, v10
	s_delay_alu instid0(VALU_DEP_3) | instskip(SKIP_1) | instid1(VALU_DEP_3)
	v_add_co_u32 v2, vcc_lo, v2, v55
	s_wait_alu 0xfffd
	v_add_co_ci_u32_e64 v8, null, 0, v8, vcc_lo
	s_wait_alu 0xf1ff
	s_delay_alu instid0(VALU_DEP_2) | instskip(NEXT) | instid1(VALU_DEP_2)
	v_cndmask_b32_e64 v15, 0, v2, s5
	v_cndmask_b32_e64 v16, s11, v8, s5
	v_ashrrev_i32_e32 v8, 31, v7
	s_wait_loadcnt_dscnt 0x0
	ds_store_b128 v23, v[11:14] offset:4224
	flat_load_b128 v[12:15], v[15:16]
	v_lshlrev_b64_e32 v[16:17], 2, v[7:8]
	v_add_nc_u32_e32 v11, 16, v51
	s_clause 0x1
	scratch_store_b32 off, v6, off
	scratch_store_b96 off, v[18:20], off offset:4
	v_add_nc_u32_e32 v7, s9, v7
	v_add_co_u32 v2, vcc_lo, s30, v16
	s_wait_alu 0xfffd
	v_add_co_ci_u32_e64 v8, null, s31, v17, vcc_lo
	v_cmp_gt_i32_e64 s6, s37, v11
	s_delay_alu instid0(VALU_DEP_3) | instskip(SKIP_1) | instid1(VALU_DEP_3)
	v_add_co_u32 v2, vcc_lo, v2, v55
	s_wait_alu 0xfffd
	v_add_co_ci_u32_e64 v8, null, 0, v8, vcc_lo
	s_delay_alu instid0(VALU_DEP_2) | instskip(NEXT) | instid1(VALU_DEP_2)
	v_cndmask_b32_e64 v16, 0, v2, s6
	v_cndmask_b32_e64 v17, s11, v8, s6
	v_ashrrev_i32_e32 v8, 31, v7
	s_delay_alu instid0(VALU_DEP_1) | instskip(SKIP_1) | instid1(VALU_DEP_2)
	v_lshlrev_b64_e32 v[21:22], 2, v[7:8]
	v_add_nc_u32_e32 v7, s9, v7
	v_add_co_u32 v2, vcc_lo, s30, v21
	s_wait_alu 0xfffd
	s_delay_alu instid0(VALU_DEP_3) | instskip(NEXT) | instid1(VALU_DEP_2)
	v_add_co_ci_u32_e64 v8, null, s31, v22, vcc_lo
	v_add_co_u32 v2, vcc_lo, v2, v55
	s_wait_alu 0xfffd
	s_delay_alu instid0(VALU_DEP_2)
	v_add_co_ci_u32_e64 v8, null, 0, v8, vcc_lo
	s_wait_loadcnt_dscnt 0x0
	ds_store_b128 v23, v[12:15] offset:6336
	flat_load_b128 v[13:16], v[16:17]
	v_add_nc_u32_e32 v12, 20, v51
	s_clause 0x1
	scratch_store_b32 off, v6, off
	scratch_store_b96 off, v[18:20], off offset:4
	v_cmp_gt_i32_e64 s7, s37, v12
	s_wait_alu 0xf1ff
	s_delay_alu instid0(VALU_DEP_1)
	v_cndmask_b32_e64 v22, s11, v8, s7
	v_cndmask_b32_e64 v21, 0, v2, s7
	v_ashrrev_i32_e32 v8, 31, v7
	s_wait_loadcnt_dscnt 0x0
	ds_store_b128 v23, v[13:16] offset:8448
	flat_load_b128 v[14:17], v[21:22]
	v_lshlrev_b64_e32 v[21:22], 2, v[7:8]
	v_add_nc_u32_e32 v13, 24, v51
	s_clause 0x1
	scratch_store_b32 off, v6, off
	scratch_store_b96 off, v[18:20], off offset:4
	v_add_nc_u32_e32 v7, s9, v7
	v_add_co_u32 v2, vcc_lo, s30, v21
	s_wait_alu 0xfffd
	v_add_co_ci_u32_e64 v8, null, s31, v22, vcc_lo
	v_cmp_gt_i32_e64 s8, s37, v13
	s_delay_alu instid0(VALU_DEP_3) | instskip(SKIP_1) | instid1(VALU_DEP_3)
	v_add_co_u32 v2, vcc_lo, v2, v55
	s_wait_alu 0xfffd
	v_add_co_ci_u32_e64 v8, null, 0, v8, vcc_lo
	s_wait_alu 0xf1ff
	s_delay_alu instid0(VALU_DEP_2) | instskip(NEXT) | instid1(VALU_DEP_2)
	v_cndmask_b32_e64 v21, 0, v2, s8
	v_cndmask_b32_e64 v22, s11, v8, s8
	v_ashrrev_i32_e32 v8, 31, v7
	s_delay_alu instid0(VALU_DEP_1) | instskip(NEXT) | instid1(VALU_DEP_1)
	v_lshlrev_b64_e32 v[7:8], 2, v[7:8]
	v_add_co_u32 v2, vcc_lo, s30, v7
	s_wait_alu 0xfffd
	s_delay_alu instid0(VALU_DEP_2) | instskip(SKIP_1) | instid1(VALU_DEP_3)
	v_add_co_ci_u32_e64 v7, null, s31, v8, vcc_lo
	v_add_nc_u32_e32 v8, 28, v51
	v_add_co_u32 v2, vcc_lo, v2, v55
	s_wait_alu 0xfffd
	s_delay_alu instid0(VALU_DEP_3) | instskip(NEXT) | instid1(VALU_DEP_3)
	v_add_co_ci_u32_e64 v7, null, 0, v7, vcc_lo
	v_cmp_gt_i32_e64 s9, s37, v8
	s_wait_loadcnt_dscnt 0x0
	ds_store_b128 v23, v[14:17] offset:10560
	flat_load_b128 v[14:17], v[21:22]
	s_wait_alu 0xf1ff
	v_cndmask_b32_e64 v22, s11, v7, s9
	v_cndmask_b32_e64 v21, 0, v2, s9
	s_clause 0x1
	scratch_store_b32 off, v6, off
	scratch_store_b96 off, v[18:20], off offset:4
	v_mov_b32_e32 v20, 0
	v_add_nc_u32_e32 v2, s28, v43
	s_wait_alu 0xfffe
	v_cndmask_b32_e64 v7, 0, 1, s27
	s_wait_loadcnt_dscnt 0x0
	ds_store_b128 v23, v[14:17] offset:12672
	flat_load_b128 v[14:17], v[21:22]
	v_mov_b32_e32 v21, 0
	s_wait_loadcnt_dscnt 0x0
	ds_store_b128 v23, v[14:17] offset:14784
	s_wait_storecnt_dscnt 0x0
	s_barrier_signal -1
	s_barrier_wait -1
	global_inv scope:SCOPE_SE
	ds_load_b128 v[14:17], v59
	ds_load_b128 v[22:25], v58 offset:16896
	ds_load_b128 v[26:29], v58 offset:17408
	s_wait_dscnt 0x1
	;;#ASMSTART
	v_dot2_f32_f16 v21, v14, v22, v21
	;;#ASMEND
	;;#ASMSTART
	v_dot2_f32_f16 v21, v15, v23, v21
	;;#ASMEND
	;;#ASMSTART
	v_dot2_f32_f16 v21, v16, v24, v21
	;;#ASMEND
	;;#ASMSTART
	v_dot2_f32_f16 v21, v17, v25, v21
	;;#ASMEND
	s_wait_dscnt 0x0
	;;#ASMSTART
	v_dot2_f32_f16 v20, v14, v26, v20
	;;#ASMEND
	;;#ASMSTART
	v_dot2_f32_f16 v20, v15, v27, v20
	;;#ASMEND
	;;#ASMSTART
	v_dot2_f32_f16 v20, v16, v28, v20
	;;#ASMEND
	;;#ASMSTART
	v_dot2_f32_f16 v20, v17, v29, v20
	;;#ASMEND
	ds_load_b128 v[14:17], v59 offset:16
	ds_load_b128 v[22:25], v58 offset:16912
	ds_load_b128 v[26:29], v58 offset:17424
	s_wait_dscnt 0x1
	;;#ASMSTART
	v_dot2_f32_f16 v21, v14, v22, v21
	;;#ASMEND
	;;#ASMSTART
	v_dot2_f32_f16 v21, v15, v23, v21
	;;#ASMEND
	;;#ASMSTART
	v_dot2_f32_f16 v21, v16, v24, v21
	;;#ASMEND
	;;#ASMSTART
	v_dot2_f32_f16 v21, v17, v25, v21
	;;#ASMEND
	s_wait_dscnt 0x0
	;;#ASMSTART
	v_dot2_f32_f16 v20, v14, v26, v20
	;;#ASMEND
	;;#ASMSTART
	v_dot2_f32_f16 v20, v15, v27, v20
	;;#ASMEND
	;;#ASMSTART
	v_dot2_f32_f16 v20, v16, v28, v20
	;;#ASMEND
	;;#ASMSTART
	v_dot2_f32_f16 v20, v17, v29, v20
	;;#ASMEND
	ds_load_b128 v[14:17], v59 offset:32
	;; [unrolled: 29-line block ×31, first 2 shown]
	ds_load_b128 v[26:29], v58 offset:17392
	ds_load_b128 v[30:33], v58 offset:17904
	s_wait_dscnt 0x1
	;;#ASMSTART
	v_dot2_f32_f16 v21, v22, v26, v21
	;;#ASMEND
	v_mov_b32_e32 v16, v4
	;;#ASMSTART
	v_dot2_f32_f16 v21, v23, v27, v21
	;;#ASMEND
	;;#ASMSTART
	v_dot2_f32_f16 v21, v24, v28, v21
	;;#ASMEND
	;; [unrolled: 3-line block ×3, first 2 shown]
	s_wait_dscnt 0x0
	;;#ASMSTART
	v_dot2_f32_f16 v20, v22, v30, v20
	;;#ASMEND
	;;#ASMSTART
	v_dot2_f32_f16 v20, v23, v31, v20
	;;#ASMEND
	;; [unrolled: 3-line block ×4, first 2 shown]
	s_and_saveexec_b32 s11, s10
	s_cbranch_execz .LBB49_24
; %bb.21:
	s_and_not1_b32 vcc_lo, exec_lo, s27
	s_wait_alu 0xfffe
	s_cbranch_vccnz .LBB49_23
; %bb.22:
	v_mad_co_u64_u32 v[14:15], null, v57, s15, v[2:3]
	s_delay_alu instid0(VALU_DEP_1) | instskip(NEXT) | instid1(VALU_DEP_1)
	v_ashrrev_i32_e32 v15, 31, v14
	v_lshlrev_b64_e32 v[14:15], 1, v[14:15]
	s_delay_alu instid0(VALU_DEP_1) | instskip(SKIP_1) | instid1(VALU_DEP_2)
	v_add_co_u32 v14, vcc_lo, s38, v14
	s_wait_alu 0xfffd
	v_add_co_ci_u32_e64 v15, null, s39, v15, vcc_lo
	global_load_u16 v6, v[14:15], off
	s_wait_loadcnt 0x0
	v_cvt_f32_f16_e32 v6, v6
	s_delay_alu instid0(VALU_DEP_1)
	v_mul_f32_e32 v6, v56, v6
.LBB49_23:
	s_delay_alu instid0(VALU_DEP_1) | instskip(NEXT) | instid1(VALU_DEP_1)
	v_dual_add_f32 v21, v21, v6 :: v_dual_max_num_f32 v14, v4, v4
	v_add_f32_e32 v6, 0x40051340, v21
	s_delay_alu instid0(VALU_DEP_1)
	v_max_num_f32_e32 v16, v14, v6
.LBB49_24:
	s_wait_alu 0xfffe
	s_or_b32 exec_lo, exec_lo, s11
	v_xor_b32_e32 v15, 16, v44
	v_xor_b32_e32 v14, 8, v44
	s_delay_alu instid0(VALU_DEP_2) | instskip(SKIP_2) | instid1(VALU_DEP_3)
	v_cmp_gt_i32_e32 vcc_lo, 32, v15
	s_wait_alu 0xfffd
	v_cndmask_b32_e32 v6, v44, v15, vcc_lo
	v_cmp_gt_i32_e32 vcc_lo, 32, v14
	s_wait_alu 0xfffd
	v_cndmask_b32_e32 v17, v44, v14, vcc_lo
	s_delay_alu instid0(VALU_DEP_1)
	v_lshlrev_b32_e32 v23, 2, v17
	v_lshlrev_b32_e32 v22, 2, v6
	ds_bpermute_b32 v6, v22, v16
	v_max_num_f32_e32 v16, v16, v16
	s_wait_dscnt 0x0
	v_max_num_f32_e32 v6, v6, v6
	s_delay_alu instid0(VALU_DEP_1)
	v_max_num_f32_e32 v6, v16, v6
	v_xor_b32_e32 v16, 4, v44
	ds_bpermute_b32 v17, v23, v6
	v_cmp_gt_i32_e32 vcc_lo, 32, v16
	s_wait_alu 0xfffd
	v_cndmask_b32_e32 v18, v44, v16, vcc_lo
	s_wait_dscnt 0x0
	s_delay_alu instid0(VALU_DEP_1) | instskip(NEXT) | instid1(VALU_DEP_1)
	v_dual_max_num_f32 v17, v17, v17 :: v_dual_lshlrev_b32 v24, 2, v18
	v_max_num_f32_e32 v6, v6, v17
	v_xor_b32_e32 v17, 2, v44
	ds_bpermute_b32 v18, v24, v6
	v_cmp_gt_i32_e32 vcc_lo, 32, v17
	s_wait_alu 0xfffd
	v_cndmask_b32_e32 v19, v44, v17, vcc_lo
	s_delay_alu instid0(VALU_DEP_1) | instskip(SKIP_1) | instid1(VALU_DEP_1)
	v_lshlrev_b32_e32 v25, 2, v19
	v_xor_b32_e32 v19, 1, v44
	v_cmp_gt_i32_e32 vcc_lo, 32, v19
	s_wait_dscnt 0x0
	v_max_num_f32_e32 v18, v18, v18
	s_wait_alu 0xfffd
	v_cndmask_b32_e32 v26, v44, v19, vcc_lo
	s_delay_alu instid0(VALU_DEP_2) | instskip(NEXT) | instid1(VALU_DEP_2)
	v_max_num_f32_e32 v6, v6, v18
	v_lshlrev_b32_e32 v26, 2, v26
	ds_bpermute_b32 v18, v25, v6
	s_wait_dscnt 0x0
	v_max_num_f32_e32 v18, v18, v18
	s_delay_alu instid0(VALU_DEP_1) | instskip(SKIP_3) | instid1(VALU_DEP_1)
	v_max_num_f32_e32 v6, v6, v18
	ds_bpermute_b32 v18, v26, v6
	s_wait_dscnt 0x0
	v_dual_max_num_f32 v27, v18, v18 :: v_dual_mov_b32 v18, 32
	v_dual_max_num_f32 v6, v6, v27 :: v_dual_mov_b32 v27, v5
	s_and_saveexec_b32 s11, s10
	s_cbranch_execz .LBB49_29
; %bb.25:
	v_cmp_ne_u32_e32 vcc_lo, 1, v7
	s_cbranch_vccnz .LBB49_27
; %bb.26:
	v_or_b32_e32 v7, 1, v42
	s_delay_alu instid0(VALU_DEP_1) | instskip(NEXT) | instid1(VALU_DEP_1)
	v_mul_hi_u32 v27, s20, v7
	v_add_nc_u32_e32 v27, v7, v27
	s_delay_alu instid0(VALU_DEP_1) | instskip(NEXT) | instid1(VALU_DEP_1)
	v_lshrrev_b32_e32 v27, s21, v27
	v_mul_lo_u32 v27, v27, s22
	s_delay_alu instid0(VALU_DEP_1) | instskip(NEXT) | instid1(VALU_DEP_1)
	v_sub_nc_u32_e32 v7, v7, v27
	v_mad_co_u64_u32 v[27:28], null, v7, s15, v[2:3]
	s_delay_alu instid0(VALU_DEP_1) | instskip(NEXT) | instid1(VALU_DEP_1)
	v_ashrrev_i32_e32 v28, 31, v27
	v_lshlrev_b64_e32 v[27:28], 1, v[27:28]
	s_delay_alu instid0(VALU_DEP_1) | instskip(SKIP_1) | instid1(VALU_DEP_2)
	v_add_co_u32 v27, vcc_lo, s38, v27
	s_wait_alu 0xfffd
	v_add_co_ci_u32_e64 v28, null, s39, v28, vcc_lo
	global_load_u16 v2, v[27:28], off
	s_wait_loadcnt 0x0
	v_cvt_f32_f16_e32 v2, v2
	s_delay_alu instid0(VALU_DEP_1)
	v_mul_f32_e32 v2, v56, v2
	s_branch .LBB49_28
.LBB49_27:
	v_mov_b32_e32 v2, 0
.LBB49_28:
	s_delay_alu instid0(VALU_DEP_1) | instskip(NEXT) | instid1(VALU_DEP_1)
	v_dual_add_f32 v20, v20, v2 :: v_dual_max_num_f32 v7, v5, v5
	v_add_f32_e32 v2, 0x40051340, v20
	s_delay_alu instid0(VALU_DEP_1)
	v_max_num_f32_e32 v27, v7, v2
.LBB49_29:
	s_wait_alu 0xfffe
	s_or_b32 exec_lo, exec_lo, s11
	ds_bpermute_b32 v2, v22, v27
	v_max_num_f32_e32 v7, v27, v27
	v_sub_f32_e32 v21, v21, v6
	s_mov_b32 s40, 0
	s_mov_b64 s[10:11], src_private_base
	s_mov_b32 s41, s40
	s_mov_b32 s42, s40
	v_cmp_ngt_f32_e32 vcc_lo, 0xc2ce8ed0, v21
	s_ashr_i32 s27, s26, 31
	s_wait_loadcnt_dscnt 0x0
	s_wait_alu 0xfffe
	s_mul_u64 s[20:21], s[28:29], s[26:27]
	s_barrier_signal -1
	s_wait_alu 0xfffe
	s_lshl_b64 s[20:21], s[20:21], 2
	s_barrier_wait -1
	s_wait_alu 0xfffe
	s_add_nc_u64 s[20:21], s[24:25], s[20:21]
	global_inv scope:SCOPE_SE
	v_lshl_add_u32 v30, v51, 9, v55
	v_lshl_add_u32 v9, v9, 9, v55
	v_lshl_add_u32 v12, v12, 9, v55
	v_add_nc_u32_e32 v182, 0x3800, v45
	v_dual_max_num_f32 v2, v2, v2 :: v_dual_add_nc_u32 v37, 0x1800, v45
	v_mov_b32_e32 v27, s40
	v_dual_mov_b32 v29, s42 :: v_dual_mov_b32 v32, 0
	s_delay_alu instid0(VALU_DEP_3)
	v_max_num_f32_e32 v2, v7, v2
	v_sub_f32_e32 v4, v4, v6
	v_add_nc_u32_e32 v118, 0x2000, v45
	ds_bpermute_b32 v7, v23, v2
	s_wait_dscnt 0x0
	v_max_num_f32_e32 v7, v7, v7
	s_delay_alu instid0(VALU_DEP_1) | instskip(SKIP_3) | instid1(VALU_DEP_1)
	v_max_num_f32_e32 v2, v2, v7
	ds_bpermute_b32 v7, v24, v2
	s_wait_dscnt 0x0
	v_max_num_f32_e32 v7, v7, v7
	v_max_num_f32_e32 v2, v2, v7
	ds_bpermute_b32 v7, v25, v2
	s_wait_dscnt 0x0
	v_max_num_f32_e32 v7, v7, v7
	s_delay_alu instid0(VALU_DEP_1) | instskip(SKIP_3) | instid1(VALU_DEP_1)
	v_max_num_f32_e32 v2, v2, v7
	ds_bpermute_b32 v7, v26, v2
	s_wait_dscnt 0x0
	v_max_num_f32_e32 v7, v7, v7
	v_max_num_f32_e32 v7, v2, v7
	s_delay_alu instid0(VALU_DEP_1) | instskip(SKIP_1) | instid1(VALU_DEP_2)
	v_sub_f32_e32 v22, v20, v7
	v_mul_f32_e32 v2, 0x3fb8aa3b, v21
	v_mul_f32_e32 v20, 0x3fb8aa3b, v22
	s_delay_alu instid0(VALU_DEP_2) | instskip(SKIP_2) | instid1(VALU_DEP_4)
	v_fma_f32 v23, 0x3fb8aa3b, v21, -v2
	v_rndne_f32_e32 v24, v2
	v_cmp_nlt_f32_e64 s10, 0x42b17218, v22
	v_fma_f32 v25, 0x3fb8aa3b, v22, -v20
	v_rndne_f32_e32 v26, v20
	s_delay_alu instid0(VALU_DEP_4) | instskip(SKIP_1) | instid1(VALU_DEP_4)
	v_dual_fmac_f32 v23, 0x32a5705f, v21 :: v_dual_sub_f32 v2, v2, v24
	v_cvt_i32_f32_e32 v24, v24
	v_fmac_f32_e32 v25, 0x32a5705f, v22
	s_delay_alu instid0(VALU_DEP_4) | instskip(SKIP_1) | instid1(VALU_DEP_2)
	v_sub_f32_e32 v20, v20, v26
	v_cvt_i32_f32_e32 v26, v26
	v_dual_add_f32 v2, v2, v23 :: v_dual_add_f32 v23, v20, v25
	v_lshlrev_b32_e32 v20, 7, v51
	s_delay_alu instid0(VALU_DEP_2) | instskip(SKIP_1) | instid1(VALU_DEP_3)
	v_exp_f32_e32 v25, v2
	v_lshlrev_b64_e32 v[1:2], 2, v[0:1]
	v_exp_f32_e32 v23, v23
	s_delay_alu instid0(TRANS32_DEP_2) | instskip(SKIP_1) | instid1(TRANS32_DEP_1)
	v_ldexp_f32 v24, v25, v24
	v_add3_u32 v25, 0x5200, v20, v41
	v_ldexp_f32 v23, v23, v26
	s_wait_alu 0xfffd
	s_delay_alu instid0(VALU_DEP_3)
	v_cndmask_b32_e32 v24, 0, v24, vcc_lo
	v_cmp_ngt_f32_e32 vcc_lo, 0xc2ce8ed0, v22
	v_dual_sub_f32 v5, v5, v7 :: v_dual_add_nc_u32 v158, 0x3000, v45
	s_wait_alu 0xfffd
	v_cndmask_b32_e32 v23, 0, v23, vcc_lo
	v_cmp_nlt_f32_e32 vcc_lo, 0x42b17218, v21
	s_wait_alu 0xfffd
	v_cndmask_b32_e32 v21, 0x7f800000, v24, vcc_lo
	v_cmp_gt_u32_e32 vcc_lo, s37, v43
	s_wait_alu 0xfffd
	s_delay_alu instid0(VALU_DEP_2)
	v_cndmask_b32_e32 v22, 0, v21, vcc_lo
	s_wait_alu 0xf1ff
	v_cndmask_b32_e64 v23, 0x7f800000, v23, s10
	s_wait_alu 0xfffe
	v_add_co_u32 v1, s10, s20, v1
	s_wait_alu 0xf1ff
	v_add_co_ci_u32_e64 v2, null, s21, v2, s10
	v_cndmask_b32_e32 v21, 0, v23, vcc_lo
	s_delay_alu instid0(VALU_DEP_3)
	v_add_co_u32 v1, vcc_lo, v1, v55
	v_cvt_f16_f32_e32 v23, v22
	s_wait_alu 0xfffd
	v_add_co_ci_u32_e64 v2, null, 0, v2, vcc_lo
	v_cvt_f16_f32_e32 v24, v21
	v_cndmask_b32_e64 v1, 0, v1, s2
	s_delay_alu instid0(VALU_DEP_3) | instskip(SKIP_1) | instid1(VALU_DEP_3)
	v_cndmask_b32_e64 v2, s11, v2, s2
	s_lshl_b32 s2, s26, 2
	v_pack_b32_f16 v23, v23, v24
	v_mov_b32_e32 v28, s41
	s_clause 0x1
	scratch_store_b32 off, v32, off
	scratch_store_b96 off, v[27:29], off offset:4
	ds_store_b32 v25, v23
	flat_load_b128 v[23:26], v[1:2]
	s_wait_alu 0xfffe
	v_add_nc_u32_e32 v0, s2, v0
	s_clause 0x1
	scratch_store_b32 off, v32, off
	scratch_store_b96 off, v[27:29], off offset:4
	v_ashrrev_i32_e32 v1, 31, v0
	s_delay_alu instid0(VALU_DEP_1) | instskip(NEXT) | instid1(VALU_DEP_1)
	v_lshlrev_b64_e32 v[1:2], 2, v[0:1]
	v_add_co_u32 v1, vcc_lo, s20, v1
	s_wait_alu 0xfffd
	s_delay_alu instid0(VALU_DEP_2) | instskip(NEXT) | instid1(VALU_DEP_2)
	v_add_co_ci_u32_e64 v2, null, s21, v2, vcc_lo
	v_add_co_u32 v1, vcc_lo, v1, v55
	s_wait_alu 0xfffd
	s_delay_alu instid0(VALU_DEP_2) | instskip(NEXT) | instid1(VALU_DEP_2)
	v_add_co_ci_u32_e64 v2, null, 0, v2, vcc_lo
	v_cndmask_b32_e64 v1, 0, v1, s3
	s_delay_alu instid0(VALU_DEP_2)
	v_cndmask_b32_e64 v2, s11, v2, s3
	s_wait_loadcnt_dscnt 0x0
	ds_store_b128 v30, v[23:26]
	flat_load_b128 v[23:26], v[1:2]
	v_add_nc_u32_e32 v30, s2, v0
	v_lshl_add_u32 v2, v3, 9, v55
	s_clause 0x1
	scratch_store_b32 off, v32, off
	scratch_store_b96 off, v[27:29], off offset:4
	v_ashrrev_i32_e32 v31, 31, v30
	s_delay_alu instid0(VALU_DEP_1) | instskip(NEXT) | instid1(VALU_DEP_1)
	v_lshlrev_b64_e32 v[0:1], 2, v[30:31]
	v_add_co_u32 v0, vcc_lo, s20, v0
	s_wait_alu 0xfffd
	s_delay_alu instid0(VALU_DEP_2) | instskip(NEXT) | instid1(VALU_DEP_2)
	v_add_co_ci_u32_e64 v1, null, s21, v1, vcc_lo
	v_add_co_u32 v0, vcc_lo, v0, v55
	s_wait_alu 0xfffd
	s_delay_alu instid0(VALU_DEP_2) | instskip(NEXT) | instid1(VALU_DEP_2)
	v_add_co_ci_u32_e64 v1, null, 0, v1, vcc_lo
	v_cndmask_b32_e64 v0, 0, v0, s4
	s_delay_alu instid0(VALU_DEP_2)
	v_cndmask_b32_e64 v1, s11, v1, s4
	s_wait_loadcnt_dscnt 0x0
	ds_store_b128 v2, v[23:26]
	flat_load_b128 v[0:3], v[0:1]
	v_add_nc_u32_e32 v23, s2, v30
	s_clause 0x1
	scratch_store_b32 off, v32, off
	scratch_store_b96 off, v[27:29], off offset:4
	v_ashrrev_i32_e32 v24, 31, v23
	s_delay_alu instid0(VALU_DEP_1) | instskip(SKIP_1) | instid1(VALU_DEP_2)
	v_lshlrev_b64_e32 v[24:25], 2, v[23:24]
	v_add_nc_u32_e32 v23, s2, v23
	v_add_co_u32 v24, vcc_lo, s20, v24
	s_wait_alu 0xfffd
	s_delay_alu instid0(VALU_DEP_3) | instskip(NEXT) | instid1(VALU_DEP_2)
	v_add_co_ci_u32_e64 v25, null, s21, v25, vcc_lo
	v_add_co_u32 v24, vcc_lo, v24, v55
	s_wait_alu 0xfffd
	s_delay_alu instid0(VALU_DEP_2) | instskip(NEXT) | instid1(VALU_DEP_2)
	v_add_co_ci_u32_e64 v25, null, 0, v25, vcc_lo
	v_cndmask_b32_e64 v24, 0, v24, s5
	s_delay_alu instid0(VALU_DEP_2)
	v_cndmask_b32_e64 v25, s11, v25, s5
	s_wait_loadcnt_dscnt 0x0
	ds_store_b128 v9, v[0:3]
	flat_load_b128 v[0:3], v[24:25]
	v_ashrrev_i32_e32 v24, 31, v23
	s_clause 0x1
	scratch_store_b32 off, v32, off
	scratch_store_b96 off, v[27:29], off offset:4
	v_lshlrev_b64_e32 v[24:25], 2, v[23:24]
	s_delay_alu instid0(VALU_DEP_1) | instskip(SKIP_1) | instid1(VALU_DEP_2)
	v_add_co_u32 v9, vcc_lo, s20, v24
	s_wait_alu 0xfffd
	v_add_co_ci_u32_e64 v24, null, s21, v25, vcc_lo
	v_lshl_add_u32 v25, v10, 9, v55
	s_delay_alu instid0(VALU_DEP_3) | instskip(SKIP_1) | instid1(VALU_DEP_3)
	v_add_co_u32 v9, vcc_lo, v9, v55
	s_wait_alu 0xfffd
	v_add_co_ci_u32_e64 v24, null, 0, v24, vcc_lo
	s_delay_alu instid0(VALU_DEP_2) | instskip(NEXT) | instid1(VALU_DEP_2)
	v_cndmask_b32_e64 v9, 0, v9, s6
	v_cndmask_b32_e64 v10, s11, v24, s6
	s_wait_loadcnt_dscnt 0x0
	ds_store_b128 v25, v[0:3]
	flat_load_b128 v[0:3], v[9:10]
	v_add_nc_u32_e32 v9, s2, v23
	s_clause 0x1
	scratch_store_b32 off, v32, off
	scratch_store_b96 off, v[27:29], off offset:4
	v_ashrrev_i32_e32 v10, 31, v9
	s_delay_alu instid0(VALU_DEP_1) | instskip(SKIP_1) | instid1(VALU_DEP_2)
	v_lshlrev_b64_e32 v[23:24], 2, v[9:10]
	v_add_nc_u32_e32 v9, s2, v9
	v_add_co_u32 v10, vcc_lo, s20, v23
	s_wait_alu 0xfffd
	s_delay_alu instid0(VALU_DEP_3) | instskip(SKIP_1) | instid1(VALU_DEP_3)
	v_add_co_ci_u32_e64 v23, null, s21, v24, vcc_lo
	v_lshl_add_u32 v24, v11, 9, v55
	v_add_co_u32 v10, vcc_lo, v10, v55
	s_wait_alu 0xfffd
	s_delay_alu instid0(VALU_DEP_3) | instskip(NEXT) | instid1(VALU_DEP_2)
	v_add_co_ci_u32_e64 v23, null, 0, v23, vcc_lo
	v_cndmask_b32_e64 v10, 0, v10, s7
	s_delay_alu instid0(VALU_DEP_2)
	v_cndmask_b32_e64 v11, s11, v23, s7
	s_wait_loadcnt_dscnt 0x0
	ds_store_b128 v24, v[0:3]
	flat_load_b128 v[0:3], v[10:11]
	v_ashrrev_i32_e32 v10, 31, v9
	s_clause 0x1
	scratch_store_b32 off, v32, off
	scratch_store_b96 off, v[27:29], off offset:4
	v_lshlrev_b64_e32 v[10:11], 2, v[9:10]
	v_add_nc_u32_e32 v9, s2, v9
	s_delay_alu instid0(VALU_DEP_2) | instskip(SKIP_1) | instid1(VALU_DEP_3)
	v_add_co_u32 v10, vcc_lo, s20, v10
	s_wait_alu 0xfffd
	v_add_co_ci_u32_e64 v11, null, s21, v11, vcc_lo
	s_delay_alu instid0(VALU_DEP_2) | instskip(SKIP_1) | instid1(VALU_DEP_2)
	v_add_co_u32 v10, vcc_lo, v10, v55
	s_wait_alu 0xfffd
	v_add_co_ci_u32_e64 v11, null, 0, v11, vcc_lo
	s_delay_alu instid0(VALU_DEP_2) | instskip(NEXT) | instid1(VALU_DEP_2)
	v_cndmask_b32_e64 v10, 0, v10, s8
	v_cndmask_b32_e64 v11, s11, v11, s8
	s_wait_loadcnt_dscnt 0x0
	ds_store_b128 v12, v[0:3]
	flat_load_b128 v[0:3], v[10:11]
	v_ashrrev_i32_e32 v10, 31, v9
	v_lshl_add_u32 v11, v13, 9, v55
	s_clause 0x1
	scratch_store_b32 off, v32, off
	scratch_store_b96 off, v[27:29], off offset:4
	v_lshlrev_b64_e32 v[9:10], 2, v[9:10]
	s_delay_alu instid0(VALU_DEP_1) | instskip(SKIP_1) | instid1(VALU_DEP_2)
	v_add_co_u32 v9, vcc_lo, s20, v9
	s_wait_alu 0xfffd
	v_add_co_ci_u32_e64 v10, null, s21, v10, vcc_lo
	s_delay_alu instid0(VALU_DEP_2) | instskip(SKIP_1) | instid1(VALU_DEP_2)
	v_add_co_u32 v9, vcc_lo, v9, v55
	s_wait_alu 0xfffd
	v_add_co_ci_u32_e64 v10, null, 0, v10, vcc_lo
	v_cmp_ngt_f32_e32 vcc_lo, 0xc2ce8ed0, v4
	s_delay_alu instid0(VALU_DEP_3) | instskip(NEXT) | instid1(VALU_DEP_3)
	v_cndmask_b32_e64 v9, 0, v9, s9
	v_cndmask_b32_e64 v10, s11, v10, s9
	s_wait_loadcnt_dscnt 0x0
	ds_store_b128 v11, v[0:3]
	flat_load_b128 v[0:3], v[9:10]
	v_mul_f32_e32 v10, 0x3fb8aa3b, v5
	s_delay_alu instid0(VALU_DEP_1) | instskip(SKIP_1) | instid1(VALU_DEP_1)
	v_fma_f32 v13, 0x3fb8aa3b, v5, -v10
	v_rndne_f32_e32 v23, v10
	v_dual_fmac_f32 v13, 0x32a5705f, v5 :: v_dual_sub_f32 v10, v10, v23
	s_delay_alu instid0(VALU_DEP_1) | instskip(NEXT) | instid1(VALU_DEP_1)
	v_dual_mul_f32 v9, 0x3fb8aa3b, v4 :: v_dual_add_f32 v10, v10, v13
	v_fma_f32 v11, 0x3fb8aa3b, v4, -v9
	v_rndne_f32_e32 v12, v9
	v_add_nc_u32_e32 v13, 0x1000, v45
	s_delay_alu instid0(VALU_DEP_4) | instskip(NEXT) | instid1(VALU_DEP_3)
	v_exp_f32_e32 v10, v10
	v_fmac_f32_e32 v11, 0x32a5705f, v4
	s_delay_alu instid0(VALU_DEP_3) | instskip(NEXT) | instid1(VALU_DEP_1)
	v_sub_f32_e32 v9, v9, v12
	v_add_f32_e32 v9, v9, v11
	v_cvt_i32_f32_e32 v11, v12
	v_cvt_i32_f32_e32 v12, v23
	s_delay_alu instid0(VALU_DEP_3)
	v_exp_f32_e32 v9, v9
	s_delay_alu instid0(TRANS32_DEP_2) | instid1(VALU_DEP_1)
	v_ldexp_f32 v10, v10, v12
	v_add_nc_u32_e32 v12, 0x800, v45
	s_delay_alu instid0(TRANS32_DEP_1) | instskip(SKIP_1) | instid1(VALU_DEP_1)
	v_ldexp_f32 v9, v9, v11
	s_wait_alu 0xfffd
	v_cndmask_b32_e32 v9, 0, v9, vcc_lo
	v_cmp_ngt_f32_e32 vcc_lo, 0xc2ce8ed0, v5
	s_wait_alu 0xfffd
	v_cndmask_b32_e32 v10, 0, v10, vcc_lo
	v_cmp_nlt_f32_e32 vcc_lo, 0x42b17218, v4
	v_lshl_add_u32 v4, v8, 9, v55
	s_wait_alu 0xfffd
	v_cndmask_b32_e32 v9, 0x7f800000, v9, vcc_lo
	v_cmp_nlt_f32_e32 vcc_lo, 0x42b17218, v5
	s_wait_alu 0xfffd
	v_cndmask_b32_e32 v5, 0x7f800000, v10, vcc_lo
	s_delay_alu instid0(VALU_DEP_1) | instskip(SKIP_1) | instid1(VALU_DEP_2)
	v_fmac_f32_e32 v21, v60, v5
	v_cvt_f16_f32_e32 v10, v5
	v_mov_b32_e32 v60, v21
	v_cvt_f16_f32_e32 v8, v9
	s_delay_alu instid0(VALU_DEP_3) | instskip(SKIP_1) | instid1(VALU_DEP_2)
	v_dual_fmac_f32 v22, v61, v9 :: v_dual_and_b32 v9, 0xffff, v10
	v_add_nc_u32_e32 v142, 0x2800, v45
	v_dual_mov_b32 v61, v22 :: v_dual_and_b32 v8, 0xffff, v8
	s_delay_alu instid0(VALU_DEP_3) | instskip(NEXT) | instid1(VALU_DEP_2)
	v_mul_u32_u24_e32 v5, 0x10001, v9
	v_mul_u32_u24_e32 v186, 0x10001, v8
	s_delay_alu instid0(VALU_DEP_2) | instskip(SKIP_2) | instid1(VALU_DEP_4)
	v_pk_mul_f16 v190, v50, v5
	v_pk_mul_f16 v191, v49, v5
	;; [unrolled: 1-line block ×6, first 2 shown]
	s_wait_loadcnt_dscnt 0x0
	ds_store_b128 v4, v[0:3]
	s_wait_storecnt_dscnt 0x0
	s_barrier_signal -1
	s_barrier_wait -1
	global_inv scope:SCOPE_SE
	ds_load_2addr_b64 v[0:3], v45 offset1:32
	ds_load_b128 v[8:11], v20 offset:20992
	ds_load_b128 v[21:24], v20 offset:21008
	;; [unrolled: 1-line block ×4, first 2 shown]
	ds_load_2addr_b64 v[33:36], v45 offset0:64 offset1:96
	ds_load_2addr_b64 v[48:51], v45 offset0:128 offset1:160
	ds_load_2addr_b64 v[52:55], v45 offset0:192 offset1:224
	ds_load_2addr_b64 v[56:59], v12 offset1:32
	ds_load_2addr_b64 v[62:65], v12 offset0:64 offset1:96
	ds_load_2addr_b64 v[66:69], v12 offset0:128 offset1:160
	ds_load_2addr_b64 v[70:73], v12 offset0:192 offset1:224
	ds_load_2addr_b64 v[74:77], v13 offset1:32
	;; [unrolled: 4-line block ×5, first 2 shown]
	ds_load_b128 v[126:129], v20 offset:21056
	ds_load_b128 v[130:133], v20 offset:21072
	ds_load_2addr_b64 v[134:137], v142 offset0:64 offset1:96
	ds_load_2addr_b64 v[138:141], v142 offset0:128 offset1:160
	;; [unrolled: 1-line block ×3, first 2 shown]
	ds_load_2addr_b64 v[146:149], v158 offset1:32
	ds_load_2addr_b64 v[150:153], v158 offset0:64 offset1:96
	ds_load_2addr_b64 v[154:157], v158 offset0:128 offset1:160
	;; [unrolled: 1-line block ×3, first 2 shown]
	ds_load_2addr_b64 v[162:165], v182 offset1:32
	ds_load_b128 v[166:169], v20 offset:21088
	ds_load_b128 v[170:173], v20 offset:21104
	ds_load_2addr_b64 v[174:177], v182 offset0:64 offset1:96
	ds_load_2addr_b64 v[178:181], v182 offset0:128 offset1:160
	;; [unrolled: 1-line block ×3, first 2 shown]
	s_wait_dscnt 0x26
	v_lshrrev_b32_e32 v4, 16, v8
	v_and_b32_e32 v8, 0xffff, v8
	v_lshrrev_b32_e32 v12, 16, v9
	v_and_b32_e32 v9, 0xffff, v9
	v_lshrrev_b32_e32 v13, 16, v10
	v_mul_u32_u24_e32 v4, 0x10001, v4
	v_mul_u32_u24_e32 v8, 0x10001, v8
	v_and_b32_e32 v10, 0xffff, v10
	v_mul_u32_u24_e32 v9, 0x10001, v9
	v_mul_u32_u24_e32 v12, 0x10001, v12
	v_lshrrev_b32_e32 v20, 16, v11
	v_pk_mul_f16 v219, v0, v8
	v_pk_mul_f16 v0, v0, v4
	v_pk_fma_f16 v187, v1, v8, v187
	v_pk_fma_f16 v1, v1, v4, v190
	;; [unrolled: 1-line block ×8, first 2 shown]
	v_and_b32_e32 v11, 0xffff, v11
	v_mul_u32_u24_e32 v10, 0x10001, v10
	s_wait_dscnt 0x22
	v_pk_fma_f16 v5, v34, v9, v187
	v_pk_fma_f16 v4, v33, v9, v4
	v_mul_u32_u24_e32 v13, 0x10001, v13
	v_pk_fma_f16 v1, v34, v12, v1
	v_pk_fma_f16 v34, v35, v9, v188
	v_pk_fma_f16 v2, v35, v12, v2
	v_pk_fma_f16 v8, v36, v9, v8
	v_pk_fma_f16 v3, v36, v12, v3
	v_pk_fma_f16 v0, v33, v12, v0
	v_lshrrev_b32_e32 v37, 16, v21
	v_and_b32_e32 v21, 0xffff, v21
	v_mul_u32_u24_e32 v11, 0x10001, v11
	s_wait_dscnt 0x21
	v_pk_fma_f16 v5, v49, v10, v5
	v_pk_fma_f16 v4, v48, v10, v4
	v_mul_u32_u24_e32 v20, 0x10001, v20
	v_pk_fma_f16 v1, v49, v13, v1
	v_pk_fma_f16 v9, v50, v10, v34
	v_pk_fma_f16 v2, v50, v13, v2
	v_pk_fma_f16 v8, v51, v10, v8
	v_pk_fma_f16 v3, v51, v13, v3
	v_pk_fma_f16 v0, v48, v13, v0
	v_lshrrev_b32_e32 v45, 16, v22
	v_and_b32_e32 v22, 0xffff, v22
	v_mul_u32_u24_e32 v21, 0x10001, v21
	s_wait_dscnt 0x20
	v_pk_fma_f16 v5, v53, v11, v5
	v_pk_fma_f16 v4, v52, v11, v4
	v_mul_u32_u24_e32 v37, 0x10001, v37
	v_pk_fma_f16 v1, v53, v20, v1
	v_pk_fma_f16 v9, v54, v11, v9
	v_pk_fma_f16 v2, v54, v20, v2
	v_pk_fma_f16 v8, v55, v11, v8
	v_pk_fma_f16 v3, v55, v20, v3
	v_pk_fma_f16 v0, v52, v20, v0
	v_lshrrev_b32_e32 v193, 16, v23
	v_and_b32_e32 v23, 0xffff, v23
	v_mul_u32_u24_e32 v22, 0x10001, v22
	s_wait_dscnt 0x1f
	v_pk_fma_f16 v5, v57, v21, v5
	v_pk_fma_f16 v4, v56, v21, v4
	v_mul_u32_u24_e32 v45, 0x10001, v45
	v_pk_fma_f16 v1, v57, v37, v1
	v_pk_fma_f16 v9, v58, v21, v9
	v_pk_fma_f16 v2, v58, v37, v2
	v_pk_fma_f16 v8, v59, v21, v8
	v_pk_fma_f16 v3, v59, v37, v3
	v_pk_fma_f16 v0, v56, v37, v0
	v_lshrrev_b32_e32 v194, 16, v24
	v_and_b32_e32 v24, 0xffff, v24
	v_mul_u32_u24_e32 v23, 0x10001, v23
	s_wait_dscnt 0x1e
	v_pk_fma_f16 v5, v63, v22, v5
	v_pk_fma_f16 v4, v62, v22, v4
	v_mul_u32_u24_e32 v193, 0x10001, v193
	v_pk_fma_f16 v1, v63, v45, v1
	v_pk_fma_f16 v9, v64, v22, v9
	v_pk_fma_f16 v2, v64, v45, v2
	v_pk_fma_f16 v8, v65, v22, v8
	v_pk_fma_f16 v3, v65, v45, v3
	v_pk_fma_f16 v0, v62, v45, v0
	v_lshrrev_b32_e32 v195, 16, v25
	v_and_b32_e32 v25, 0xffff, v25
	v_mul_u32_u24_e32 v24, 0x10001, v24
	s_wait_dscnt 0x1d
	v_pk_fma_f16 v5, v67, v23, v5
	v_pk_fma_f16 v4, v66, v23, v4
	v_mul_u32_u24_e32 v194, 0x10001, v194
	v_pk_fma_f16 v1, v67, v193, v1
	v_pk_fma_f16 v9, v68, v23, v9
	v_pk_fma_f16 v2, v68, v193, v2
	v_pk_fma_f16 v8, v69, v23, v8
	v_pk_fma_f16 v3, v69, v193, v3
	v_pk_fma_f16 v0, v66, v193, v0
	v_lshrrev_b32_e32 v196, 16, v26
	v_and_b32_e32 v26, 0xffff, v26
	v_mul_u32_u24_e32 v25, 0x10001, v25
	s_wait_dscnt 0x1c
	v_pk_fma_f16 v5, v71, v24, v5
	v_pk_fma_f16 v4, v70, v24, v4
	v_mul_u32_u24_e32 v195, 0x10001, v195
	v_pk_fma_f16 v1, v71, v194, v1
	v_pk_fma_f16 v9, v72, v24, v9
	v_pk_fma_f16 v2, v72, v194, v2
	v_pk_fma_f16 v8, v73, v24, v8
	v_pk_fma_f16 v3, v73, v194, v3
	v_pk_fma_f16 v0, v70, v194, v0
	v_lshrrev_b32_e32 v197, 16, v27
	v_and_b32_e32 v27, 0xffff, v27
	v_mul_u32_u24_e32 v26, 0x10001, v26
	s_wait_dscnt 0x1b
	v_pk_fma_f16 v5, v75, v25, v5
	v_pk_fma_f16 v4, v74, v25, v4
	v_mul_u32_u24_e32 v196, 0x10001, v196
	v_pk_fma_f16 v1, v75, v195, v1
	v_pk_fma_f16 v9, v76, v25, v9
	v_pk_fma_f16 v2, v76, v195, v2
	v_pk_fma_f16 v8, v77, v25, v8
	v_pk_fma_f16 v3, v77, v195, v3
	v_pk_fma_f16 v0, v74, v195, v0
	v_lshrrev_b32_e32 v198, 16, v28
	v_and_b32_e32 v28, 0xffff, v28
	v_mul_u32_u24_e32 v27, 0x10001, v27
	s_wait_dscnt 0x1a
	v_pk_fma_f16 v5, v79, v26, v5
	v_pk_fma_f16 v4, v78, v26, v4
	v_mul_u32_u24_e32 v197, 0x10001, v197
	v_pk_fma_f16 v1, v79, v196, v1
	v_pk_fma_f16 v9, v80, v26, v9
	v_pk_fma_f16 v2, v80, v196, v2
	v_pk_fma_f16 v8, v81, v26, v8
	v_pk_fma_f16 v3, v81, v196, v3
	v_pk_fma_f16 v0, v78, v196, v0
	v_lshrrev_b32_e32 v199, 16, v29
	v_and_b32_e32 v29, 0xffff, v29
	v_mul_u32_u24_e32 v28, 0x10001, v28
	s_wait_dscnt 0x19
	v_pk_fma_f16 v5, v83, v27, v5
	v_pk_fma_f16 v4, v82, v27, v4
	v_mul_u32_u24_e32 v198, 0x10001, v198
	v_pk_fma_f16 v1, v83, v197, v1
	v_pk_fma_f16 v9, v84, v27, v9
	v_pk_fma_f16 v2, v84, v197, v2
	v_pk_fma_f16 v8, v85, v27, v8
	v_pk_fma_f16 v3, v85, v197, v3
	v_pk_fma_f16 v0, v82, v197, v0
	v_lshrrev_b32_e32 v200, 16, v30
	v_and_b32_e32 v30, 0xffff, v30
	v_mul_u32_u24_e32 v29, 0x10001, v29
	s_wait_dscnt 0x18
	v_pk_fma_f16 v5, v87, v28, v5
	v_pk_fma_f16 v4, v86, v28, v4
	v_mul_u32_u24_e32 v199, 0x10001, v199
	v_pk_fma_f16 v1, v87, v198, v1
	v_pk_fma_f16 v9, v88, v28, v9
	v_pk_fma_f16 v2, v88, v198, v2
	v_pk_fma_f16 v8, v89, v28, v8
	v_pk_fma_f16 v3, v89, v198, v3
	v_pk_fma_f16 v0, v86, v198, v0
	v_lshrrev_b32_e32 v201, 16, v31
	v_and_b32_e32 v31, 0xffff, v31
	v_mul_u32_u24_e32 v30, 0x10001, v30
	s_wait_dscnt 0x17
	v_pk_fma_f16 v5, v91, v29, v5
	v_pk_fma_f16 v4, v90, v29, v4
	v_mul_u32_u24_e32 v200, 0x10001, v200
	v_pk_fma_f16 v1, v91, v199, v1
	v_pk_fma_f16 v9, v92, v29, v9
	v_pk_fma_f16 v2, v92, v199, v2
	v_pk_fma_f16 v8, v93, v29, v8
	v_pk_fma_f16 v3, v93, v199, v3
	v_pk_fma_f16 v0, v90, v199, v0
	v_lshrrev_b32_e32 v202, 16, v32
	v_and_b32_e32 v32, 0xffff, v32
	v_mul_u32_u24_e32 v31, 0x10001, v31
	s_wait_dscnt 0x16
	v_pk_fma_f16 v5, v95, v30, v5
	v_pk_fma_f16 v4, v94, v30, v4
	v_mul_u32_u24_e32 v201, 0x10001, v201
	v_pk_fma_f16 v1, v95, v200, v1
	v_pk_fma_f16 v9, v96, v30, v9
	;; [unrolled: 1-line block ×6, first 2 shown]
	s_wait_dscnt 0xe
	v_lshrrev_b32_e32 v203, 16, v126
	v_and_b32_e32 v126, 0xffff, v126
	v_mul_u32_u24_e32 v32, 0x10001, v32
	v_pk_fma_f16 v5, v99, v31, v5
	v_pk_fma_f16 v4, v98, v31, v4
	v_mul_u32_u24_e32 v202, 0x10001, v202
	v_pk_fma_f16 v1, v99, v201, v1
	v_pk_fma_f16 v9, v100, v31, v9
	v_pk_fma_f16 v2, v100, v201, v2
	v_pk_fma_f16 v8, v101, v31, v8
	v_pk_fma_f16 v3, v101, v201, v3
	v_pk_fma_f16 v0, v98, v201, v0
	v_lshrrev_b32_e32 v204, 16, v127
	v_and_b32_e32 v127, 0xffff, v127
	v_mul_u32_u24_e32 v126, 0x10001, v126
	v_pk_fma_f16 v5, v103, v32, v5
	v_pk_fma_f16 v4, v102, v32, v4
	v_mul_u32_u24_e32 v203, 0x10001, v203
	v_pk_fma_f16 v1, v103, v202, v1
	v_pk_fma_f16 v9, v104, v32, v9
	v_pk_fma_f16 v2, v104, v202, v2
	v_pk_fma_f16 v8, v105, v32, v8
	v_pk_fma_f16 v3, v105, v202, v3
	v_pk_fma_f16 v0, v102, v202, v0
	;; [unrolled: 12-line block ×4, first 2 shown]
	s_wait_dscnt 0xd
	v_lshrrev_b32_e32 v207, 16, v130
	v_and_b32_e32 v130, 0xffff, v130
	v_mul_u32_u24_e32 v129, 0x10001, v129
	v_pk_fma_f16 v5, v115, v128, v5
	v_pk_fma_f16 v4, v114, v128, v4
	v_mul_u32_u24_e32 v206, 0x10001, v206
	v_pk_fma_f16 v1, v115, v205, v1
	v_pk_fma_f16 v9, v116, v128, v9
	v_pk_fma_f16 v2, v116, v205, v2
	v_pk_fma_f16 v8, v117, v128, v8
	v_pk_fma_f16 v3, v117, v205, v3
	v_pk_fma_f16 v0, v114, v205, v0
	v_lshrrev_b32_e32 v208, 16, v131
	v_and_b32_e32 v131, 0xffff, v131
	v_mul_u32_u24_e32 v130, 0x10001, v130
	v_pk_fma_f16 v5, v119, v129, v5
	v_pk_fma_f16 v4, v118, v129, v4
	v_mul_u32_u24_e32 v207, 0x10001, v207
	v_pk_fma_f16 v1, v119, v206, v1
	v_pk_fma_f16 v9, v120, v129, v9
	v_pk_fma_f16 v2, v120, v206, v2
	v_pk_fma_f16 v8, v121, v129, v8
	v_pk_fma_f16 v3, v121, v206, v3
	v_pk_fma_f16 v0, v118, v206, v0
	;; [unrolled: 12-line block ×3, first 2 shown]
	v_lshrrev_b32_e32 v210, 16, v133
	v_and_b32_e32 v133, 0xffff, v133
	v_mul_u32_u24_e32 v132, 0x10001, v132
	s_wait_dscnt 0xc
	v_pk_fma_f16 v5, v135, v131, v5
	v_pk_fma_f16 v4, v134, v131, v4
	v_mul_u32_u24_e32 v209, 0x10001, v209
	v_pk_fma_f16 v1, v135, v208, v1
	v_pk_fma_f16 v9, v136, v131, v9
	;; [unrolled: 1-line block ×6, first 2 shown]
	s_wait_dscnt 0x4
	v_lshrrev_b32_e32 v211, 16, v166
	v_and_b32_e32 v166, 0xffff, v166
	v_mul_u32_u24_e32 v133, 0x10001, v133
	v_pk_fma_f16 v5, v139, v132, v5
	v_pk_fma_f16 v4, v138, v132, v4
	v_mul_u32_u24_e32 v210, 0x10001, v210
	v_pk_fma_f16 v1, v139, v209, v1
	v_pk_fma_f16 v9, v140, v132, v9
	v_pk_fma_f16 v2, v140, v209, v2
	v_pk_fma_f16 v8, v141, v132, v8
	v_pk_fma_f16 v3, v141, v209, v3
	v_pk_fma_f16 v0, v138, v209, v0
	v_lshrrev_b32_e32 v212, 16, v167
	v_and_b32_e32 v167, 0xffff, v167
	v_mul_u32_u24_e32 v166, 0x10001, v166
	v_pk_fma_f16 v5, v143, v133, v5
	v_pk_fma_f16 v4, v142, v133, v4
	v_mul_u32_u24_e32 v211, 0x10001, v211
	v_pk_fma_f16 v1, v143, v210, v1
	v_pk_fma_f16 v9, v144, v133, v9
	v_pk_fma_f16 v2, v144, v210, v2
	v_pk_fma_f16 v8, v145, v133, v8
	v_pk_fma_f16 v3, v145, v210, v3
	v_pk_fma_f16 v0, v142, v210, v0
	;; [unrolled: 12-line block ×4, first 2 shown]
	s_wait_dscnt 0x3
	v_lshrrev_b32_e32 v215, 16, v170
	v_and_b32_e32 v170, 0xffff, v170
	v_mul_u32_u24_e32 v169, 0x10001, v169
	v_pk_fma_f16 v5, v155, v168, v5
	v_pk_fma_f16 v4, v154, v168, v4
	v_mul_u32_u24_e32 v214, 0x10001, v214
	v_pk_fma_f16 v1, v155, v213, v1
	v_pk_fma_f16 v9, v156, v168, v9
	v_pk_fma_f16 v2, v156, v213, v2
	v_pk_fma_f16 v8, v157, v168, v8
	v_pk_fma_f16 v3, v157, v213, v3
	v_pk_fma_f16 v0, v154, v213, v0
	v_lshrrev_b32_e32 v216, 16, v171
	v_and_b32_e32 v171, 0xffff, v171
	v_mul_u32_u24_e32 v170, 0x10001, v170
	v_pk_fma_f16 v5, v159, v169, v5
	v_pk_fma_f16 v4, v158, v169, v4
	v_mul_u32_u24_e32 v215, 0x10001, v215
	v_pk_fma_f16 v1, v159, v214, v1
	v_pk_fma_f16 v9, v160, v169, v9
	v_pk_fma_f16 v2, v160, v214, v2
	v_pk_fma_f16 v8, v161, v169, v8
	v_pk_fma_f16 v3, v161, v214, v3
	v_pk_fma_f16 v0, v158, v214, v0
	;; [unrolled: 12-line block ×3, first 2 shown]
	v_lshrrev_b32_e32 v218, 16, v173
	v_and_b32_e32 v173, 0xffff, v173
	v_mul_u32_u24_e32 v172, 0x10001, v172
	s_wait_dscnt 0x2
	v_pk_fma_f16 v5, v175, v171, v5
	v_pk_fma_f16 v4, v174, v171, v4
	v_mul_u32_u24_e32 v217, 0x10001, v217
	v_pk_fma_f16 v1, v175, v216, v1
	v_pk_fma_f16 v9, v176, v171, v9
	;; [unrolled: 1-line block ×6, first 2 shown]
	v_mul_u32_u24_e32 v173, 0x10001, v173
	s_wait_dscnt 0x1
	v_pk_fma_f16 v5, v179, v172, v5
	v_pk_fma_f16 v4, v178, v172, v4
	v_mul_u32_u24_e32 v218, 0x10001, v218
	v_pk_fma_f16 v1, v179, v217, v1
	v_pk_fma_f16 v9, v180, v172, v9
	;; [unrolled: 1-line block ×6, first 2 shown]
	s_wait_dscnt 0x0
	v_pk_fma_f16 v54, v183, v173, v5
	v_pk_fma_f16 v47, v182, v173, v4
	v_mov_b32_e32 v4, v6
	v_pk_fma_f16 v50, v183, v218, v1
	v_pk_fma_f16 v52, v184, v173, v9
	;; [unrolled: 1-line block ×6, first 2 shown]
	v_mov_b32_e32 v5, v7
	s_wait_loadcnt 0x0
	s_barrier_signal -1
	s_barrier_wait -1
	global_inv scope:SCOPE_SE
.LBB49_30:
	v_cmp_lt_i32_e32 vcc_lo, v15, v18
	s_cmp_eq_u64 s[12:13], 0
	s_cselect_b32 s2, -1, 0
	s_cmp_lg_u32 s14, 0
	s_wait_alu 0xfffd
	v_cndmask_b32_e32 v0, v44, v15, vcc_lo
	v_cmp_lt_i32_e32 vcc_lo, v14, v18
	s_cselect_b32 s3, -1, 0
	s_wait_alu 0xfffe
	s_or_b32 s2, s3, s2
	v_lshlrev_b32_e32 v0, 2, v0
	s_wait_alu 0xfffd
	v_cndmask_b32_e32 v2, v44, v14, vcc_lo
	v_cmp_lt_i32_e32 vcc_lo, v16, v18
	ds_bpermute_b32 v1, v0, v61
	v_lshlrev_b32_e32 v2, 2, v2
	s_wait_alu 0xfffd
	v_cndmask_b32_e32 v6, v44, v16, vcc_lo
	v_cmp_lt_i32_e32 vcc_lo, v17, v18
	s_wait_dscnt 0x0
	s_delay_alu instid0(VALU_DEP_2)
	v_dual_add_f32 v1, v61, v1 :: v_dual_lshlrev_b32 v6, 2, v6
	ds_bpermute_b32 v3, v2, v1
	s_wait_dscnt 0x0
	v_add_f32_e32 v1, v1, v3
	ds_bpermute_b32 v0, v0, v60
	s_wait_dscnt 0x0
	v_add_f32_e32 v0, v60, v0
	;; [unrolled: 3-line block ×3, first 2 shown]
	ds_bpermute_b32 v2, v6, v1
	ds_bpermute_b32 v3, v6, v0
	s_wait_alu 0xfffd
	v_cndmask_b32_e32 v6, v44, v17, vcc_lo
	v_cmp_lt_i32_e32 vcc_lo, v19, v18
	s_delay_alu instid0(VALU_DEP_2)
	v_lshlrev_b32_e32 v6, 2, v6
	s_wait_dscnt 0x0
	v_dual_add_f32 v1, v1, v2 :: v_dual_add_f32 v0, v0, v3
	ds_bpermute_b32 v2, v6, v1
	ds_bpermute_b32 v3, v6, v0
	s_wait_alu 0xfffd
	v_cndmask_b32_e32 v6, v44, v19, vcc_lo
	s_wait_alu 0xfffe
	s_and_b32 vcc_lo, exec_lo, s2
	s_delay_alu instid0(VALU_DEP_1)
	v_lshlrev_b32_e32 v6, 2, v6
	s_wait_dscnt 0x0
	v_dual_add_f32 v1, v1, v2 :: v_dual_add_f32 v2, v0, v3
	ds_bpermute_b32 v0, v6, v1
	ds_bpermute_b32 v3, v6, v2
	s_wait_dscnt 0x0
	v_dual_add_f32 v0, v1, v0 :: v_dual_add_f32 v1, v2, v3
	s_wait_alu 0xfffe
	s_cbranch_vccnz .LBB49_33
; %bb.31:
	v_dual_mov_b32 v2, 0 :: v_dual_max_num_f32 v3, v4, v4
	s_lshl_b64 s[2:3], s[34:35], 2
	v_max_num_f32_e32 v8, v5, v5
	s_wait_alu 0xfffe
	s_add_nc_u64 s[2:3], s[12:13], s[2:3]
	global_load_b32 v2, v2, s[2:3]
	s_wait_loadcnt 0x0
	v_max_num_f32_e32 v7, v2, v2
	s_delay_alu instid0(VALU_DEP_1) | instskip(SKIP_1) | instid1(VALU_DEP_2)
	v_max_num_f32_e32 v6, v3, v7
	v_max_num_f32_e32 v7, v8, v7
	v_sub_f32_e32 v3, v4, v6
	v_sub_f32_e32 v4, v2, v6
	s_delay_alu instid0(VALU_DEP_3) | instskip(NEXT) | instid1(VALU_DEP_2)
	v_sub_f32_e32 v8, v2, v7
	v_dual_mul_f32 v2, 0x3fb8aa3b, v3 :: v_dual_mul_f32 v9, 0x3fb8aa3b, v4
	s_delay_alu instid0(VALU_DEP_2) | instskip(SKIP_1) | instid1(VALU_DEP_3)
	v_mul_f32_e32 v11, 0x3fb8aa3b, v8
	v_cmp_ngt_f32_e32 vcc_lo, 0xc2ce8ed0, v3
	v_fma_f32 v12, 0x3fb8aa3b, v3, -v2
	v_rndne_f32_e32 v13, v2
	v_sub_f32_e32 v5, v5, v7
	v_fma_f32 v14, 0x3fb8aa3b, v4, -v9
	v_rndne_f32_e32 v15, v9
	v_rndne_f32_e32 v19, v11
	v_fma_f32 v18, 0x3fb8aa3b, v8, -v11
	v_sub_f32_e32 v2, v2, v13
	s_delay_alu instid0(VALU_DEP_4) | instskip(NEXT) | instid1(VALU_DEP_4)
	v_dual_mul_f32 v10, 0x3fb8aa3b, v5 :: v_dual_sub_f32 v9, v9, v15
	v_dual_fmac_f32 v14, 0x32a5705f, v4 :: v_dual_sub_f32 v11, v11, v19
	v_fmac_f32_e32 v12, 0x32a5705f, v3
	s_delay_alu instid0(VALU_DEP_3) | instskip(SKIP_1) | instid1(VALU_DEP_3)
	v_fma_f32 v16, 0x3fb8aa3b, v5, -v10
	v_rndne_f32_e32 v17, v10
	v_dual_add_f32 v9, v9, v14 :: v_dual_add_f32 v2, v2, v12
	v_cvt_i32_f32_e32 v12, v13
	v_cvt_i32_f32_e32 v13, v15
	s_delay_alu instid0(VALU_DEP_3) | instskip(SKIP_3) | instid1(TRANS32_DEP_2)
	v_exp_f32_e32 v9, v9
	v_cvt_i32_f32_e32 v15, v19
	v_exp_f32_e32 v2, v2
	v_cvt_i32_f32_e32 v14, v17
	v_ldexp_f32 v9, v9, v13
	s_delay_alu instid0(TRANS32_DEP_1) | instskip(SKIP_1) | instid1(VALU_DEP_1)
	v_ldexp_f32 v2, v2, v12
	s_wait_alu 0xfffd
	v_cndmask_b32_e32 v2, 0, v2, vcc_lo
	v_cmp_ngt_f32_e32 vcc_lo, 0xc2ce8ed0, v4
	s_wait_alu 0xfffd
	v_dual_fmac_f32 v18, 0x32a5705f, v8 :: v_dual_cndmask_b32 v9, 0, v9
	s_delay_alu instid0(VALU_DEP_1) | instskip(SKIP_1) | instid1(VALU_DEP_2)
	v_dual_fmac_f32 v16, 0x32a5705f, v5 :: v_dual_add_f32 v11, v11, v18
	v_cmp_ngt_f32_e32 vcc_lo, 0xc2ce8ed0, v5
	v_exp_f32_e32 v11, v11
	s_delay_alu instid0(TRANS32_DEP_1) | instskip(SKIP_1) | instid1(VALU_DEP_1)
	v_ldexp_f32 v11, v11, v15
	v_sub_f32_e32 v10, v10, v17
	v_add_f32_e32 v10, v10, v16
	s_delay_alu instid0(VALU_DEP_1) | instskip(NEXT) | instid1(TRANS32_DEP_1)
	v_exp_f32_e32 v10, v10
	v_ldexp_f32 v10, v10, v14
	s_wait_alu 0xfffd
	s_delay_alu instid0(VALU_DEP_1)
	v_cndmask_b32_e32 v10, 0, v10, vcc_lo
	v_cmp_nlt_f32_e32 vcc_lo, 0x42b17218, v3
	s_wait_alu 0xfffd
	v_cndmask_b32_e32 v12, 0x7f800000, v2, vcc_lo
	v_cmp_ngt_f32_e32 vcc_lo, 0xc2ce8ed0, v8
	s_wait_alu 0xfffd
	v_cndmask_b32_e32 v3, 0, v11, vcc_lo
	v_cmp_nlt_f32_e32 vcc_lo, 0x42b17218, v5
	s_wait_alu 0xfffd
	v_cndmask_b32_e32 v5, 0x7f800000, v10, vcc_lo
	v_cmp_nlt_f32_e32 vcc_lo, 0x42b17218, v4
	v_cvt_f16_f32_e32 v10, v12
	s_delay_alu instid0(VALU_DEP_3)
	v_cvt_f16_f32_e32 v4, v5
	s_wait_alu 0xfffd
	v_cndmask_b32_e32 v2, 0x7f800000, v9, vcc_lo
	v_cmp_nlt_f32_e32 vcc_lo, 0x42b17218, v8
	v_and_b32_e32 v8, 0xffff, v10
	v_and_b32_e32 v4, 0xffff, v4
	s_wait_alu 0xfffd
	v_cndmask_b32_e32 v3, 0x7f800000, v3, vcc_lo
	s_delay_alu instid0(VALU_DEP_2) | instskip(NEXT) | instid1(VALU_DEP_2)
	v_mul_u32_u24_e32 v4, 0x10001, v4
	v_fmac_f32_e32 v3, v1, v5
	v_mul_u32_u24_e32 v5, 0x10001, v8
	s_delay_alu instid0(VALU_DEP_3) | instskip(SKIP_2) | instid1(VALU_DEP_4)
	v_pk_mul_f16 v46, v46, v4
	v_pk_mul_f16 v50, v50, v4
	;; [unrolled: 1-line block ×8, first 2 shown]
	v_dual_mov_b32 v4, v6 :: v_dual_mov_b32 v5, v7
	v_fmac_f32_e32 v2, v0, v12
	s_delay_alu instid0(VALU_DEP_1)
	v_dual_mov_b32 v0, v2 :: v_dual_mov_b32 v1, v3
	s_mov_b32 s2, exec_lo
	v_cmpx_gt_i32_e64 s22, v42
	s_cbranch_execnz .LBB49_34
.LBB49_32:
	s_nop 0
	s_sendmsg sendmsg(MSG_DEALLOC_VGPRS)
	s_endpgm
.LBB49_33:
	s_delay_alu instid0(VALU_DEP_1)
	v_dual_mov_b32 v2, v0 :: v_dual_mov_b32 v3, v1
	s_mov_b32 s2, exec_lo
	v_cmpx_gt_i32_e64 s22, v42
	s_cbranch_execz .LBB49_32
.LBB49_34:
	s_load_b32 s1, s[0:1], 0xd4
	v_mov_b32_e32 v8, 1.0
	s_wait_kmcnt 0x0
	s_cmp_lg_u32 s1, 1
	s_cselect_b32 s4, -1, 0
	s_cmp_eq_u32 s1, 1
	s_cselect_b32 s2, -1, 0
	s_wait_alu 0xfffe
	s_and_b32 vcc_lo, exec_lo, s4
	s_wait_alu 0xfffe
	s_cbranch_vccnz .LBB49_36
; %bb.35:
	v_div_scale_f32 v6, null, v2, v2, 1.0
	s_delay_alu instid0(VALU_DEP_1) | instskip(NEXT) | instid1(TRANS32_DEP_1)
	v_rcp_f32_e32 v7, v6
	v_fma_f32 v8, -v6, v7, 1.0
	s_delay_alu instid0(VALU_DEP_1) | instskip(SKIP_1) | instid1(VALU_DEP_1)
	v_fmac_f32_e32 v7, v8, v7
	v_div_scale_f32 v8, vcc_lo, 1.0, v2, 1.0
	v_mul_f32_e32 v9, v8, v7
	s_delay_alu instid0(VALU_DEP_1) | instskip(NEXT) | instid1(VALU_DEP_1)
	v_fma_f32 v10, -v6, v9, v8
	v_fmac_f32_e32 v9, v10, v7
	s_delay_alu instid0(VALU_DEP_1) | instskip(SKIP_1) | instid1(VALU_DEP_1)
	v_fma_f32 v6, -v6, v9, v8
	s_wait_alu 0xfffd
	v_div_fmas_f32 v6, v6, v7, v9
	s_delay_alu instid0(VALU_DEP_1)
	v_div_fixup_f32 v8, v6, v2, 1.0
.LBB49_36:
	s_mul_i32 s3, s36, s22
	v_cvt_f32_f16_e32 v9, v54
	s_wait_alu 0xfffe
	s_add_co_i32 s3, s3, s33
	v_lshrrev_b32_e32 v10, 16, v47
	s_wait_alu 0xfffe
	v_add_nc_u32_e32 v2, s3, v40
	v_cvt_f32_f16_e32 v12, v47
	v_dual_mul_f32 v11, v8, v9 :: v_dual_mov_b32 v18, 0
	v_lshrrev_b32_e32 v13, 16, v53
	s_delay_alu instid0(VALU_DEP_4)
	v_mad_co_u64_u32 v[6:7], null, v2, s23, s[34:35]
	v_lshrrev_b32_e32 v2, 16, v54
	v_lshrrev_b32_e32 v14, 16, v52
	v_cvt_f32_f16_e32 v16, v52
	v_cvt_f32_f16_e32 v10, v10
	v_mul_f32_e32 v9, v8, v12
	v_cvt_f32_f16_e32 v2, v2
	v_mad_co_u64_u32 v[6:7], null, s1, v6, s[14:15]
	v_cvt_f32_f16_e32 v7, v53
	v_cvt_f32_f16_e32 v21, v13
	v_mul_f32_e32 v13, v8, v16
	v_mul_f32_e32 v10, v8, v10
	v_cmp_eq_u32_e32 vcc_lo, 0, v43
	v_mul_f32_e32 v15, v8, v7
	v_lshl_add_u32 v17, v6, 8, v41
	v_cvt_f32_f16_e32 v7, v14
	v_mul_f32_e32 v16, v8, v21
	v_mul_f32_e32 v12, v8, v2
	s_delay_alu instid0(VALU_DEP_4) | instskip(NEXT) | instid1(VALU_DEP_4)
	v_lshlrev_b64_e32 v[19:20], 2, v[17:18]
	v_dual_mul_f32 v14, v8, v7 :: v_dual_add_nc_u32 v17, 0x80, v17
	s_delay_alu instid0(VALU_DEP_1) | instskip(NEXT) | instid1(VALU_DEP_3)
	v_lshlrev_b64_e32 v[7:8], 2, v[17:18]
	v_add_co_u32 v17, s0, s16, v19
	s_wait_alu 0xf1ff
	s_delay_alu instid0(VALU_DEP_4) | instskip(NEXT) | instid1(VALU_DEP_3)
	v_add_co_ci_u32_e64 v18, null, s17, v20, s0
	v_add_co_u32 v7, s0, s16, v7
	s_wait_alu 0xf1ff
	v_add_co_ci_u32_e64 v8, null, s17, v8, s0
	s_and_b32 s0, vcc_lo, s4
	s_clause 0x1
	global_store_b128 v[17:18], v[9:12], off
	global_store_b128 v[7:8], v[13:16], off
	s_wait_alu 0xfffe
	s_and_saveexec_b32 s4, s0
	s_cbranch_execz .LBB49_38
; %bb.37:
	v_ashrrev_i32_e32 v7, 31, v6
	v_dual_mov_b32 v8, v4 :: v_dual_mov_b32 v9, v0
	s_delay_alu instid0(VALU_DEP_2) | instskip(NEXT) | instid1(VALU_DEP_1)
	v_lshlrev_b64_e32 v[6:7], 3, v[6:7]
	v_add_co_u32 v6, vcc_lo, s18, v6
	s_wait_alu 0xfffd
	s_delay_alu instid0(VALU_DEP_2)
	v_add_co_ci_u32_e64 v7, null, s19, v7, vcc_lo
	global_store_b64 v[6:7], v[8:9], off
.LBB49_38:
	s_wait_alu 0xfffe
	s_or_b32 exec_lo, exec_lo, s4
	v_cmp_gt_i32_e32 vcc_lo, s22, v39
	s_and_b32 exec_lo, exec_lo, vcc_lo
	s_cbranch_execz .LBB49_32
; %bb.39:
	v_mov_b32_e32 v0, 1.0
	s_and_not1_b32 vcc_lo, exec_lo, s2
	s_wait_alu 0xfffe
	s_cbranch_vccnz .LBB49_41
; %bb.40:
	v_div_scale_f32 v0, null, v3, v3, 1.0
	s_delay_alu instid0(VALU_DEP_1) | instskip(NEXT) | instid1(TRANS32_DEP_1)
	v_rcp_f32_e32 v2, v0
	v_fma_f32 v4, -v0, v2, 1.0
	s_delay_alu instid0(VALU_DEP_1) | instskip(SKIP_1) | instid1(VALU_DEP_1)
	v_fmac_f32_e32 v2, v4, v2
	v_div_scale_f32 v4, vcc_lo, 1.0, v3, 1.0
	v_mul_f32_e32 v6, v4, v2
	s_delay_alu instid0(VALU_DEP_1) | instskip(NEXT) | instid1(VALU_DEP_1)
	v_fma_f32 v7, -v0, v6, v4
	v_fmac_f32_e32 v6, v7, v2
	s_delay_alu instid0(VALU_DEP_1) | instskip(SKIP_1) | instid1(VALU_DEP_1)
	v_fma_f32 v0, -v0, v6, v4
	s_wait_alu 0xfffd
	v_div_fmas_f32 v0, v0, v2, v6
	s_delay_alu instid0(VALU_DEP_1)
	v_div_fixup_f32 v0, v0, v3, 1.0
.LBB49_41:
	v_lshrrev_b32_e32 v6, 16, v50
	v_cvt_f32_f16_e32 v7, v50
	v_lshrrev_b32_e32 v9, 16, v46
	v_cvt_f32_f16_e32 v10, v46
	v_cvt_f32_f16_e32 v14, v49
	;; [unrolled: 1-line block ×3, first 2 shown]
	v_add_nc_u32_e32 v2, s3, v38
	v_mul_f32_e32 v8, v0, v7
	v_cvt_f32_f16_e32 v7, v9
	v_mul_f32_e32 v6, v0, v10
	v_mul_f32_e32 v9, v0, v16
	v_mad_co_u64_u32 v[2:3], null, v2, s23, s[34:35]
	v_mul_f32_e32 v10, v0, v14
	v_lshrrev_b32_e32 v11, 16, v48
	v_lshrrev_b32_e32 v13, 16, v49
	v_cvt_f32_f16_e32 v12, v48
	v_mul_f32_e32 v7, v0, v7
	v_mad_co_u64_u32 v[2:3], null, s1, v2, s[14:15]
	v_cvt_f32_f16_e32 v11, v11
	v_cvt_f32_f16_e32 v17, v13
	v_mul_f32_e32 v12, v0, v12
	s_delay_alu instid0(VALU_DEP_3) | instskip(SKIP_1) | instid1(VALU_DEP_4)
	v_mul_f32_e32 v13, v0, v11
	v_lshl_add_u32 v3, v2, 8, v41
	v_dual_mov_b32 v4, 0 :: v_dual_mul_f32 v11, v0, v17
	s_delay_alu instid0(VALU_DEP_1) | instskip(SKIP_1) | instid1(VALU_DEP_1)
	v_lshlrev_b64_e32 v[14:15], 2, v[3:4]
	v_add_nc_u32_e32 v3, 0x80, v3
	v_lshlrev_b64_e32 v[3:4], 2, v[3:4]
	s_delay_alu instid0(VALU_DEP_3) | instskip(SKIP_1) | instid1(VALU_DEP_4)
	v_add_co_u32 v14, vcc_lo, s16, v14
	s_wait_alu 0xfffd
	v_add_co_ci_u32_e64 v15, null, s17, v15, vcc_lo
	s_delay_alu instid0(VALU_DEP_3)
	v_add_co_u32 v3, vcc_lo, s16, v3
	s_wait_alu 0xfffd
	v_add_co_ci_u32_e64 v4, null, s17, v4, vcc_lo
	s_clause 0x1
	global_store_b128 v[14:15], v[6:9], off
	global_store_b128 v[3:4], v[10:13], off
	s_and_b32 exec_lo, exec_lo, s0
	s_cbranch_execz .LBB49_32
; %bb.42:
	v_ashrrev_i32_e32 v3, 31, v2
	v_mov_b32_e32 v0, v5
	s_delay_alu instid0(VALU_DEP_2) | instskip(NEXT) | instid1(VALU_DEP_1)
	v_lshlrev_b64_e32 v[2:3], 3, v[2:3]
	v_add_co_u32 v2, vcc_lo, s18, v2
	s_wait_alu 0xfffd
	s_delay_alu instid0(VALU_DEP_2)
	v_add_co_ci_u32_e64 v3, null, s19, v3, vcc_lo
	global_store_b64 v[2:3], v[0:1], off
	s_nop 0
	s_sendmsg sendmsg(MSG_DEALLOC_VGPRS)
	s_endpgm
	.section	.rodata,"a",@progbits
	.p2align	6, 0x0
	.amdhsa_kernel _ZL15flash_attn_tileILi256ELi256ELi8ELi1ELb0EEvPKcS1_S1_S1_S1_PKiPfP15HIP_vector_typeIfLj2EEffffjfiS5_IjLj3EEiiiiiiiiiiiliiliiiiil
		.amdhsa_group_segment_fixed_size 21504
		.amdhsa_private_segment_fixed_size 32
		.amdhsa_kernarg_size 464
		.amdhsa_user_sgpr_count 2
		.amdhsa_user_sgpr_dispatch_ptr 0
		.amdhsa_user_sgpr_queue_ptr 0
		.amdhsa_user_sgpr_kernarg_segment_ptr 1
		.amdhsa_user_sgpr_dispatch_id 0
		.amdhsa_user_sgpr_private_segment_size 0
		.amdhsa_wavefront_size32 1
		.amdhsa_uses_dynamic_stack 0
		.amdhsa_enable_private_segment 1
		.amdhsa_system_sgpr_workgroup_id_x 1
		.amdhsa_system_sgpr_workgroup_id_y 1
		.amdhsa_system_sgpr_workgroup_id_z 1
		.amdhsa_system_sgpr_workgroup_info 0
		.amdhsa_system_vgpr_workitem_id 1
		.amdhsa_next_free_vgpr 225
		.amdhsa_next_free_sgpr 47
		.amdhsa_reserve_vcc 1
		.amdhsa_float_round_mode_32 0
		.amdhsa_float_round_mode_16_64 0
		.amdhsa_float_denorm_mode_32 3
		.amdhsa_float_denorm_mode_16_64 3
		.amdhsa_fp16_overflow 0
		.amdhsa_workgroup_processor_mode 1
		.amdhsa_memory_ordered 1
		.amdhsa_forward_progress 1
		.amdhsa_inst_pref_size 162
		.amdhsa_round_robin_scheduling 0
		.amdhsa_exception_fp_ieee_invalid_op 0
		.amdhsa_exception_fp_denorm_src 0
		.amdhsa_exception_fp_ieee_div_zero 0
		.amdhsa_exception_fp_ieee_overflow 0
		.amdhsa_exception_fp_ieee_underflow 0
		.amdhsa_exception_fp_ieee_inexact 0
		.amdhsa_exception_int_div_zero 0
	.end_amdhsa_kernel
	.section	.text._ZL15flash_attn_tileILi256ELi256ELi8ELi1ELb0EEvPKcS1_S1_S1_S1_PKiPfP15HIP_vector_typeIfLj2EEffffjfiS5_IjLj3EEiiiiiiiiiiiliiliiiiil,"axG",@progbits,_ZL15flash_attn_tileILi256ELi256ELi8ELi1ELb0EEvPKcS1_S1_S1_S1_PKiPfP15HIP_vector_typeIfLj2EEffffjfiS5_IjLj3EEiiiiiiiiiiiliiliiiiil,comdat
.Lfunc_end49:
	.size	_ZL15flash_attn_tileILi256ELi256ELi8ELi1ELb0EEvPKcS1_S1_S1_S1_PKiPfP15HIP_vector_typeIfLj2EEffffjfiS5_IjLj3EEiiiiiiiiiiiliiliiiiil, .Lfunc_end49-_ZL15flash_attn_tileILi256ELi256ELi8ELi1ELb0EEvPKcS1_S1_S1_S1_PKiPfP15HIP_vector_typeIfLj2EEffffjfiS5_IjLj3EEiiiiiiiiiiiliiliiiiil
                                        ; -- End function
	.set _ZL15flash_attn_tileILi256ELi256ELi8ELi1ELb0EEvPKcS1_S1_S1_S1_PKiPfP15HIP_vector_typeIfLj2EEffffjfiS5_IjLj3EEiiiiiiiiiiiliiliiiiil.num_vgpr, 225
	.set _ZL15flash_attn_tileILi256ELi256ELi8ELi1ELb0EEvPKcS1_S1_S1_S1_PKiPfP15HIP_vector_typeIfLj2EEffffjfiS5_IjLj3EEiiiiiiiiiiiliiliiiiil.num_agpr, 0
	.set _ZL15flash_attn_tileILi256ELi256ELi8ELi1ELb0EEvPKcS1_S1_S1_S1_PKiPfP15HIP_vector_typeIfLj2EEffffjfiS5_IjLj3EEiiiiiiiiiiiliiliiiiil.numbered_sgpr, 47
	.set _ZL15flash_attn_tileILi256ELi256ELi8ELi1ELb0EEvPKcS1_S1_S1_S1_PKiPfP15HIP_vector_typeIfLj2EEffffjfiS5_IjLj3EEiiiiiiiiiiiliiliiiiil.num_named_barrier, 0
	.set _ZL15flash_attn_tileILi256ELi256ELi8ELi1ELb0EEvPKcS1_S1_S1_S1_PKiPfP15HIP_vector_typeIfLj2EEffffjfiS5_IjLj3EEiiiiiiiiiiiliiliiiiil.private_seg_size, 32
	.set _ZL15flash_attn_tileILi256ELi256ELi8ELi1ELb0EEvPKcS1_S1_S1_S1_PKiPfP15HIP_vector_typeIfLj2EEffffjfiS5_IjLj3EEiiiiiiiiiiiliiliiiiil.uses_vcc, 1
	.set _ZL15flash_attn_tileILi256ELi256ELi8ELi1ELb0EEvPKcS1_S1_S1_S1_PKiPfP15HIP_vector_typeIfLj2EEffffjfiS5_IjLj3EEiiiiiiiiiiiliiliiiiil.uses_flat_scratch, 1
	.set _ZL15flash_attn_tileILi256ELi256ELi8ELi1ELb0EEvPKcS1_S1_S1_S1_PKiPfP15HIP_vector_typeIfLj2EEffffjfiS5_IjLj3EEiiiiiiiiiiiliiliiiiil.has_dyn_sized_stack, 0
	.set _ZL15flash_attn_tileILi256ELi256ELi8ELi1ELb0EEvPKcS1_S1_S1_S1_PKiPfP15HIP_vector_typeIfLj2EEffffjfiS5_IjLj3EEiiiiiiiiiiiliiliiiiil.has_recursion, 0
	.set _ZL15flash_attn_tileILi256ELi256ELi8ELi1ELb0EEvPKcS1_S1_S1_S1_PKiPfP15HIP_vector_typeIfLj2EEffffjfiS5_IjLj3EEiiiiiiiiiiiliiliiiiil.has_indirect_call, 0
	.section	.AMDGPU.csdata,"",@progbits
; Kernel info:
; codeLenInByte = 20676
; TotalNumSgprs: 49
; NumVgprs: 225
; ScratchSize: 32
; MemoryBound: 0
; FloatMode: 240
; IeeeMode: 1
; LDSByteSize: 21504 bytes/workgroup (compile time only)
; SGPRBlocks: 0
; VGPRBlocks: 28
; NumSGPRsForWavesPerEU: 49
; NumVGPRsForWavesPerEU: 225
; Occupancy: 6
; WaveLimiterHint : 1
; COMPUTE_PGM_RSRC2:SCRATCH_EN: 1
; COMPUTE_PGM_RSRC2:USER_SGPR: 2
; COMPUTE_PGM_RSRC2:TRAP_HANDLER: 0
; COMPUTE_PGM_RSRC2:TGID_X_EN: 1
; COMPUTE_PGM_RSRC2:TGID_Y_EN: 1
; COMPUTE_PGM_RSRC2:TGID_Z_EN: 1
; COMPUTE_PGM_RSRC2:TIDIG_COMP_CNT: 1
	.section	.text._ZL33flash_attn_stream_k_fixup_uniformILi256ELi8ELi1EEvPfPK15HIP_vector_typeIfLj2EEiiiiiiS1_IjLj3EES5_S5_,"axG",@progbits,_ZL33flash_attn_stream_k_fixup_uniformILi256ELi8ELi1EEvPfPK15HIP_vector_typeIfLj2EEiiiiiiS1_IjLj3EES5_S5_,comdat
	.globl	_ZL33flash_attn_stream_k_fixup_uniformILi256ELi8ELi1EEvPfPK15HIP_vector_typeIfLj2EEiiiiiiS1_IjLj3EES5_S5_ ; -- Begin function _ZL33flash_attn_stream_k_fixup_uniformILi256ELi8ELi1EEvPfPK15HIP_vector_typeIfLj2EEiiiiiiS1_IjLj3EES5_S5_
	.p2align	8
	.type	_ZL33flash_attn_stream_k_fixup_uniformILi256ELi8ELi1EEvPfPK15HIP_vector_typeIfLj2EEiiiiiiS1_IjLj3EES5_S5_,@function
_ZL33flash_attn_stream_k_fixup_uniformILi256ELi8ELi1EEvPfPK15HIP_vector_typeIfLj2EEiiiiiiS1_IjLj3EES5_S5_: ; @_ZL33flash_attn_stream_k_fixup_uniformILi256ELi8ELi1EEvPfPK15HIP_vector_typeIfLj2EEiiiiiiS1_IjLj3EES5_S5_
; %bb.0:
	s_clause 0x1
	s_load_b256 s[4:11], s[0:1], 0x1c
	s_load_b128 s[12:15], s[0:1], 0x3c
	s_wait_kmcnt 0x0
	s_mul_hi_u32 s2, s7, ttmp9
	s_delay_alu instid0(SALU_CYCLE_1) | instskip(NEXT) | instid1(SALU_CYCLE_1)
	s_add_co_i32 s2, ttmp9, s2
	s_lshr_b32 s2, s2, s8
	s_delay_alu instid0(SALU_CYCLE_1) | instskip(SKIP_2) | instid1(SALU_CYCLE_1)
	s_mul_i32 s3, s2, s9
	s_load_b64 s[8:9], s[0:1], 0x10
	s_sub_co_i32 s7, ttmp9, s3
	s_mul_hi_u32 s3, s7, s10
	s_delay_alu instid0(SALU_CYCLE_1) | instskip(NEXT) | instid1(SALU_CYCLE_1)
	s_add_co_i32 s3, s7, s3
	s_lshr_b32 s3, s3, s11
	s_delay_alu instid0(SALU_CYCLE_1) | instskip(NEXT) | instid1(SALU_CYCLE_1)
	s_mul_i32 s10, s3, s12
	s_sub_co_i32 s7, s7, s10
	s_delay_alu instid0(SALU_CYCLE_1) | instskip(NEXT) | instid1(SALU_CYCLE_1)
	s_mul_hi_u32 s10, s7, s13
	s_add_co_i32 s10, s7, s10
	s_delay_alu instid0(SALU_CYCLE_1) | instskip(NEXT) | instid1(SALU_CYCLE_1)
	s_lshr_b32 s11, s10, s14
	s_mul_i32 s10, s11, s15
	s_delay_alu instid0(SALU_CYCLE_1) | instskip(SKIP_2) | instid1(SALU_CYCLE_1)
	s_sub_co_i32 s12, s7, s10
	s_and_b32 s7, ttmp7, 0xffff
	s_lshl_b32 s10, s12, 3
	s_add_co_i32 s13, s10, s7
	s_lshr_b32 s10, ttmp7, 16
	s_wait_kmcnt 0x0
	s_cmp_lt_i32 s13, s8
	s_cselect_b32 s13, -1, 0
	s_add_co_i32 s14, s11, s10
	s_delay_alu instid0(SALU_CYCLE_1) | instskip(SKIP_1) | instid1(SALU_CYCLE_1)
	s_cmp_lt_i32 s14, s5
	s_cselect_b32 s14, -1, 0
	s_and_b32 s13, s13, s14
	s_delay_alu instid0(SALU_CYCLE_1)
	s_and_not1_b32 vcc_lo, exec_lo, s13
	s_cbranch_vccnz .LBB50_6
; %bb.1:
	s_mul_i32 s2, s2, s8
	s_mul_i32 s5, s3, s5
	s_add_co_i32 s2, s2, s7
	s_delay_alu instid0(SALU_CYCLE_1) | instskip(NEXT) | instid1(SALU_CYCLE_1)
	s_mul_i32 s2, s2, s9
	s_add_co_i32 s8, s2, s10
	s_load_b128 s[0:3], s[0:1], 0x0
	s_add_co_i32 s5, s8, s5
	s_mul_i32 s8, s9, s12
	s_add_co_i32 s5, s5, s11
	s_lshl_b32 s8, s8, 11
	s_lshl_b32 s5, s5, 8
	s_add_co_i32 s9, s7, s10
	s_add_co_i32 s8, s8, s5
	s_delay_alu instid0(SALU_CYCLE_1) | instskip(SKIP_3) | instid1(SALU_CYCLE_1)
	v_or_b32_e32 v1, s8, v0
	s_mul_i32 s8, s6, ttmp9
	s_wait_alu 0xfffe
	s_add_co_i32 s5, s8, s6
	s_add_co_i32 s7, s5, -2
	v_ashrrev_i32_e32 v2, 31, v1
	s_delay_alu instid0(VALU_DEP_1) | instskip(SKIP_1) | instid1(VALU_DEP_1)
	v_lshlrev_b64_e32 v[1:2], 2, v[1:2]
	s_wait_kmcnt 0x0
	v_add_co_u32 v1, vcc_lo, s0, v1
	s_delay_alu instid0(VALU_DEP_1)
	v_add_co_ci_u32_e64 v2, null, s1, v2, vcc_lo
	s_lshl_b32 s0, s5, 3
	s_wait_alu 0xfffe
	s_add_co_i32 s0, s9, s0
	global_load_b32 v5, v[1:2], off
	s_wait_alu 0xfffe
	s_add_co_i32 s0, s0, -8
	s_wait_alu 0xfffe
	s_ashr_i32 s1, s0, 31
	s_wait_alu 0xfffe
	s_lshl_b64 s[0:1], s[0:1], 3
	s_cmp_lt_i32 s7, s8
	s_wait_alu 0xfffe
	s_add_nc_u64 s[0:1], s[2:3], s[0:1]
	s_load_b32 s10, s[0:1], 0x4
	s_cbranch_scc1 .LBB50_4
; %bb.2:
	s_load_b32 s0, s[0:1], 0x0
	s_add_co_i32 s7, ttmp9, 1
	s_wait_kmcnt 0x0
	v_mov_b32_e32 v6, s10
	s_mul_i32 s1, s6, s7
	s_lshl_b32 s7, s9, 8
	s_wait_alu 0xfffe
	s_lshl_b32 s11, s1, 11
	s_lshl_b32 s6, s4, 5
	s_wait_alu 0xfffe
	s_add_co_i32 s11, s7, s11
	s_lshl_b32 s1, s1, 3
	s_wait_alu 0xfffe
	v_or_b32_e32 v0, s11, v0
	s_ashr_i32 s7, s6, 31
	s_add_co_i32 s1, s9, s1
	s_lshl_b32 s4, s4, 3
	s_lshl_b64 s[6:7], s[6:7], 2
	v_add_nc_u32_e32 v3, 0xfffff000, v0
	s_wait_alu 0xfffe
	s_add_co_i32 s4, s1, s4
	s_add_nc_u64 s[6:7], s[2:3], s[6:7]
	s_add_co_i32 s1, s5, -1
	s_add_co_i32 s4, s4, -16
.LBB50_3:                               ; =>This Inner Loop Header: Depth=1
	v_ashrrev_i32_e32 v4, 31, v3
	s_ashr_i32 s5, s4, 31
	v_mov_b32_e32 v10, v6
	s_lshl_b64 s[10:11], s[4:5], 3
	s_wait_loadcnt 0x0
	v_mov_b32_e32 v9, v5
	v_lshlrev_b64_e32 v[7:8], 2, v[3:4]
	s_wait_alu 0xfffe
	s_add_nc_u64 s[10:11], s[2:3], s[10:11]
	v_max_num_f32_e64 v4, s0, s0
	s_load_b64 s[10:11], s[10:11], 0x0
	v_add_nc_u32_e32 v3, 0xfffff800, v3
	v_add_co_u32 v7, vcc_lo, s6, v7
	s_wait_alu 0xfffd
	v_add_co_ci_u32_e64 v8, null, s7, v8, vcc_lo
	v_readfirstlane_b32 s5, v4
	global_load_b32 v0, v[7:8], off
	s_wait_kmcnt 0x0
	v_max_num_f32_e64 v4, s10, s10
	s_delay_alu instid0(VALU_DEP_1) | instskip(SKIP_1) | instid1(SALU_CYCLE_3)
	v_readfirstlane_b32 s9, v4
	s_max_num_f32 s5, s5, s9
	s_sub_f32 s0, s0, s5
	s_sub_f32 s9, s10, s5
	s_wait_alu 0xfffe
	s_delay_alu instid0(SALU_CYCLE_1) | instskip(NEXT) | instid1(SALU_CYCLE_1)
	s_mul_f32 s10, s0, 0x3fb8aa3b
	s_mul_f32 s12, s9, 0x3fb8aa3b
	s_wait_alu 0xfffe
	s_delay_alu instid0(SALU_CYCLE_1)
	s_xor_b32 s13, s10, 0x80000000
	s_rndne_f32 s14, s10
	s_fmamk_f32 s13, s0, 0x3fb8aa3b, s13
	s_cmp_nlt_f32 s0, 0xc2ce8ed0
	s_rndne_f32 s15, s12
	s_wait_alu 0xfffe
	s_sub_f32 s10, s10, s14
	s_fmamk_f32 s13, s0, 0x32a5705f, s13
	s_cvt_i32_f32 s14, s14
	s_cselect_b32 vcc_lo, -1, 0
	s_cmp_ngt_f32 s0, 0x42b17218
	s_wait_alu 0xfffe
	s_add_f32 s10, s10, s13
	s_sub_f32 s13, s12, s15
	s_wait_alu 0xfffe
	s_delay_alu instid0(SALU_CYCLE_1) | instskip(SKIP_1) | instid1(TRANS32_DEP_1)
	v_s_exp_f32 s10, s10
	s_wait_alu 0xf1ff
	v_ldexp_f32 v4, s10, s14
	s_cvt_i32_f32 s10, s15
	s_delay_alu instid0(VALU_DEP_1) | instskip(SKIP_3) | instid1(VALU_DEP_1)
	v_cndmask_b32_e32 v4, 0, v4, vcc_lo
	s_cselect_b32 vcc_lo, -1, 0
	s_cmp_ge_f32 s0, 0xc1a00000
	s_wait_alu 0xfffe
	v_cndmask_b32_e32 v4, 0x7f800000, v4, vcc_lo
	s_cselect_b32 vcc_lo, -1, 0
	s_xor_b32 s0, s12, 0x80000000
	s_cmp_nlt_f32 s9, 0xc2ce8ed0
	s_wait_alu 0xfffe
	s_fmamk_f32 s0, s9, 0x3fb8aa3b, s0
	s_wait_alu 0xfffe
	s_delay_alu instid0(SALU_CYCLE_2) | instskip(SKIP_1) | instid1(SALU_CYCLE_2)
	s_fmamk_f32 s0, s9, 0x32a5705f, s0
	s_wait_alu 0xfffe
	s_add_f32 s0, s13, s0
	s_wait_alu 0xfffe
	s_delay_alu instid0(SALU_CYCLE_2) | instskip(SKIP_1) | instid1(TRANS32_DEP_1)
	v_s_exp_f32 s0, s0
	s_wait_alu 0xf1ff
	v_ldexp_f32 v7, s0, s10
	s_cselect_b32 s0, -1, 0
	s_cmp_ngt_f32 s9, 0x42b17218
	s_wait_alu 0xfffe
	s_delay_alu instid0(VALU_DEP_1) | instskip(SKIP_3) | instid1(VALU_DEP_1)
	v_cndmask_b32_e64 v7, 0, v7, s0
	s_cselect_b32 s0, -1, 0
	s_cmp_ge_f32 s9, 0xc1a00000
	s_wait_alu 0xfffe
	v_cndmask_b32_e64 v7, 0x7f800000, v7, s0
	s_cselect_b32 s0, -1, 0
	s_add_co_i32 s1, s1, -1
	s_add_co_i32 s4, s4, -8
	s_wait_alu 0xfffe
	s_cmp_le_i32 s1, s8
	v_cndmask_b32_e64 v7, 0, v7, s0
	s_mov_b32 s0, s5
	s_wait_loadcnt 0x0
	s_delay_alu instid0(VALU_DEP_1) | instskip(NEXT) | instid1(VALU_DEP_1)
	v_dual_mul_f32 v5, v0, v7 :: v_dual_cndmask_b32 v4, 0, v4
	v_dual_mul_f32 v8, s11, v7 :: v_dual_fmac_f32 v5, v9, v4
	s_delay_alu instid0(VALU_DEP_1) | instskip(NEXT) | instid1(VALU_DEP_1)
	v_mov_b32_e32 v6, v8
	v_fmac_f32_e32 v6, v10, v4
	s_cbranch_scc0 .LBB50_3
	s_branch .LBB50_5
.LBB50_4:
	s_wait_kmcnt 0x0
	v_mov_b32_e32 v6, s10
.LBB50_5:
	s_wait_loadcnt 0x0
	s_delay_alu instid0(VALU_DEP_1) | instskip(NEXT) | instid1(VALU_DEP_1)
	v_div_scale_f32 v0, null, v6, v6, v5
	v_rcp_f32_e32 v3, v0
	s_delay_alu instid0(TRANS32_DEP_1) | instskip(NEXT) | instid1(VALU_DEP_1)
	v_fma_f32 v4, -v0, v3, 1.0
	v_fmac_f32_e32 v3, v4, v3
	v_div_scale_f32 v4, vcc_lo, v5, v6, v5
	s_delay_alu instid0(VALU_DEP_1) | instskip(NEXT) | instid1(VALU_DEP_1)
	v_mul_f32_e32 v7, v4, v3
	v_fma_f32 v8, -v0, v7, v4
	s_delay_alu instid0(VALU_DEP_1) | instskip(NEXT) | instid1(VALU_DEP_1)
	v_fmac_f32_e32 v7, v8, v3
	v_fma_f32 v0, -v0, v7, v4
	s_wait_alu 0xfffd
	s_delay_alu instid0(VALU_DEP_1) | instskip(NEXT) | instid1(VALU_DEP_1)
	v_div_fmas_f32 v0, v0, v3, v7
	v_div_fixup_f32 v0, v0, v6, v5
	global_store_b32 v[1:2], v0, off
.LBB50_6:
	s_endpgm
	.section	.rodata,"a",@progbits
	.p2align	6, 0x0
	.amdhsa_kernel _ZL33flash_attn_stream_k_fixup_uniformILi256ELi8ELi1EEvPfPK15HIP_vector_typeIfLj2EEiiiiiiS1_IjLj3EES5_S5_
		.amdhsa_group_segment_fixed_size 0
		.amdhsa_private_segment_fixed_size 0
		.amdhsa_kernarg_size 76
		.amdhsa_user_sgpr_count 2
		.amdhsa_user_sgpr_dispatch_ptr 0
		.amdhsa_user_sgpr_queue_ptr 0
		.amdhsa_user_sgpr_kernarg_segment_ptr 1
		.amdhsa_user_sgpr_dispatch_id 0
		.amdhsa_user_sgpr_private_segment_size 0
		.amdhsa_wavefront_size32 1
		.amdhsa_uses_dynamic_stack 0
		.amdhsa_enable_private_segment 0
		.amdhsa_system_sgpr_workgroup_id_x 1
		.amdhsa_system_sgpr_workgroup_id_y 1
		.amdhsa_system_sgpr_workgroup_id_z 1
		.amdhsa_system_sgpr_workgroup_info 0
		.amdhsa_system_vgpr_workitem_id 0
		.amdhsa_next_free_vgpr 11
		.amdhsa_next_free_sgpr 16
		.amdhsa_reserve_vcc 1
		.amdhsa_float_round_mode_32 0
		.amdhsa_float_round_mode_16_64 0
		.amdhsa_float_denorm_mode_32 3
		.amdhsa_float_denorm_mode_16_64 3
		.amdhsa_fp16_overflow 0
		.amdhsa_workgroup_processor_mode 1
		.amdhsa_memory_ordered 1
		.amdhsa_forward_progress 1
		.amdhsa_inst_pref_size 9
		.amdhsa_round_robin_scheduling 0
		.amdhsa_exception_fp_ieee_invalid_op 0
		.amdhsa_exception_fp_denorm_src 0
		.amdhsa_exception_fp_ieee_div_zero 0
		.amdhsa_exception_fp_ieee_overflow 0
		.amdhsa_exception_fp_ieee_underflow 0
		.amdhsa_exception_fp_ieee_inexact 0
		.amdhsa_exception_int_div_zero 0
	.end_amdhsa_kernel
	.section	.text._ZL33flash_attn_stream_k_fixup_uniformILi256ELi8ELi1EEvPfPK15HIP_vector_typeIfLj2EEiiiiiiS1_IjLj3EES5_S5_,"axG",@progbits,_ZL33flash_attn_stream_k_fixup_uniformILi256ELi8ELi1EEvPfPK15HIP_vector_typeIfLj2EEiiiiiiS1_IjLj3EES5_S5_,comdat
.Lfunc_end50:
	.size	_ZL33flash_attn_stream_k_fixup_uniformILi256ELi8ELi1EEvPfPK15HIP_vector_typeIfLj2EEiiiiiiS1_IjLj3EES5_S5_, .Lfunc_end50-_ZL33flash_attn_stream_k_fixup_uniformILi256ELi8ELi1EEvPfPK15HIP_vector_typeIfLj2EEiiiiiiS1_IjLj3EES5_S5_
                                        ; -- End function
	.set _ZL33flash_attn_stream_k_fixup_uniformILi256ELi8ELi1EEvPfPK15HIP_vector_typeIfLj2EEiiiiiiS1_IjLj3EES5_S5_.num_vgpr, 11
	.set _ZL33flash_attn_stream_k_fixup_uniformILi256ELi8ELi1EEvPfPK15HIP_vector_typeIfLj2EEiiiiiiS1_IjLj3EES5_S5_.num_agpr, 0
	.set _ZL33flash_attn_stream_k_fixup_uniformILi256ELi8ELi1EEvPfPK15HIP_vector_typeIfLj2EEiiiiiiS1_IjLj3EES5_S5_.numbered_sgpr, 16
	.set _ZL33flash_attn_stream_k_fixup_uniformILi256ELi8ELi1EEvPfPK15HIP_vector_typeIfLj2EEiiiiiiS1_IjLj3EES5_S5_.num_named_barrier, 0
	.set _ZL33flash_attn_stream_k_fixup_uniformILi256ELi8ELi1EEvPfPK15HIP_vector_typeIfLj2EEiiiiiiS1_IjLj3EES5_S5_.private_seg_size, 0
	.set _ZL33flash_attn_stream_k_fixup_uniformILi256ELi8ELi1EEvPfPK15HIP_vector_typeIfLj2EEiiiiiiS1_IjLj3EES5_S5_.uses_vcc, 1
	.set _ZL33flash_attn_stream_k_fixup_uniformILi256ELi8ELi1EEvPfPK15HIP_vector_typeIfLj2EEiiiiiiS1_IjLj3EES5_S5_.uses_flat_scratch, 0
	.set _ZL33flash_attn_stream_k_fixup_uniformILi256ELi8ELi1EEvPfPK15HIP_vector_typeIfLj2EEiiiiiiS1_IjLj3EES5_S5_.has_dyn_sized_stack, 0
	.set _ZL33flash_attn_stream_k_fixup_uniformILi256ELi8ELi1EEvPfPK15HIP_vector_typeIfLj2EEiiiiiiS1_IjLj3EES5_S5_.has_recursion, 0
	.set _ZL33flash_attn_stream_k_fixup_uniformILi256ELi8ELi1EEvPfPK15HIP_vector_typeIfLj2EEiiiiiiS1_IjLj3EES5_S5_.has_indirect_call, 0
	.section	.AMDGPU.csdata,"",@progbits
; Kernel info:
; codeLenInByte = 1120
; TotalNumSgprs: 18
; NumVgprs: 11
; ScratchSize: 0
; MemoryBound: 0
; FloatMode: 240
; IeeeMode: 1
; LDSByteSize: 0 bytes/workgroup (compile time only)
; SGPRBlocks: 0
; VGPRBlocks: 1
; NumSGPRsForWavesPerEU: 18
; NumVGPRsForWavesPerEU: 11
; Occupancy: 16
; WaveLimiterHint : 0
; COMPUTE_PGM_RSRC2:SCRATCH_EN: 0
; COMPUTE_PGM_RSRC2:USER_SGPR: 2
; COMPUTE_PGM_RSRC2:TRAP_HANDLER: 0
; COMPUTE_PGM_RSRC2:TGID_X_EN: 1
; COMPUTE_PGM_RSRC2:TGID_Y_EN: 1
; COMPUTE_PGM_RSRC2:TGID_Z_EN: 1
; COMPUTE_PGM_RSRC2:TIDIG_COMP_CNT: 0
	.section	.text._ZL33flash_attn_stream_k_fixup_generalILi256ELi8ELi1EEvPfPK15HIP_vector_typeIfLj2EEiiiiS1_IjLj3EES5_S5_S5_,"axG",@progbits,_ZL33flash_attn_stream_k_fixup_generalILi256ELi8ELi1EEvPfPK15HIP_vector_typeIfLj2EEiiiiS1_IjLj3EES5_S5_S5_,comdat
	.globl	_ZL33flash_attn_stream_k_fixup_generalILi256ELi8ELi1EEvPfPK15HIP_vector_typeIfLj2EEiiiiS1_IjLj3EES5_S5_S5_ ; -- Begin function _ZL33flash_attn_stream_k_fixup_generalILi256ELi8ELi1EEvPfPK15HIP_vector_typeIfLj2EEiiiiS1_IjLj3EES5_S5_S5_
	.p2align	8
	.type	_ZL33flash_attn_stream_k_fixup_generalILi256ELi8ELi1EEvPfPK15HIP_vector_typeIfLj2EEiiiiS1_IjLj3EES5_S5_S5_,@function
_ZL33flash_attn_stream_k_fixup_generalILi256ELi8ELi1EEvPfPK15HIP_vector_typeIfLj2EEiiiiS1_IjLj3EES5_S5_S5_: ; @_ZL33flash_attn_stream_k_fixup_generalILi256ELi8ELi1EEvPfPK15HIP_vector_typeIfLj2EEiiiiS1_IjLj3EES5_S5_S5_
; %bb.0:
	s_clause 0x1
	s_load_b128 s[4:7], s[0:1], 0x10
	s_load_b32 s16, s[0:1], 0x50
	s_mov_b32 s2, ttmp9
	s_ashr_i32 s3, ttmp9, 31
	s_mov_b32 s17, 0
	s_delay_alu instid0(SALU_CYCLE_1) | instskip(SKIP_3) | instid1(SALU_CYCLE_1)
	s_mov_b32 s8, s17
	s_wait_kmcnt 0x0
	s_ashr_i32 s19, s7, 31
	s_mov_b32 s18, s7
	s_mul_u64 s[2:3], s[18:19], s[2:3]
	s_delay_alu instid0(SALU_CYCLE_1) | instskip(NEXT) | instid1(SALU_CYCLE_1)
	s_mov_b32 s9, s3
	s_cmp_lg_u64 s[8:9], 0
	s_cbranch_scc0 .LBB51_21
; %bb.1:
	s_add_nc_u64 s[8:9], s[16:17], 0
	s_mov_b32 s15, s17
	s_xor_b64 s[8:9], s[8:9], 0
	s_mov_b32 s23, s17
	s_cvt_f32_u32 s7, s8
	s_cvt_f32_u32 s10, s9
	s_sub_nc_u64 s[12:13], 0, s[8:9]
	s_delay_alu instid0(SALU_CYCLE_2) | instskip(NEXT) | instid1(SALU_CYCLE_3)
	s_fmamk_f32 s7, s10, 0x4f800000, s7
	v_s_rcp_f32 s7, s7
	s_delay_alu instid0(TRANS32_DEP_1) | instskip(SKIP_1) | instid1(SALU_CYCLE_2)
	s_mul_f32 s7, s7, 0x5f7ffffc
	s_wait_alu 0xfffe
	s_mul_f32 s10, s7, 0x2f800000
	s_delay_alu instid0(SALU_CYCLE_3) | instskip(NEXT) | instid1(SALU_CYCLE_3)
	s_trunc_f32 s10, s10
	s_fmamk_f32 s7, s10, 0xcf800000, s7
	s_cvt_u32_f32 s11, s10
	s_wait_alu 0xfffe
	s_delay_alu instid0(SALU_CYCLE_1) | instskip(NEXT) | instid1(SALU_CYCLE_3)
	s_cvt_u32_f32 s10, s7
	s_mul_u64 s[20:21], s[12:13], s[10:11]
	s_delay_alu instid0(SALU_CYCLE_1)
	s_mul_hi_u32 s25, s10, s21
	s_mul_i32 s24, s10, s21
	s_mul_hi_u32 s14, s10, s20
	s_mul_i32 s22, s11, s20
	s_add_nc_u64 s[14:15], s[14:15], s[24:25]
	s_mul_hi_u32 s7, s11, s20
	s_mul_hi_u32 s26, s11, s21
	s_add_co_u32 s14, s14, s22
	s_wait_alu 0xfffe
	s_add_co_ci_u32 s22, s15, s7
	s_mul_i32 s20, s11, s21
	s_add_co_ci_u32 s21, s26, 0
	s_delay_alu instid0(SALU_CYCLE_1)
	s_add_nc_u64 s[14:15], s[22:23], s[20:21]
	s_mov_b32 s21, s17
	s_add_co_u32 s10, s10, s14
	s_cselect_b32 s7, -1, 0
	s_wait_alu 0xfffe
	s_cmp_lg_u32 s7, 0
	s_add_co_ci_u32 s11, s11, s15
	s_mov_b32 s15, s17
	s_mul_u64 s[12:13], s[12:13], s[10:11]
	s_delay_alu instid0(SALU_CYCLE_1)
	s_mul_hi_u32 s23, s10, s13
	s_mul_i32 s22, s10, s13
	s_mul_hi_u32 s14, s10, s12
	s_mul_i32 s20, s11, s12
	s_add_nc_u64 s[14:15], s[14:15], s[22:23]
	s_mul_hi_u32 s7, s11, s12
	s_mul_hi_u32 s24, s11, s13
	s_mul_i32 s12, s11, s13
	s_add_co_u32 s13, s14, s20
	s_wait_alu 0xfffe
	s_add_co_ci_u32 s20, s15, s7
	s_add_co_ci_u32 s13, s24, 0
	s_mov_b32 s15, s17
	s_add_nc_u64 s[12:13], s[20:21], s[12:13]
	s_delay_alu instid0(SALU_CYCLE_1) | instskip(SKIP_1) | instid1(SALU_CYCLE_1)
	s_add_co_u32 s7, s10, s12
	s_cselect_b32 s10, -1, 0
	s_cmp_lg_u32 s10, 0
	s_add_co_ci_u32 s20, s11, s13
	s_ashr_i32 s10, s3, 31
	s_delay_alu instid0(SALU_CYCLE_1) | instskip(NEXT) | instid1(SALU_CYCLE_1)
	s_mov_b32 s11, s10
	s_add_nc_u64 s[12:13], s[2:3], s[10:11]
	s_delay_alu instid0(SALU_CYCLE_1) | instskip(NEXT) | instid1(SALU_CYCLE_1)
	s_xor_b64 s[12:13], s[12:13], s[10:11]
	s_mul_hi_u32 s23, s12, s20
	s_mul_i32 s22, s12, s20
	s_wait_alu 0xfffe
	s_mul_hi_u32 s14, s12, s7
	s_mul_hi_u32 s24, s13, s7
	s_mul_i32 s7, s13, s7
	s_add_nc_u64 s[14:15], s[14:15], s[22:23]
	s_mul_hi_u32 s3, s13, s20
	s_wait_alu 0xfffe
	s_add_co_u32 s7, s14, s7
	s_mul_i32 s22, s13, s20
	s_add_co_ci_u32 s20, s15, s24
	s_add_co_ci_u32 s23, s3, 0
	s_delay_alu instid0(SALU_CYCLE_1) | instskip(NEXT) | instid1(SALU_CYCLE_1)
	s_add_nc_u64 s[14:15], s[20:21], s[22:23]
	s_mul_u64 s[20:21], s[8:9], s[14:15]
	s_delay_alu instid0(SALU_CYCLE_1)
	s_sub_co_u32 s3, s12, s20
	s_cselect_b32 s7, -1, 0
	s_sub_co_i32 s12, s13, s21
	s_wait_alu 0xfffe
	s_cmp_lg_u32 s7, 0
	s_sub_co_ci_u32 s12, s12, s9
	s_sub_co_u32 s20, s3, s8
	s_cselect_b32 s22, -1, 0
	s_delay_alu instid0(SALU_CYCLE_1) | instskip(SKIP_2) | instid1(SALU_CYCLE_1)
	s_cmp_lg_u32 s22, 0
	s_add_nc_u64 s[22:23], s[14:15], 1
	s_sub_co_ci_u32 s12, s12, 0
	s_cmp_ge_u32 s12, s9
	s_cselect_b32 s24, -1, 0
	s_cmp_ge_u32 s20, s8
	s_cselect_b32 s20, -1, 0
	s_cmp_eq_u32 s12, s9
	s_cselect_b32 s12, s20, s24
	s_add_nc_u64 s[24:25], s[14:15], 2
	s_cmp_lg_u32 s12, 0
	s_cselect_b32 s12, s24, s22
	s_cselect_b32 s20, s25, s23
	s_cmp_lg_u32 s7, 0
	s_sub_co_ci_u32 s7, s13, s21
	s_wait_alu 0xfffe
	s_cmp_ge_u32 s7, s9
	s_cselect_b32 s13, -1, 0
	s_cmp_ge_u32 s3, s8
	s_cselect_b32 s3, -1, 0
	s_cmp_eq_u32 s7, s9
	s_cselect_b32 s3, s3, s13
	s_delay_alu instid0(SALU_CYCLE_1) | instskip(SKIP_4) | instid1(SALU_CYCLE_1)
	s_cmp_lg_u32 s3, 0
	s_mov_b32 s3, s17
	s_cselect_b32 s9, s20, s15
	s_cselect_b32 s8, s12, s14
	s_xor_b64 s[10:11], s[10:11], 0
	s_xor_b64 s[8:9], s[8:9], s[10:11]
	s_delay_alu instid0(SALU_CYCLE_1)
	s_sub_nc_u64 s[20:21], s[8:9], s[10:11]
	s_and_not1_b32 vcc_lo, exec_lo, s3
	s_cbranch_vccnz .LBB51_3
.LBB51_2:
	v_cvt_f32_u32_e32 v1, s16
	s_sub_co_i32 s7, 0, s16
	s_delay_alu instid0(VALU_DEP_1) | instskip(NEXT) | instid1(TRANS32_DEP_1)
	v_rcp_iflag_f32_e32 v1, v1
	v_mul_f32_e32 v1, 0x4f7ffffe, v1
	s_delay_alu instid0(VALU_DEP_1) | instskip(NEXT) | instid1(VALU_DEP_1)
	v_cvt_u32_f32_e32 v1, v1
	v_readfirstlane_b32 s3, v1
	s_wait_alu 0xfffe
	s_mul_i32 s7, s7, s3
	s_wait_alu 0xfffe
	s_mul_hi_u32 s7, s3, s7
	s_wait_alu 0xfffe
	s_add_co_i32 s3, s3, s7
	s_delay_alu instid0(SALU_CYCLE_1) | instskip(NEXT) | instid1(SALU_CYCLE_1)
	s_mul_hi_u32 s3, s2, s3
	s_mul_i32 s7, s3, s16
	s_wait_alu 0xfffe
	s_sub_co_i32 s2, s2, s7
	s_add_co_i32 s7, s3, 1
	s_sub_co_i32 s8, s2, s16
	s_cmp_ge_u32 s2, s16
	s_wait_alu 0xfffe
	s_cselect_b32 s3, s7, s3
	s_cselect_b32 s2, s8, s2
	s_add_co_i32 s7, s3, 1
	s_cmp_ge_u32 s2, s16
	s_wait_alu 0xfffe
	s_cselect_b32 s20, s7, s3
.LBB51_3:
	s_add_co_i32 s2, ttmp9, 1
	s_mov_b32 s8, 0
	s_ashr_i32 s3, s2, 31
	s_delay_alu instid0(SALU_CYCLE_1) | instskip(NEXT) | instid1(SALU_CYCLE_1)
	s_mul_u64 s[2:3], s[18:19], s[2:3]
	s_mov_b32 s9, s3
	s_delay_alu instid0(SALU_CYCLE_1)
	s_cmp_lg_u64 s[8:9], 0
	s_cbranch_scc0 .LBB51_22
; %bb.4:
	s_add_nc_u64 s[10:11], s[16:17], 0
	s_mov_b32 s23, s8
	s_xor_b64 s[10:11], s[10:11], 0
	s_mov_b32 s27, s8
	s_cvt_f32_u32 s7, s10
	s_cvt_f32_u32 s9, s11
	s_sub_nc_u64 s[14:15], 0, s[10:11]
	s_wait_alu 0xfffe
	s_delay_alu instid0(SALU_CYCLE_1) | instskip(SKIP_1) | instid1(SALU_CYCLE_2)
	s_fmamk_f32 s7, s9, 0x4f800000, s7
	s_wait_alu 0xfffe
	v_s_rcp_f32 s7, s7
	s_delay_alu instid0(TRANS32_DEP_1) | instskip(SKIP_1) | instid1(SALU_CYCLE_2)
	s_mul_f32 s7, s7, 0x5f7ffffc
	s_wait_alu 0xfffe
	s_mul_f32 s9, s7, 0x2f800000
	s_delay_alu instid0(SALU_CYCLE_3) | instskip(NEXT) | instid1(SALU_CYCLE_3)
	s_trunc_f32 s9, s9
	s_fmamk_f32 s7, s9, 0xcf800000, s7
	s_cvt_u32_f32 s13, s9
	s_wait_alu 0xfffe
	s_delay_alu instid0(SALU_CYCLE_1) | instskip(NEXT) | instid1(SALU_CYCLE_3)
	s_cvt_u32_f32 s12, s7
	s_mul_u64 s[24:25], s[14:15], s[12:13]
	s_delay_alu instid0(SALU_CYCLE_1)
	s_mul_hi_u32 s29, s12, s25
	s_mul_i32 s28, s12, s25
	s_mul_hi_u32 s22, s12, s24
	s_mul_i32 s9, s13, s24
	s_add_nc_u64 s[22:23], s[22:23], s[28:29]
	s_mul_hi_u32 s7, s13, s24
	s_mul_hi_u32 s21, s13, s25
	s_add_co_u32 s9, s22, s9
	s_wait_alu 0xfffe
	s_add_co_ci_u32 s26, s23, s7
	s_mul_i32 s24, s13, s25
	s_add_co_ci_u32 s25, s21, 0
	s_delay_alu instid0(SALU_CYCLE_1)
	s_add_nc_u64 s[22:23], s[26:27], s[24:25]
	s_mov_b32 s25, s8
	s_add_co_u32 s12, s12, s22
	s_cselect_b32 s7, -1, 0
	s_wait_alu 0xfffe
	s_cmp_lg_u32 s7, 0
	s_add_co_ci_u32 s13, s13, s23
	s_mov_b32 s23, s8
	s_mul_u64 s[14:15], s[14:15], s[12:13]
	s_delay_alu instid0(SALU_CYCLE_1)
	s_mul_hi_u32 s27, s12, s15
	s_mul_i32 s26, s12, s15
	s_mul_hi_u32 s22, s12, s14
	s_mul_i32 s9, s13, s14
	s_add_nc_u64 s[22:23], s[22:23], s[26:27]
	s_mul_hi_u32 s7, s13, s14
	s_mul_hi_u32 s21, s13, s15
	s_add_co_u32 s9, s22, s9
	s_wait_alu 0xfffe
	s_add_co_ci_u32 s24, s23, s7
	s_mul_i32 s14, s13, s15
	s_add_co_ci_u32 s15, s21, 0
	s_mov_b32 s23, s8
	s_add_nc_u64 s[14:15], s[24:25], s[14:15]
	s_delay_alu instid0(SALU_CYCLE_1) | instskip(SKIP_1) | instid1(SALU_CYCLE_1)
	s_add_co_u32 s7, s12, s14
	s_cselect_b32 s9, -1, 0
	s_cmp_lg_u32 s9, 0
	s_add_co_ci_u32 s9, s13, s15
	s_ashr_i32 s12, s3, 31
	s_delay_alu instid0(SALU_CYCLE_1) | instskip(NEXT) | instid1(SALU_CYCLE_1)
	s_mov_b32 s13, s12
	s_add_nc_u64 s[14:15], s[2:3], s[12:13]
	s_delay_alu instid0(SALU_CYCLE_1) | instskip(NEXT) | instid1(SALU_CYCLE_1)
	s_xor_b64 s[14:15], s[14:15], s[12:13]
	s_mul_hi_u32 s27, s14, s9
	s_mul_i32 s26, s14, s9
	s_wait_alu 0xfffe
	s_mul_hi_u32 s22, s14, s7
	s_mul_hi_u32 s21, s15, s7
	s_mul_i32 s7, s15, s7
	s_add_nc_u64 s[22:23], s[22:23], s[26:27]
	s_mul_hi_u32 s3, s15, s9
	s_wait_alu 0xfffe
	s_add_co_u32 s7, s22, s7
	s_add_co_ci_u32 s24, s23, s21
	s_mul_i32 s26, s15, s9
	s_add_co_ci_u32 s27, s3, 0
	s_delay_alu instid0(SALU_CYCLE_1) | instskip(NEXT) | instid1(SALU_CYCLE_1)
	s_add_nc_u64 s[22:23], s[24:25], s[26:27]
	s_mul_u64 s[24:25], s[10:11], s[22:23]
	s_add_nc_u64 s[26:27], s[22:23], 1
	s_sub_co_u32 s3, s14, s24
	s_cselect_b32 s7, -1, 0
	s_sub_co_i32 s9, s15, s25
	s_wait_alu 0xfffe
	s_cmp_lg_u32 s7, 0
	s_add_nc_u64 s[28:29], s[22:23], 2
	s_sub_co_ci_u32 s9, s9, s11
	s_sub_co_u32 s14, s3, s10
	s_cselect_b32 s21, -1, 0
	s_delay_alu instid0(SALU_CYCLE_1) | instskip(SKIP_1) | instid1(SALU_CYCLE_1)
	s_cmp_lg_u32 s21, 0
	s_sub_co_ci_u32 s9, s9, 0
	s_cmp_ge_u32 s9, s11
	s_cselect_b32 s21, -1, 0
	s_cmp_ge_u32 s14, s10
	s_cselect_b32 s14, -1, 0
	s_cmp_eq_u32 s9, s11
	s_cselect_b32 s9, s14, s21
	s_delay_alu instid0(SALU_CYCLE_1)
	s_cmp_lg_u32 s9, 0
	s_cselect_b32 s9, s28, s26
	s_cselect_b32 s14, s29, s27
	s_cmp_lg_u32 s7, 0
	s_sub_co_ci_u32 s7, s15, s25
	s_wait_alu 0xfffe
	s_cmp_ge_u32 s7, s11
	s_cselect_b32 s15, -1, 0
	s_cmp_ge_u32 s3, s10
	s_cselect_b32 s3, -1, 0
	s_cmp_eq_u32 s7, s11
	s_cselect_b32 s3, s3, s15
	s_delay_alu instid0(SALU_CYCLE_1) | instskip(SKIP_3) | instid1(SALU_CYCLE_1)
	s_cmp_lg_u32 s3, 0
	s_cselect_b32 s11, s14, s23
	s_cselect_b32 s10, s9, s22
	s_xor_b64 s[12:13], s[12:13], 0
	s_xor_b64 s[10:11], s[10:11], s[12:13]
	s_delay_alu instid0(SALU_CYCLE_1)
	s_sub_nc_u64 s[10:11], s[10:11], s[12:13]
	s_load_b96 s[12:14], s[0:1], 0x44
	s_and_not1_b32 vcc_lo, exec_lo, s8
	s_cbranch_vccnz .LBB51_6
.LBB51_5:
	v_cvt_f32_u32_e32 v1, s16
	s_sub_co_i32 s7, 0, s16
	s_delay_alu instid0(VALU_DEP_1) | instskip(NEXT) | instid1(TRANS32_DEP_1)
	v_rcp_iflag_f32_e32 v1, v1
	v_mul_f32_e32 v1, 0x4f7ffffe, v1
	s_delay_alu instid0(VALU_DEP_1) | instskip(NEXT) | instid1(VALU_DEP_1)
	v_cvt_u32_f32_e32 v1, v1
	v_readfirstlane_b32 s3, v1
	s_wait_alu 0xfffe
	s_mul_i32 s7, s7, s3
	s_wait_alu 0xfffe
	s_mul_hi_u32 s7, s3, s7
	s_wait_alu 0xfffe
	s_add_co_i32 s3, s3, s7
	s_delay_alu instid0(SALU_CYCLE_1) | instskip(NEXT) | instid1(SALU_CYCLE_1)
	s_mul_hi_u32 s3, s2, s3
	s_mul_i32 s7, s3, s16
	s_wait_alu 0xfffe
	s_sub_co_i32 s2, s2, s7
	s_add_co_i32 s7, s3, 1
	s_sub_co_i32 s8, s2, s16
	s_cmp_ge_u32 s2, s16
	s_wait_alu 0xfffe
	s_cselect_b32 s3, s7, s3
	s_cselect_b32 s2, s8, s2
	s_add_co_i32 s7, s3, 1
	s_cmp_ge_u32 s2, s16
	s_wait_alu 0xfffe
	s_cselect_b32 s10, s7, s3
.LBB51_6:
	s_mov_b32 s21, 0
	s_wait_kmcnt 0x0
	s_mov_b32 s22, s12
	s_mov_b32 s23, s21
	s_cmp_eq_u32 s20, s10
	s_mul_u64 s[2:3], s[20:21], s[22:23]
	s_cselect_b32 s7, -1, 0
	s_add_co_i32 s2, s3, s20
	s_mov_b32 s11, s21
	s_lshr_b32 s12, s2, s13
	s_mul_u64 s[2:3], s[10:11], s[22:23]
	s_mul_i32 s2, s12, s14
	s_delay_alu instid0(SALU_CYCLE_1) | instskip(SKIP_2) | instid1(SALU_CYCLE_1)
	s_cmp_eq_u32 s2, s20
	s_cselect_b32 s2, -1, 0
	s_add_co_i32 s3, s3, s10
	s_lshr_b32 s3, s3, s13
	s_delay_alu instid0(SALU_CYCLE_1)
	s_cmp_eq_u32 s12, s3
	s_mul_i32 s3, s3, s14
	s_cselect_b32 s8, -1, 0
	s_cmp_lg_u32 s3, s10
	s_cselect_b32 s3, -1, 0
	s_wait_alu 0xfffe
	s_or_b32 s2, s7, s2
	s_and_b32 s3, s8, s3
	s_delay_alu instid0(SALU_CYCLE_1) | instskip(NEXT) | instid1(SALU_CYCLE_1)
	s_or_b32 s2, s2, s3
	s_and_b32 vcc_lo, exec_lo, s2
	s_cbranch_vccnz .LBB51_24
; %bb.7:
	s_load_b256 s[24:31], s[0:1], 0x20
	s_mov_b32 s3, s21
	s_and_b32 s15, ttmp7, 0xffff
	s_wait_kmcnt 0x0
	s_mov_b32 s2, s24
	s_delay_alu instid0(SALU_CYCLE_1) | instskip(NEXT) | instid1(SALU_CYCLE_1)
	s_mul_u64 s[2:3], s[20:21], s[2:3]
	s_add_co_i32 s2, s3, s20
	s_delay_alu instid0(SALU_CYCLE_1) | instskip(SKIP_4) | instid1(SALU_CYCLE_1)
	s_lshr_b32 s3, s2, s25
	s_load_b32 s2, s[0:1], 0x40
	s_mul_i32 s7, s3, s26
	s_wait_alu 0xfffe
	s_sub_co_i32 s8, s20, s7
	s_mul_hi_u32 s7, s8, s27
	s_wait_alu 0xfffe
	s_add_co_i32 s7, s8, s7
	s_wait_alu 0xfffe
	s_lshr_b32 s7, s7, s28
	s_wait_alu 0xfffe
	s_mul_i32 s9, s7, s29
	s_delay_alu instid0(SALU_CYCLE_1) | instskip(NEXT) | instid1(SALU_CYCLE_1)
	s_sub_co_i32 s8, s8, s9
	s_mul_hi_u32 s9, s8, s30
	s_delay_alu instid0(SALU_CYCLE_1) | instskip(NEXT) | instid1(SALU_CYCLE_1)
	s_add_co_i32 s9, s8, s9
	s_lshr_b32 s24, s9, s31
	s_mov_b32 s9, s21
	s_wait_kmcnt 0x0
	s_mul_i32 s2, s24, s2
	s_delay_alu instid0(SALU_CYCLE_1) | instskip(NEXT) | instid1(SALU_CYCLE_1)
	s_sub_co_i32 s8, s8, s2
	s_mul_u64 s[10:11], s[8:9], s[22:23]
	s_delay_alu instid0(SALU_CYCLE_1) | instskip(NEXT) | instid1(SALU_CYCLE_1)
	s_add_co_i32 s2, s8, s11
	s_lshr_b32 s21, s2, s13
	s_delay_alu instid0(SALU_CYCLE_1) | instskip(NEXT) | instid1(SALU_CYCLE_1)
	s_lshl_b32 s2, s21, 3
	s_add_co_i32 s8, s2, s15
	s_lshr_b32 s2, ttmp7, 16
	s_cmp_lt_i32 s8, s4
	s_cselect_b32 s8, -1, 0
	s_add_co_i32 s9, s24, s2
	s_delay_alu instid0(SALU_CYCLE_1) | instskip(SKIP_1) | instid1(SALU_CYCLE_1)
	s_cmp_lt_i32 s9, s6
	s_cselect_b32 s9, -1, 0
	s_and_b32 s8, s8, s9
	s_delay_alu instid0(SALU_CYCLE_1)
	s_and_not1_b32 vcc_lo, exec_lo, s8
	s_cbranch_vccnz .LBB51_24
; %bb.8:
	s_mul_i32 s3, s3, s4
	s_mul_i32 s7, s7, s6
	s_add_co_i32 s3, s3, s15
	s_load_b128 s[8:11], s[0:1], 0x0
	s_mul_i32 s3, s3, s5
	s_mul_i32 s1, s5, s21
	s_add_co_i32 s3, s3, s2
	s_lshl_b32 s1, s1, 11
	s_add_co_i32 s0, s3, s7
	s_add_co_i32 s15, s15, s2
	;; [unrolled: 1-line block ×3, first 2 shown]
	v_cvt_f32_u32_e32 v4, s16
	s_lshl_b32 s0, s0, 8
	s_add_co_i32 s34, ttmp9, -1
	s_add_co_i32 s1, s1, s0
	s_delay_alu instid0(VALU_DEP_1)
	v_rcp_iflag_f32_e32 v4, v4
	v_or_b32_e32 v1, s1, v0
	s_add_nc_u64 s[0:1], s[16:17], 0
	v_lshl_or_b32 v0, s15, 8, v0
	s_wait_alu 0xfffe
	s_xor_b64 s[6:7], s[0:1], 0
	s_lshl_b32 s0, ttmp9, 3
	v_ashrrev_i32_e32 v2, 31, v1
	s_wait_alu 0xfffe
	s_cvt_f32_u32 s1, s6
	s_cvt_f32_u32 s2, s7
	s_add_co_i32 s0, s0, s15
	s_sub_nc_u64 s[30:31], 0, s[6:7]
	v_lshlrev_b64_e32 v[1:2], 2, v[1:2]
	s_wait_alu 0xfffe
	s_fmamk_f32 s2, s2, 0x4f800000, s1
	s_ashr_i32 s1, s0, 31
	s_wait_alu 0xfffe
	s_lshl_b64 s[0:1], s[0:1], 3
	v_s_rcp_f32 s2, s2
	s_wait_kmcnt 0x0
	v_add_co_u32 v1, vcc_lo, s8, v1
	s_delay_alu instid0(VALU_DEP_1)
	v_add_co_ci_u32_e64 v2, null, s9, v2, vcc_lo
	s_wait_alu 0xfffe
	s_add_nc_u64 s[0:1], s[10:11], s[0:1]
	s_mov_b32 s8, 0
	s_load_b64 s[26:27], s[0:1], 0x0
	global_load_b32 v3, v[1:2], off
	s_mul_f32 s2, s2, 0x5f7ffffc
	v_mul_f32_e32 v4, 0x4f7ffffe, v4
	s_lshl_b32 s0, s16, 5
	s_wait_alu 0xfffe
	s_mul_f32 s1, s2, 0x2f800000
	s_wait_alu 0xfffe
	s_delay_alu instid0(SALU_CYCLE_2)
	s_trunc_f32 s3, s1
	s_mov_b32 s1, s8
	s_wait_alu 0xfffe
	s_lshl_b64 s[0:1], s[0:1], 2
	s_fmamk_f32 s2, s3, 0xcf800000, s2
	s_cvt_u32_f32 s29, s3
	s_wait_alu 0xfffe
	s_add_nc_u64 s[24:25], s[10:11], s[0:1]
	s_cvt_u32_f32 s28, s2
	s_wait_kmcnt 0x0
	v_mov_b32_e32 v5, s27
	v_cvt_u32_f32_e32 v4, v4
.LBB51_9:                               ; =>This Inner Loop Header: Depth=1
	s_wait_alu 0xfffe
	s_ashr_i32 s35, s34, 31
	s_mov_b32 s2, -1
	s_wait_alu 0xfffe
	s_mul_u64 s[0:1], s[34:35], s[18:19]
                                        ; implicit-def: $sgpr38_sgpr39
	s_wait_alu 0xfffe
	s_mov_b32 s9, s1
	s_wait_alu 0xfffe
	s_cmp_lg_u64 s[8:9], 0
	s_cbranch_scc0 .LBB51_11
; %bb.10:                               ;   in Loop: Header=BB51_9 Depth=1
	s_mul_u64 s[2:3], s[30:31], s[28:29]
	s_mov_b32 s37, s8
	s_wait_alu 0xfffe
	s_mul_hi_u32 s5, s28, s3
	s_mul_i32 s4, s28, s3
	s_mul_hi_u32 s36, s28, s2
	s_mul_hi_u32 s9, s29, s2
	s_wait_alu 0xfffe
	s_add_nc_u64 s[4:5], s[36:37], s[4:5]
	s_mul_i32 s2, s29, s2
	s_mul_hi_u32 s17, s29, s3
	s_wait_alu 0xfffe
	s_add_co_u32 s2, s4, s2
	s_add_co_ci_u32 s2, s5, s9
	s_add_co_ci_u32 s5, s17, 0
	s_mul_i32 s4, s29, s3
	s_mov_b32 s3, s8
	s_mov_b32 s39, s8
	s_wait_alu 0xfffe
	s_add_nc_u64 s[2:3], s[2:3], s[4:5]
	s_wait_alu 0xfffe
	s_add_co_u32 s2, s28, s2
	s_cselect_b32 s4, -1, 0
	s_wait_alu 0xfffe
	s_cmp_lg_u32 s4, 0
	s_add_co_ci_u32 s3, s29, s3
	s_wait_alu 0xfffe
	s_mul_u64 s[4:5], s[30:31], s[2:3]
	s_wait_alu 0xfffe
	s_mul_hi_u32 s37, s2, s5
	s_mul_i32 s36, s2, s5
	s_mul_hi_u32 s38, s2, s4
	s_mul_hi_u32 s9, s3, s4
	s_mul_i32 s4, s3, s4
	s_wait_alu 0xfffe
	s_add_nc_u64 s[36:37], s[38:39], s[36:37]
	s_mul_hi_u32 s17, s3, s5
	s_wait_alu 0xfffe
	s_add_co_u32 s4, s36, s4
	s_add_co_ci_u32 s4, s37, s9
	s_add_co_ci_u32 s37, s17, 0
	s_mul_i32 s36, s3, s5
	s_mov_b32 s5, s8
	s_wait_alu 0xfffe
	s_add_nc_u64 s[4:5], s[4:5], s[36:37]
	s_mov_b32 s37, s8
	s_wait_alu 0xfffe
	s_add_co_u32 s9, s2, s4
	s_cselect_b32 s2, -1, 0
	s_wait_alu 0xfffe
	s_cmp_lg_u32 s2, 0
	s_add_co_ci_u32 s17, s3, s5
	s_ashr_i32 s2, s1, 31
	s_wait_alu 0xfffe
	s_mov_b32 s3, s2
	s_wait_alu 0xfffe
	s_add_nc_u64 s[4:5], s[0:1], s[2:3]
	s_wait_alu 0xfffe
	s_xor_b64 s[4:5], s[4:5], s[2:3]
	s_wait_alu 0xfffe
	s_mul_hi_u32 s39, s4, s17
	s_mul_i32 s38, s4, s17
	s_mul_hi_u32 s36, s4, s9
	s_mul_i32 s21, s5, s9
	s_wait_alu 0xfffe
	s_add_nc_u64 s[36:37], s[36:37], s[38:39]
	s_mul_hi_u32 s9, s5, s9
	s_mul_hi_u32 s1, s5, s17
	s_wait_alu 0xfffe
	s_add_co_u32 s21, s36, s21
	s_add_co_ci_u32 s36, s37, s9
	s_add_co_ci_u32 s39, s1, 0
	s_mul_i32 s38, s5, s17
	s_mov_b32 s37, s8
	s_wait_alu 0xfffe
	s_add_nc_u64 s[36:37], s[36:37], s[38:39]
	s_wait_alu 0xfffe
	s_mul_u64 s[38:39], s[6:7], s[36:37]
	s_add_nc_u64 s[40:41], s[36:37], 1
	s_sub_co_u32 s1, s4, s38
	s_cselect_b32 s4, -1, 0
	s_sub_co_i32 s9, s5, s39
	s_wait_alu 0xfffe
	s_cmp_lg_u32 s4, 0
	s_add_nc_u64 s[42:43], s[36:37], 2
	s_sub_co_ci_u32 s9, s9, s7
	s_sub_co_u32 s17, s1, s6
	s_cselect_b32 s21, -1, 0
	s_delay_alu instid0(SALU_CYCLE_1)
	s_cmp_lg_u32 s21, 0
	s_wait_alu 0xfffe
	s_sub_co_ci_u32 s9, s9, 0
	s_wait_alu 0xfffe
	s_cmp_ge_u32 s9, s7
	s_cselect_b32 s21, -1, 0
	s_cmp_ge_u32 s17, s6
	s_cselect_b32 s17, -1, 0
	s_cmp_eq_u32 s9, s7
	s_wait_alu 0xfffe
	s_cselect_b32 s9, s17, s21
	s_wait_alu 0xfffe
	s_cmp_lg_u32 s9, 0
	s_cselect_b32 s9, s42, s40
	s_cselect_b32 s17, s43, s41
	s_cmp_lg_u32 s4, 0
	s_sub_co_ci_u32 s4, s5, s39
	s_wait_alu 0xfffe
	s_cmp_ge_u32 s4, s7
	s_cselect_b32 s5, -1, 0
	s_cmp_ge_u32 s1, s6
	s_cselect_b32 s1, -1, 0
	s_cmp_eq_u32 s4, s7
	s_wait_alu 0xfffe
	s_cselect_b32 s1, s1, s5
	s_wait_alu 0xfffe
	s_cmp_lg_u32 s1, 0
	s_cselect_b32 s5, s17, s37
	s_cselect_b32 s4, s9, s36
	s_xor_b64 s[2:3], s[2:3], 0
	s_wait_alu 0xfffe
	s_xor_b64 s[4:5], s[4:5], s[2:3]
	s_wait_alu 0xfffe
	s_sub_nc_u64 s[38:39], s[4:5], s[2:3]
	s_mov_b32 s2, 0
.LBB51_11:                              ;   in Loop: Header=BB51_9 Depth=1
	s_wait_alu 0xfffe
	s_and_not1_b32 vcc_lo, exec_lo, s2
	s_wait_alu 0xfffe
	s_cbranch_vccnz .LBB51_13
; %bb.12:                               ;   in Loop: Header=BB51_9 Depth=1
	v_readfirstlane_b32 s1, v4
	s_sub_co_i32 s2, 0, s16
	s_wait_alu 0xfffe
	s_mul_i32 s2, s2, s1
	s_wait_alu 0xfffe
	s_mul_hi_u32 s2, s1, s2
	s_wait_alu 0xfffe
	s_add_co_i32 s1, s1, s2
	s_wait_alu 0xfffe
	s_mul_hi_u32 s1, s0, s1
	s_wait_alu 0xfffe
	s_mul_i32 s2, s1, s16
	s_wait_alu 0xfffe
	s_sub_co_i32 s0, s0, s2
	s_add_co_i32 s2, s1, 1
	s_wait_alu 0xfffe
	s_sub_co_i32 s3, s0, s16
	s_cmp_ge_u32 s0, s16
	s_cselect_b32 s1, s2, s1
	s_wait_alu 0xfffe
	s_cselect_b32 s0, s3, s0
	s_add_co_i32 s2, s1, 1
	s_wait_alu 0xfffe
	s_cmp_ge_u32 s0, s16
	s_cselect_b32 s38, s2, s1
.LBB51_13:                              ;   in Loop: Header=BB51_9 Depth=1
	v_readfirstlane_b32 s9, v0
	s_cmp_lg_u32 s20, s38
	s_mov_b32 s0, -1
                                        ; implicit-def: $sgpr21
                                        ; implicit-def: $vgpr6
                                        ; implicit-def: $vgpr7
                                        ; implicit-def: $sgpr17
                                        ; implicit-def: $sgpr27
	s_cbranch_scc1 .LBB51_16
; %bb.14:                               ;   in Loop: Header=BB51_9 Depth=1
	s_wait_alu 0xfffe
	s_and_not1_b32 vcc_lo, exec_lo, s0
	s_wait_alu 0xfffe
	s_cbranch_vccz .LBB51_19
.LBB51_15:                              ;   in Loop: Header=BB51_9 Depth=1
	s_and_not1_b32 vcc_lo, exec_lo, s21
	s_wait_alu 0xfffe
	s_cbranch_vccnz .LBB51_20
	s_branch .LBB51_23
.LBB51_16:                              ;   in Loop: Header=BB51_9 Depth=1
	s_add_co_i32 s0, s34, s16
	s_mov_b32 s1, s8
	s_wait_alu 0xfffe
	s_lshl_b32 s0, s0, 3
	v_max_num_f32_e64 v6, s26, s26
	s_wait_alu 0xfffe
	s_add_co_i32 s0, s0, s15
	s_mov_b32 s39, s8
	s_wait_alu 0xfffe
	s_lshl_b64 s[0:1], s[0:1], 3
	s_mul_u64 s[40:41], s[38:39], s[22:23]
	s_wait_alu 0xfffe
	s_add_nc_u64 s[0:1], s[10:11], s[0:1]
	s_mov_b32 s27, s20
	s_load_b64 s[36:37], s[0:1], 0x0
	v_readfirstlane_b32 s0, v6
	s_wait_kmcnt 0x0
	v_max_num_f32_e64 v7, s36, s36
	s_delay_alu instid0(VALU_DEP_1) | instskip(SKIP_2) | instid1(SALU_CYCLE_2)
	v_readfirstlane_b32 s1, v7
	s_max_num_f32 s9, s0, s1
	s_wait_alu 0xfffe
	s_sub_f32 s33, s26, s9
	s_sub_f32 s35, s36, s9
	s_wait_alu 0xfffe
	s_delay_alu instid0(SALU_CYCLE_1)
	s_cmp_nlt_f32 s33, 0xc2ce8ed0
	s_cselect_b32 s0, -1, 0
	s_cmp_ngt_f32 s33, 0x42b17218
	s_cselect_b32 s1, -1, 0
	s_cmp_ge_f32 s33, 0xc1a00000
	s_cselect_b32 s2, -1, 0
	s_cmp_nlt_f32 s35, 0xc2ce8ed0
	s_cselect_b32 s3, -1, 0
	s_cmp_ngt_f32 s35, 0x42b17218
	s_cselect_b32 s4, -1, 0
	s_cmp_ge_f32 s35, 0xc1a00000
	s_cselect_b32 s5, -1, 0
	s_add_co_i32 s17, s41, s38
	s_wait_alu 0xfffe
	s_lshr_b32 s17, s17, s13
	s_wait_alu 0xfffe
	s_mul_i32 s21, s17, s14
	s_delay_alu instid0(SALU_CYCLE_1)
	s_cmp_eq_u32 s21, s38
	s_cselect_b32 s21, -1, 0
	s_cmp_lt_u32 s17, s12
	s_cselect_b32 s17, -1, 0
	s_wait_alu 0xfffe
	s_or_b32 s17, s17, s21
	s_mov_b32 s21, -1
	s_wait_alu 0xfffe
	s_and_b32 vcc_lo, exec_lo, s17
	s_mov_b32 s17, s34
	s_wait_alu 0xfffe
	s_cbranch_vccnz .LBB51_18
; %bb.17:                               ;   in Loop: Header=BB51_9 Depth=1
	s_add_co_i32 s17, s34, -1
	s_mov_b32 s21, 0
	s_mov_b32 s27, s38
.LBB51_18:                              ;   in Loop: Header=BB51_9 Depth=1
	v_lshl_add_u32 v6, s34, 11, v0
	s_mul_f32 s36, s35, 0x3fb8aa3b
	s_mul_f32 s38, s33, 0x3fb8aa3b
	s_wait_alu 0xfffe
	s_delay_alu instid0(SALU_CYCLE_1)
	s_xor_b32 s39, s36, 0x80000000
	v_ashrrev_i32_e32 v7, 31, v6
	s_rndne_f32 s40, s36
	s_fmamk_f32 s39, s35, 0x3fb8aa3b, s39
	s_xor_b32 s41, s38, 0x80000000
	s_rndne_f32 s42, s38
	v_lshlrev_b64_e32 v[6:7], 2, v[6:7]
	s_sub_f32 s36, s36, s40
	s_fmamk_f32 s35, s35, 0x32a5705f, s39
	s_fmamk_f32 s39, s33, 0x3fb8aa3b, s41
	s_sub_f32 s38, s38, s42
	s_delay_alu instid0(VALU_DEP_1)
	v_add_co_u32 v6, vcc_lo, s24, v6
	s_wait_alu 0xfffd
	v_add_co_ci_u32_e64 v7, null, s25, v7, vcc_lo
	s_wait_alu 0xfffe
	s_add_f32 s35, s36, s35
	s_fmamk_f32 s33, s33, 0x32a5705f, s39
	s_cvt_i32_f32 s36, s40
	global_load_b32 v6, v[6:7], off
	s_wait_alu 0xfffe
	v_s_exp_f32 s35, s35
	s_add_f32 s33, s38, s33
	s_wait_alu 0xfffe
	s_delay_alu instid0(SALU_CYCLE_2) | instskip(NEXT) | instid1(TRANS32_DEP_2)
	v_s_exp_f32 s33, s33
	v_ldexp_f32 v7, s35, s36
	s_cvt_i32_f32 s35, s42
	s_wait_alu 0xf1fe
	s_delay_alu instid0(TRANS32_DEP_1) | instid1(SALU_CYCLE_2)
	v_ldexp_f32 v8, s33, s35
	s_delay_alu instid0(VALU_DEP_2) | instskip(NEXT) | instid1(VALU_DEP_2)
	v_cndmask_b32_e64 v7, 0, v7, s3
	v_cndmask_b32_e64 v8, 0, v8, s0
	s_delay_alu instid0(VALU_DEP_2) | instskip(NEXT) | instid1(VALU_DEP_2)
	v_cndmask_b32_e64 v7, 0x7f800000, v7, s4
	v_cndmask_b32_e64 v8, 0x7f800000, v8, s1
	;; [unrolled: 3-line block ×3, first 2 shown]
	s_wait_loadcnt 0x0
	s_delay_alu instid0(VALU_DEP_2) | instskip(SKIP_1) | instid1(VALU_DEP_1)
	v_mul_f32_e32 v6, v6, v7
	v_mul_f32_e32 v7, s37, v7
	v_fmac_f32_e32 v7, v5, v8
	s_delay_alu instid0(VALU_DEP_3)
	v_fmac_f32_e32 v6, v3, v8
	s_cbranch_execnz .LBB51_15
.LBB51_19:                              ;   in Loop: Header=BB51_9 Depth=1
	s_wait_loadcnt 0x0
	v_dual_mov_b32 v7, v5 :: v_dual_mov_b32 v6, v3
	s_add_co_i32 s17, s34, -1
	s_mov_b32 s27, s20
	s_mov_b32 s9, s26
	s_cbranch_execz .LBB51_23
.LBB51_20:                              ;   in Loop: Header=BB51_9 Depth=1
	v_mov_b32_e32 v5, v7
	s_wait_loadcnt 0x0
	v_mov_b32_e32 v3, v6
	s_wait_alu 0xfffe
	s_mov_b32 s20, s27
	s_mov_b32 s34, s17
	;; [unrolled: 1-line block ×3, first 2 shown]
	s_branch .LBB51_9
.LBB51_21:
                                        ; implicit-def: $sgpr20_sgpr21
	s_branch .LBB51_2
.LBB51_22:
                                        ; implicit-def: $sgpr10_sgpr11
	s_load_b96 s[12:14], s[0:1], 0x44
	s_branch .LBB51_5
.LBB51_23:
	v_div_scale_f32 v0, null, v7, v7, v6
	s_wait_loadcnt 0x0
	s_delay_alu instid0(VALU_DEP_1) | instskip(NEXT) | instid1(TRANS32_DEP_1)
	v_rcp_f32_e32 v3, v0
	v_fma_f32 v4, -v0, v3, 1.0
	s_delay_alu instid0(VALU_DEP_1) | instskip(SKIP_1) | instid1(VALU_DEP_1)
	v_fmac_f32_e32 v3, v4, v3
	v_div_scale_f32 v4, vcc_lo, v6, v7, v6
	v_mul_f32_e32 v5, v4, v3
	s_delay_alu instid0(VALU_DEP_1) | instskip(NEXT) | instid1(VALU_DEP_1)
	v_fma_f32 v8, -v0, v5, v4
	v_fmac_f32_e32 v5, v8, v3
	s_delay_alu instid0(VALU_DEP_1) | instskip(SKIP_1) | instid1(VALU_DEP_1)
	v_fma_f32 v0, -v0, v5, v4
	s_wait_alu 0xfffd
	v_div_fmas_f32 v0, v0, v3, v5
	s_delay_alu instid0(VALU_DEP_1)
	v_div_fixup_f32 v0, v0, v7, v6
	global_store_b32 v[1:2], v0, off
.LBB51_24:
	s_endpgm
	.section	.rodata,"a",@progbits
	.p2align	6, 0x0
	.amdhsa_kernel _ZL33flash_attn_stream_k_fixup_generalILi256ELi8ELi1EEvPfPK15HIP_vector_typeIfLj2EEiiiiS1_IjLj3EES5_S5_S5_
		.amdhsa_group_segment_fixed_size 0
		.amdhsa_private_segment_fixed_size 0
		.amdhsa_kernarg_size 336
		.amdhsa_user_sgpr_count 2
		.amdhsa_user_sgpr_dispatch_ptr 0
		.amdhsa_user_sgpr_queue_ptr 0
		.amdhsa_user_sgpr_kernarg_segment_ptr 1
		.amdhsa_user_sgpr_dispatch_id 0
		.amdhsa_user_sgpr_private_segment_size 0
		.amdhsa_wavefront_size32 1
		.amdhsa_uses_dynamic_stack 0
		.amdhsa_enable_private_segment 0
		.amdhsa_system_sgpr_workgroup_id_x 1
		.amdhsa_system_sgpr_workgroup_id_y 1
		.amdhsa_system_sgpr_workgroup_id_z 1
		.amdhsa_system_sgpr_workgroup_info 0
		.amdhsa_system_vgpr_workitem_id 0
		.amdhsa_next_free_vgpr 9
		.amdhsa_next_free_sgpr 44
		.amdhsa_reserve_vcc 1
		.amdhsa_float_round_mode_32 0
		.amdhsa_float_round_mode_16_64 0
		.amdhsa_float_denorm_mode_32 3
		.amdhsa_float_denorm_mode_16_64 3
		.amdhsa_fp16_overflow 0
		.amdhsa_workgroup_processor_mode 1
		.amdhsa_memory_ordered 1
		.amdhsa_forward_progress 1
		.amdhsa_inst_pref_size 28
		.amdhsa_round_robin_scheduling 0
		.amdhsa_exception_fp_ieee_invalid_op 0
		.amdhsa_exception_fp_denorm_src 0
		.amdhsa_exception_fp_ieee_div_zero 0
		.amdhsa_exception_fp_ieee_overflow 0
		.amdhsa_exception_fp_ieee_underflow 0
		.amdhsa_exception_fp_ieee_inexact 0
		.amdhsa_exception_int_div_zero 0
	.end_amdhsa_kernel
	.section	.text._ZL33flash_attn_stream_k_fixup_generalILi256ELi8ELi1EEvPfPK15HIP_vector_typeIfLj2EEiiiiS1_IjLj3EES5_S5_S5_,"axG",@progbits,_ZL33flash_attn_stream_k_fixup_generalILi256ELi8ELi1EEvPfPK15HIP_vector_typeIfLj2EEiiiiS1_IjLj3EES5_S5_S5_,comdat
.Lfunc_end51:
	.size	_ZL33flash_attn_stream_k_fixup_generalILi256ELi8ELi1EEvPfPK15HIP_vector_typeIfLj2EEiiiiS1_IjLj3EES5_S5_S5_, .Lfunc_end51-_ZL33flash_attn_stream_k_fixup_generalILi256ELi8ELi1EEvPfPK15HIP_vector_typeIfLj2EEiiiiS1_IjLj3EES5_S5_S5_
                                        ; -- End function
	.set _ZL33flash_attn_stream_k_fixup_generalILi256ELi8ELi1EEvPfPK15HIP_vector_typeIfLj2EEiiiiS1_IjLj3EES5_S5_S5_.num_vgpr, 9
	.set _ZL33flash_attn_stream_k_fixup_generalILi256ELi8ELi1EEvPfPK15HIP_vector_typeIfLj2EEiiiiS1_IjLj3EES5_S5_S5_.num_agpr, 0
	.set _ZL33flash_attn_stream_k_fixup_generalILi256ELi8ELi1EEvPfPK15HIP_vector_typeIfLj2EEiiiiS1_IjLj3EES5_S5_S5_.numbered_sgpr, 44
	.set _ZL33flash_attn_stream_k_fixup_generalILi256ELi8ELi1EEvPfPK15HIP_vector_typeIfLj2EEiiiiS1_IjLj3EES5_S5_S5_.num_named_barrier, 0
	.set _ZL33flash_attn_stream_k_fixup_generalILi256ELi8ELi1EEvPfPK15HIP_vector_typeIfLj2EEiiiiS1_IjLj3EES5_S5_S5_.private_seg_size, 0
	.set _ZL33flash_attn_stream_k_fixup_generalILi256ELi8ELi1EEvPfPK15HIP_vector_typeIfLj2EEiiiiS1_IjLj3EES5_S5_S5_.uses_vcc, 1
	.set _ZL33flash_attn_stream_k_fixup_generalILi256ELi8ELi1EEvPfPK15HIP_vector_typeIfLj2EEiiiiS1_IjLj3EES5_S5_S5_.uses_flat_scratch, 0
	.set _ZL33flash_attn_stream_k_fixup_generalILi256ELi8ELi1EEvPfPK15HIP_vector_typeIfLj2EEiiiiS1_IjLj3EES5_S5_S5_.has_dyn_sized_stack, 0
	.set _ZL33flash_attn_stream_k_fixup_generalILi256ELi8ELi1EEvPfPK15HIP_vector_typeIfLj2EEiiiiS1_IjLj3EES5_S5_S5_.has_recursion, 0
	.set _ZL33flash_attn_stream_k_fixup_generalILi256ELi8ELi1EEvPfPK15HIP_vector_typeIfLj2EEiiiiS1_IjLj3EES5_S5_S5_.has_indirect_call, 0
	.section	.AMDGPU.csdata,"",@progbits
; Kernel info:
; codeLenInByte = 3556
; TotalNumSgprs: 46
; NumVgprs: 9
; ScratchSize: 0
; MemoryBound: 0
; FloatMode: 240
; IeeeMode: 1
; LDSByteSize: 0 bytes/workgroup (compile time only)
; SGPRBlocks: 0
; VGPRBlocks: 1
; NumSGPRsForWavesPerEU: 46
; NumVGPRsForWavesPerEU: 9
; Occupancy: 16
; WaveLimiterHint : 0
; COMPUTE_PGM_RSRC2:SCRATCH_EN: 0
; COMPUTE_PGM_RSRC2:USER_SGPR: 2
; COMPUTE_PGM_RSRC2:TRAP_HANDLER: 0
; COMPUTE_PGM_RSRC2:TGID_X_EN: 1
; COMPUTE_PGM_RSRC2:TGID_Y_EN: 1
; COMPUTE_PGM_RSRC2:TGID_Z_EN: 1
; COMPUTE_PGM_RSRC2:TIDIG_COMP_CNT: 0
	.section	.text._ZL15flash_attn_tileILi256ELi256ELi4ELi1ELb0EEvPKcS1_S1_S1_S1_PKiPfP15HIP_vector_typeIfLj2EEffffjfiS5_IjLj3EEiiiiiiiiiiiliiliiiiil,"axG",@progbits,_ZL15flash_attn_tileILi256ELi256ELi4ELi1ELb0EEvPKcS1_S1_S1_S1_PKiPfP15HIP_vector_typeIfLj2EEffffjfiS5_IjLj3EEiiiiiiiiiiiliiliiiiil,comdat
	.globl	_ZL15flash_attn_tileILi256ELi256ELi4ELi1ELb0EEvPKcS1_S1_S1_S1_PKiPfP15HIP_vector_typeIfLj2EEffffjfiS5_IjLj3EEiiiiiiiiiiiliiliiiiil ; -- Begin function _ZL15flash_attn_tileILi256ELi256ELi4ELi1ELb0EEvPKcS1_S1_S1_S1_PKiPfP15HIP_vector_typeIfLj2EEffffjfiS5_IjLj3EEiiiiiiiiiiiliiliiiiil
	.p2align	8
	.type	_ZL15flash_attn_tileILi256ELi256ELi4ELi1ELb0EEvPKcS1_S1_S1_S1_PKiPfP15HIP_vector_typeIfLj2EEffffjfiS5_IjLj3EEiiiiiiiiiiiliiliiiiil,@function
_ZL15flash_attn_tileILi256ELi256ELi4ELi1ELb0EEvPKcS1_S1_S1_S1_PKiPfP15HIP_vector_typeIfLj2EEffffjfiS5_IjLj3EEiiiiiiiiiiiliiliiiiil: ; @_ZL15flash_attn_tileILi256ELi256ELi4ELi1ELb0EEvPKcS1_S1_S1_S1_PKiPfP15HIP_vector_typeIfLj2EEffffjfiS5_IjLj3EEiiiiiiiiiiiliiliiiiil
; %bb.0:
	s_clause 0x1
	s_load_b128 s[20:23], s[0:1], 0x5c
	s_load_b64 s[2:3], s[0:1], 0x80
	s_lshr_b32 s6, ttmp7, 16
	s_load_b64 s[38:39], s[0:1], 0xb8
	s_mov_b32 s37, 0
	s_mov_b64 s[34:35], 0
	s_wait_kmcnt 0x0
	s_cvt_f32_u32 s4, s23
	s_sub_co_i32 s5, 0, s23
	s_delay_alu instid0(SALU_CYCLE_2) | instskip(NEXT) | instid1(TRANS32_DEP_1)
	v_rcp_iflag_f32_e32 v1, s4
	v_readfirstlane_b32 s4, v1
	s_mul_f32 s4, s4, 0x4f7ffffe
	s_wait_alu 0xfffe
	s_delay_alu instid0(SALU_CYCLE_2) | instskip(SKIP_1) | instid1(SALU_CYCLE_2)
	s_cvt_u32_f32 s4, s4
	s_wait_alu 0xfffe
	s_mul_i32 s5, s5, s4
	s_wait_alu 0xfffe
	s_mul_hi_u32 s5, s4, s5
	s_wait_alu 0xfffe
	s_add_co_i32 s4, s4, s5
	s_wait_alu 0xfffe
	s_mul_hi_u32 s4, s6, s4
	s_wait_alu 0xfffe
	s_mul_i32 s5, s4, s23
	s_add_co_i32 s7, s4, 1
	s_wait_alu 0xfffe
	s_sub_co_i32 s5, s6, s5
	s_wait_alu 0xfffe
	s_sub_co_i32 s8, s5, s23
	s_cmp_ge_u32 s5, s23
	s_cselect_b32 s4, s7, s4
	s_cselect_b32 s5, s8, s5
	s_wait_alu 0xfffe
	s_add_co_i32 s7, s4, 1
	s_cmp_ge_u32 s5, s23
	s_cselect_b32 s28, s7, s4
	s_abs_i32 s4, s3
	s_abs_i32 s9, s23
	s_wait_alu 0xfffe
	s_cvt_f32_u32 s5, s4
	s_sub_co_i32 s7, 0, s4
	s_mul_i32 s8, s28, s23
	s_xor_b32 s3, s23, s3
	s_wait_alu 0xfffe
	v_rcp_iflag_f32_e32 v1, s5
	s_sub_co_i32 s30, s6, s8
	s_ashr_i32 s3, s3, 31
	s_delay_alu instid0(TRANS32_DEP_1) | instskip(SKIP_2) | instid1(SALU_CYCLE_2)
	v_readfirstlane_b32 s5, v1
	s_mul_f32 s5, s5, 0x4f7ffffe
	s_wait_alu 0xfffe
	s_cvt_u32_f32 s5, s5
	s_wait_alu 0xfffe
	s_delay_alu instid0(SALU_CYCLE_2) | instskip(NEXT) | instid1(SALU_CYCLE_1)
	s_mul_i32 s7, s7, s5
	s_mul_hi_u32 s7, s5, s7
	s_delay_alu instid0(SALU_CYCLE_1)
	s_add_co_i32 s5, s5, s7
	s_wait_alu 0xfffe
	s_mul_hi_u32 s5, s9, s5
	s_wait_alu 0xfffe
	s_mul_i32 s6, s5, s4
	s_add_co_i32 s7, s5, 1
	s_sub_co_i32 s6, s9, s6
	s_delay_alu instid0(SALU_CYCLE_1)
	s_sub_co_i32 s8, s6, s4
	s_cmp_ge_u32 s6, s4
	s_cselect_b32 s5, s7, s5
	s_cselect_b32 s6, s8, s6
	s_wait_alu 0xfffe
	s_add_co_i32 s7, s5, 1
	s_cmp_ge_u32 s6, s4
	s_cselect_b32 s4, s7, s5
	s_abs_i32 s36, s30
	s_wait_alu 0xfffe
	s_xor_b32 s4, s4, s3
	s_wait_alu 0xfffe
	s_sub_co_i32 s29, s4, s3
	s_delay_alu instid0(SALU_CYCLE_1) | instskip(NEXT) | instid1(SALU_CYCLE_1)
	s_abs_i32 s3, s29
	s_cvt_f32_u32 s4, s3
	s_sub_co_i32 s25, 0, s3
	s_wait_alu 0xfffe
	s_delay_alu instid0(SALU_CYCLE_1) | instskip(SKIP_1) | instid1(TRANS32_DEP_1)
	v_rcp_iflag_f32_e32 v1, s4
	s_load_b512 s[4:19], s[0:1], 0x0
	v_readfirstlane_b32 s24, v1
	s_mul_f32 s24, s24, 0x4f7ffffe
	s_delay_alu instid0(SALU_CYCLE_3) | instskip(NEXT) | instid1(SALU_CYCLE_3)
	s_cvt_u32_f32 s24, s24
	s_mul_i32 s25, s25, s24
	s_delay_alu instid0(SALU_CYCLE_1) | instskip(NEXT) | instid1(SALU_CYCLE_1)
	s_mul_hi_u32 s25, s24, s25
	s_add_co_i32 s40, s24, s25
	s_wait_kmcnt 0x0
	s_cmp_eq_u64 s[10:11], 0
	s_cbranch_scc1 .LBB52_2
; %bb.1:
	s_abs_i32 s26, s38
	s_delay_alu instid0(SALU_CYCLE_1) | instskip(NEXT) | instid1(SALU_CYCLE_3)
	s_cvt_f32_u32 s24, s26
	v_rcp_iflag_f32_e32 v1, s24
	s_delay_alu instid0(TRANS32_DEP_1) | instskip(SKIP_2) | instid1(SALU_CYCLE_2)
	v_readfirstlane_b32 s24, v1
	s_mul_f32 s24, s24, 0x4f7ffffe
	s_wait_alu 0xfffe
	s_cvt_u32_f32 s27, s24
	s_sub_co_i32 s24, 0, s26
	s_wait_alu 0xfffe
	s_delay_alu instid0(SALU_CYCLE_1) | instskip(SKIP_4) | instid1(SALU_CYCLE_1)
	s_mul_i32 s24, s24, s27
	s_wait_alu 0xfffe
	s_mul_hi_u32 s31, s27, s24
	s_load_b64 s[24:25], s[0:1], 0xc8
	s_add_co_i32 s27, s27, s31
	s_mul_hi_u32 s27, s28, s27
	s_delay_alu instid0(SALU_CYCLE_1) | instskip(NEXT) | instid1(SALU_CYCLE_1)
	s_mul_i32 s27, s27, s26
	s_sub_co_i32 s27, s28, s27
	s_delay_alu instid0(SALU_CYCLE_1) | instskip(SKIP_2) | instid1(SALU_CYCLE_1)
	s_sub_co_i32 s31, s27, s26
	s_cmp_ge_u32 s27, s26
	s_cselect_b32 s27, s31, s27
	s_sub_co_i32 s31, s27, s26
	s_cmp_ge_u32 s27, s26
	s_cselect_b32 s26, s31, s27
	s_delay_alu instid0(SALU_CYCLE_1)
	s_ashr_i32 s27, s26, 31
	s_wait_kmcnt 0x0
	s_mul_u64 s[24:25], s[24:25], s[26:27]
	s_wait_alu 0xfffe
	s_add_nc_u64 s[34:35], s[10:11], s[24:25]
.LBB52_2:
	s_clause 0x1
	s_load_b128 s[24:27], s[0:1], 0x40
	s_load_b32 s10, s[0:1], 0x50
	v_mov_b32_e32 v50, 1.0
	s_mov_b32 s41, s37
	s_wait_kmcnt 0x0
	s_cmp_le_f32 s25, 0
	s_cbranch_scc1 .LBB52_4
; %bb.3:
	v_sub_co_u32 v1, s10, s30, s10
	s_and_b32 s25, s10, exec_lo
	s_cselect_b32 s25, s26, s27
	s_add_co_i32 s26, s30, 1
	v_readfirstlane_b32 s11, v1
	s_lshl_b32 s11, s11, 1
	s_wait_alu 0xfffe
	s_or_b32 s11, s11, 1
	s_and_b32 s10, s10, exec_lo
	s_wait_alu 0xfffe
	s_cselect_b32 s10, s26, s11
	s_cmp_neq_f32 s25, 1.0
	s_wait_alu 0xfffe
	s_cvt_f32_i32 s10, s10
	s_wait_alu 0xfffe
	s_delay_alu instid0(SALU_CYCLE_2)
	s_cselect_b32 s11, s10, 1.0
	s_wait_alu 0xfffe
	s_cmp_neq_f32 s11, 0
	s_cselect_b32 s10, s25, 1.0
	s_wait_alu 0xfffe
	v_frexp_mant_f32_e64 v1, |s10|
	s_delay_alu instid0(VALU_DEP_1) | instskip(SKIP_3) | instid1(SALU_CYCLE_1)
	v_readfirstlane_b32 s25, v1
	v_cvt_f64_f32_e64 v[1:2], |s10|
	s_cmp_lt_f32 s25, 0x3f2aaaab
	s_cselect_b32 s26, -1, 0
	s_and_b32 s27, s26, exec_lo
	s_cselect_b32 s27, 2.0, 1.0
	s_delay_alu instid0(SALU_CYCLE_1) | instskip(SKIP_1) | instid1(SALU_CYCLE_2)
	s_mul_f32 s25, s25, s27
	s_wait_alu 0xfffe
	s_add_f32 s27, s25, 1.0
	s_add_f32 s33, s25, -1.0
	s_delay_alu instid0(SALU_CYCLE_2) | instskip(SKIP_1) | instid1(SALU_CYCLE_3)
	v_s_rcp_f32 s31, s27
	s_add_f32 s43, s27, -1.0
	s_sub_f32 s25, s25, s43
	s_delay_alu instid0(TRANS32_DEP_1) | instskip(NEXT) | instid1(SALU_CYCLE_3)
	s_mul_f32 s38, s33, s31
	s_mul_f32 s42, s27, s38
	s_delay_alu instid0(SALU_CYCLE_3) | instskip(NEXT) | instid1(VALU_DEP_1)
	s_xor_b32 s44, s42, 0x80000000
	v_frexp_exp_i32_f64_e32 v1, v[1:2]
	s_fmac_f32 s44, s38, s27
	s_wait_alu 0xfffe
	s_delay_alu instid0(SALU_CYCLE_2) | instskip(NEXT) | instid1(SALU_CYCLE_3)
	s_fmac_f32 s44, s38, s25
	s_add_f32 s25, s42, s44
	s_wait_alu 0xfffe
	s_delay_alu instid0(SALU_CYCLE_2) | instskip(SKIP_2) | instid1(SALU_CYCLE_1)
	s_sub_f32 s27, s33, s25
	s_sub_f32 s42, s25, s42
	s_wait_alu 0xfffe
	s_sub_f32 s33, s33, s27
	s_delay_alu instid0(SALU_CYCLE_1) | instskip(NEXT) | instid1(SALU_CYCLE_2)
	s_sub_f32 s42, s42, s44
	s_sub_f32 s25, s33, s25
	s_wait_alu 0xfffe
	s_delay_alu instid0(SALU_CYCLE_2) | instskip(SKIP_2) | instid1(SALU_CYCLE_1)
	s_add_f32 s25, s42, s25
	s_mov_b32 s42, 0x3e76c4e1
	s_wait_alu 0xfffe
	s_add_f32 s25, s27, s25
	s_wait_alu 0xfffe
	s_delay_alu instid0(SALU_CYCLE_2) | instskip(SKIP_1) | instid1(SALU_CYCLE_2)
	s_mul_f32 s25, s31, s25
	s_wait_alu 0xfffe
	s_add_f32 s27, s38, s25
	s_wait_alu 0xfffe
	s_delay_alu instid0(SALU_CYCLE_2) | instskip(SKIP_2) | instid1(SALU_CYCLE_1)
	s_sub_f32 s31, s27, s38
	s_mul_f32 s33, s27, s27
	s_wait_alu 0xfffe
	s_sub_f32 s25, s25, s31
	s_delay_alu instid0(SALU_CYCLE_1) | instskip(SKIP_4) | instid1(SALU_CYCLE_2)
	s_xor_b32 s31, s33, 0x80000000
	s_wait_alu 0xfffe
	s_fmac_f32 s31, s27, s27
	s_add_f32 s38, s25, s25
	s_wait_alu 0xfffe
	s_fmac_f32 s31, s27, s38
	s_wait_alu 0xfffe
	s_delay_alu instid0(SALU_CYCLE_2) | instskip(NEXT) | instid1(SALU_CYCLE_3)
	s_add_f32 s38, s33, s31
	s_fmaak_f32 s42, s38, s42, 0x3e91f4c4
	s_sub_f32 s33, s38, s33
	s_delay_alu instid0(SALU_CYCLE_2) | instskip(NEXT) | instid1(SALU_CYCLE_2)
	s_fmaak_f32 s42, s38, s42, 0x3ecccdef
	s_sub_f32 s31, s31, s33
	s_mul_f32 s33, s27, s38
	s_delay_alu instid0(SALU_CYCLE_1) | instskip(NEXT) | instid1(SALU_CYCLE_2)
	s_mul_f32 s43, s38, s42
	s_xor_b32 s45, s33, 0x80000000
	s_delay_alu instid0(SALU_CYCLE_2) | instskip(SKIP_2) | instid1(SALU_CYCLE_2)
	s_xor_b32 s44, s43, 0x80000000
	s_fmac_f32 s45, s38, s27
	s_fmac_f32 s44, s38, s42
	s_fmac_f32 s45, s38, s25
	s_wait_alu 0xfffe
	s_delay_alu instid0(SALU_CYCLE_1) | instskip(NEXT) | instid1(SALU_CYCLE_1)
	s_fmac_f32 s44, s31, s42
	s_fmac_f32 s45, s31, s27
	s_delay_alu instid0(SALU_CYCLE_2) | instskip(NEXT) | instid1(SALU_CYCLE_3)
	s_add_f32 s42, s43, s44
	s_sub_f32 s43, s42, s43
	s_add_f32 s46, s42, 0x3f2aaaaa
	s_delay_alu instid0(SALU_CYCLE_2) | instskip(NEXT) | instid1(SALU_CYCLE_2)
	s_sub_f32 s43, s44, s43
	s_add_f32 s44, s46, 0xbf2aaaaa
	s_delay_alu instid0(SALU_CYCLE_2) | instskip(NEXT) | instid1(SALU_CYCLE_2)
	s_add_f32 s38, s43, 0x31739010
	s_sub_f32 s42, s42, s44
	s_delay_alu instid0(SALU_CYCLE_3) | instskip(SKIP_2) | instid1(SALU_CYCLE_1)
	s_add_f32 s31, s38, s42
	s_add_f32 s38, s33, s45
	s_wait_alu 0xfffe
	s_add_f32 s42, s46, s31
	s_delay_alu instid0(SALU_CYCLE_1) | instskip(NEXT) | instid1(SALU_CYCLE_2)
	s_sub_f32 s33, s38, s33
	s_mul_f32 s43, s38, s42
	s_sub_f32 s44, s46, s42
	s_delay_alu instid0(SALU_CYCLE_1) | instskip(NEXT) | instid1(SALU_CYCLE_1)
	s_sub_f32 s33, s45, s33
	s_xor_b32 s46, s43, 0x80000000
	s_delay_alu instid0(SALU_CYCLE_1)
	s_add_f32 s31, s31, s44
	s_fmac_f32 s46, s38, s42
	v_readfirstlane_b32 s44, v1
	v_ldexp_f32 v1, s27, 1
	s_cmp_lg_u32 s26, 0
	s_wait_alu 0xfffe
	s_fmac_f32 s46, s38, s31
	s_sub_co_ci_u32 s26, s44, 0
	v_readfirstlane_b32 s27, v1
	s_delay_alu instid0(SALU_CYCLE_1)
	s_fmac_f32 s46, s33, s42
	s_wait_alu 0xfffe
	s_cvt_f32_i32 s26, s26
	v_ldexp_f32 v1, s25, 1
	s_add_f32 s31, s43, s46
	s_wait_alu 0xfffe
	s_mul_f32 s25, s26, 0x3f317218
	s_delay_alu instid0(VALU_DEP_1)
	v_readfirstlane_b32 s42, v1
	s_add_f32 s33, s27, s31
	s_sub_f32 s38, s31, s43
	s_wait_alu 0xfffe
	s_xor_b32 s43, s25, 0x80000000
	s_sub_f32 s27, s33, s27
	s_sub_f32 s38, s46, s38
	s_fmamk_f32 s43, s26, 0x3f317218, s43
	s_wait_alu 0xfffe
	s_sub_f32 s27, s31, s27
	s_add_f32 s31, s42, s38
	s_fmamk_f32 s26, s26, 0xb102e308, s43
	s_wait_alu 0xfffe
	s_delay_alu instid0(SALU_CYCLE_1) | instskip(NEXT) | instid1(SALU_CYCLE_1)
	s_add_f32 s27, s31, s27
	s_add_f32 s31, s25, s26
	s_wait_alu 0xfffe
	s_delay_alu instid0(SALU_CYCLE_1) | instskip(NEXT) | instid1(SALU_CYCLE_1)
	s_add_f32 s38, s33, s27
	s_sub_f32 s25, s31, s25
	s_delay_alu instid0(SALU_CYCLE_2)
	s_add_f32 s42, s31, s38
	s_sub_f32 s33, s38, s33
	s_wait_alu 0xfffe
	s_sub_f32 s25, s26, s25
	s_sub_f32 s43, s42, s31
	;; [unrolled: 1-line block ×3, first 2 shown]
	s_delay_alu instid0(SALU_CYCLE_2)
	s_sub_f32 s44, s42, s43
	s_sub_f32 s27, s38, s43
	s_wait_alu 0xfffe
	s_add_f32 s33, s25, s26
	s_sub_f32 s31, s31, s44
	s_wait_alu 0xfffe
	s_delay_alu instid0(SALU_CYCLE_2) | instskip(SKIP_2) | instid1(SALU_CYCLE_1)
	s_add_f32 s27, s27, s31
	s_sub_f32 s31, s33, s25
	s_wait_alu 0xfffe
	s_add_f32 s27, s33, s27
	s_delay_alu instid0(SALU_CYCLE_1) | instskip(SKIP_4) | instid1(SALU_CYCLE_2)
	s_sub_f32 s33, s33, s31
	s_sub_f32 s26, s26, s31
	s_wait_alu 0xfffe
	s_add_f32 s38, s42, s27
	s_sub_f32 s25, s25, s33
	s_sub_f32 s31, s38, s42
	s_wait_alu 0xfffe
	s_delay_alu instid0(SALU_CYCLE_1) | instskip(NEXT) | instid1(SALU_CYCLE_1)
	s_add_f32 s25, s26, s25
	s_sub_f32 s26, s27, s31
	s_wait_alu 0xfffe
	s_delay_alu instid0(SALU_CYCLE_2) | instskip(SKIP_1) | instid1(SALU_CYCLE_2)
	s_add_f32 s25, s25, s26
	s_wait_alu 0xfffe
	s_add_f32 s26, s38, s25
	s_wait_alu 0xfffe
	s_delay_alu instid0(SALU_CYCLE_2) | instskip(SKIP_2) | instid1(SALU_CYCLE_1)
	s_mul_f32 s27, s11, s26
	s_sub_f32 s31, s26, s38
	s_wait_alu 0xfffe
	s_xor_b32 s33, s27, 0x80000000
	s_delay_alu instid0(SALU_CYCLE_1) | instskip(SKIP_2) | instid1(SALU_CYCLE_2)
	s_sub_f32 s25, s25, s31
	s_fmac_f32 s33, s11, s26
	s_wait_alu 0xfffe
	s_fmac_f32 s33, s11, s25
	v_cmp_class_f32_e64 s25, s27, 0x204
	s_delay_alu instid0(SALU_CYCLE_2) | instskip(SKIP_2) | instid1(SALU_CYCLE_1)
	s_add_f32 s26, s27, s33
	s_and_b32 s25, s25, exec_lo
	s_wait_alu 0xfffe
	s_sub_f32 s25, s26, s27
	s_cselect_b32 s26, s27, s26
	s_wait_alu 0xfffe
	s_and_b32 s27, s26, 0x7fffffff
	s_sub_f32 s25, s33, s25
	s_wait_alu 0xfffe
	s_cmp_neq_f32 s27, 0x7f800000
	s_delay_alu instid0(SALU_CYCLE_1)
	s_cselect_b32 s25, s25, 0
	s_cmp_eq_f32 s26, 0x42b17218
	s_cselect_b32 s27, 0x37000000, 0
	s_wait_alu 0xfffe
	s_sub_f32 s26, s26, s27
	s_add_f32 s25, s27, s25
	s_wait_alu 0xfffe
	s_delay_alu instid0(SALU_CYCLE_1) | instskip(SKIP_1) | instid1(SALU_CYCLE_2)
	s_mul_f32 s31, s26, 0x3fb8aa3b
	s_wait_alu 0xfffe
	s_xor_b32 s33, s31, 0x80000000
	s_rndne_f32 s38, s31
	s_fmamk_f32 s33, s26, 0x3fb8aa3b, s33
	s_cmp_nlt_f32 s26, 0xc2ce8ed0
	s_delay_alu instid0(SALU_CYCLE_1) | instskip(NEXT) | instid1(SALU_CYCLE_1)
	s_sub_f32 s31, s31, s38
	s_fmamk_f32 s33, s26, 0x32a5705f, s33
	s_cselect_b32 vcc_lo, -1, 0
	s_cmp_ngt_f32 s26, 0x42b17218
	s_trunc_f32 s26, s11
	s_wait_alu 0xfffe
	s_add_f32 s31, s31, s33
	s_cvt_i32_f32 s33, s38
	s_wait_alu 0xfffe
	s_delay_alu instid0(SALU_CYCLE_1) | instskip(SKIP_1) | instid1(TRANS32_DEP_1)
	v_s_exp_f32 s31, s31
	s_wait_alu 0xf1ff
	v_ldexp_f32 v1, s31, s33
	s_mul_f32 s31, s11, 0.5
	s_delay_alu instid0(VALU_DEP_1)
	v_cndmask_b32_e32 v1, 0, v1, vcc_lo
	s_cselect_b32 vcc_lo, -1, 0
	s_cmp_eq_f32 s26, s11
	s_wait_alu 0xfffe
	s_trunc_f32 s33, s31
	v_cndmask_b32_e32 v1, 0x7f800000, v1, vcc_lo
	s_cselect_b32 s38, -1, 0
	s_wait_alu 0xfffe
	s_cmp_neq_f32 s33, s31
	s_delay_alu instid0(VALU_DEP_1)
	v_fma_f32 v2, s25, v1, v1
	v_cmp_class_f32_e64 vcc_lo, v1, 0x204
	s_cselect_b32 s27, -1, 0
	s_wait_alu 0xfffe
	s_and_b32 s25, s38, s27
	s_wait_alu 0xfffd
	v_cndmask_b32_e32 v1, v2, v1, vcc_lo
	s_wait_alu 0xfffe
	s_and_b32 s27, s25, exec_lo
	s_cselect_b32 s27, s10, 1.0
	s_cmp_eq_f32 s26, s11
	v_cmp_class_f32_e64 s26, s10, 0x204
	s_wait_alu 0xfffe
	v_bfi_b32 v1, 0x7fffffff, v1, s27
	s_cselect_b32 vcc_lo, -1, 0
	s_cmp_lt_f32 s10, 0
	s_wait_alu 0xfffe
	s_delay_alu instid0(VALU_DEP_1) | instskip(SKIP_3) | instid1(VALU_DEP_1)
	v_cndmask_b32_e32 v2, 0x7fc00000, v1, vcc_lo
	s_cselect_b32 vcc_lo, -1, 0
	s_cmp_eq_f32 s10, 0
	s_wait_alu 0xfffe
	v_cndmask_b32_e32 v1, v1, v2, vcc_lo
	s_cselect_b32 s27, -1, 0
	s_wait_alu 0xfffe
	s_or_b32 vcc_lo, s27, s26
	s_cmp_lt_f32 s11, 0
	s_cselect_b32 s11, -1, 0
	s_wait_alu 0xfffe
	s_xor_b32 s11, s11, s27
	s_wait_alu 0xfffe
	s_and_b32 s11, s11, exec_lo
	s_cselect_b32 s11, 0, 0x7f800000
	s_and_b32 s25, s25, exec_lo
	s_cselect_b32 s25, s10, 0
	s_cmp_o_f32 s10, s10
	s_wait_alu 0xfffe
	v_mov_b32_e32 v2, s25
	s_delay_alu instid0(VALU_DEP_1) | instskip(NEXT) | instid1(VALU_DEP_1)
	v_bfi_b32 v2, 0x7fffffff, s11, v2
	v_cndmask_b32_e32 v1, v1, v2, vcc_lo
	s_cselect_b32 vcc_lo, -1, 0
	s_wait_alu 0xfffe
	s_delay_alu instid0(VALU_DEP_1)
	v_cndmask_b32_e32 v50, 0x7fc00000, v1, vcc_lo
.LBB52_4:
	v_bfe_u32 v49, v0, 10, 10
	s_load_b96 s[44:46], s[0:1], 0x70
	v_and_b32_e32 v0, 0x3ff, v0
	s_ashr_i32 s31, s30, 31
	v_mov_b32_e32 v54, 0
	v_lshl_add_u32 v1, ttmp9, 2, v49
	v_lshlrev_b32_e32 v48, 9, v49
	v_lshlrev_b32_e32 v42, 3, v0
	;; [unrolled: 1-line block ×3, first 2 shown]
	s_delay_alu instid0(VALU_DEP_4) | instskip(NEXT) | instid1(VALU_DEP_4)
	v_mul_hi_u32 v2, s20, v1
	v_add_nc_u32_e32 v52, 0x4200, v48
	s_delay_alu instid0(VALU_DEP_2) | instskip(SKIP_3) | instid1(VALU_DEP_1)
	v_add_nc_u32_e32 v2, v1, v2
	s_wait_kmcnt 0x0
	s_mul_i32 s10, s30, s45
	s_ashr_i32 s45, s44, 31
	v_lshrrev_b32_e32 v2, s21, v2
	s_lshr_b64 s[20:21], s[44:45], 2
	s_lshr_b32 s11, s45, 2
	s_delay_alu instid0(VALU_DEP_1) | instskip(NEXT) | instid1(VALU_DEP_1)
	v_mul_lo_u32 v2, v2, s22
	v_sub_nc_u32_e32 v51, v1, v2
	s_wait_alu 0xfffe
	s_delay_alu instid0(VALU_DEP_1)
	v_mad_co_u64_u32 v[2:3], null, s20, v51, 0
	s_mul_i32 s20, s28, s46
	s_wait_alu 0xfffe
	s_ashr_i32 s21, s20, 31
	s_wait_alu 0xfffe
	s_add_nc_u64 s[4:5], s[4:5], s[20:21]
	v_mad_co_u64_u32 v[3:4], null, s11, v51, v[3:4]
	s_ashr_i32 s11, s10, 31
	v_lshlrev_b32_e32 v4, 4, v0
	s_wait_alu 0xfffe
	s_add_nc_u64 s[4:5], s[4:5], s[10:11]
	s_ashr_i32 s10, s29, 31
	s_mov_b32 s29, 0
	s_cmp_eq_u64 s[14:15], 0
	v_lshlrev_b64_e32 v[2:3], 2, v[2:3]
	s_wait_alu 0xfffe
	s_delay_alu instid0(VALU_DEP_1) | instskip(SKIP_1) | instid1(VALU_DEP_2)
	v_add_co_u32 v2, vcc_lo, s4, v2
	s_wait_alu 0xfffd
	v_add_co_ci_u32_e64 v3, null, s5, v3, vcc_lo
	s_mul_u64 s[4:5], s[36:37], s[40:41]
	v_add_co_u32 v6, vcc_lo, v2, v4
	s_wait_alu 0xfffd
	v_add_co_ci_u32_e64 v7, null, 0, v3, vcc_lo
	s_clause 0x1
	global_load_b128 v[2:5], v[6:7], off
	global_load_b128 v[6:9], v[6:7], off offset:512
	s_wait_loadcnt 0x1
	v_fma_mixlo_f16 v2, s24, v2, 0
	v_fma_mixlo_f16 v3, s24, v3, 0
	s_wait_loadcnt 0x0
	v_fma_mixlo_f16 v6, s24, v6, 0
	v_fma_mixlo_f16 v7, s24, v7, 0
	;; [unrolled: 1-line block ×6, first 2 shown]
	v_lshlrev_b32_e32 v3, 16, v3
	v_and_b32_e32 v2, 0xffff, v2
	v_lshlrev_b32_e32 v7, 16, v7
	v_and_b32_e32 v6, 0xffff, v6
	;; [unrolled: 2-line block ×4, first 2 shown]
	v_or_b32_e32 v2, v3, v2
	v_or_b32_e32 v6, v7, v6
	v_add_nc_u32_e32 v7, v52, v42
	v_or3_b32 v3, v5, v4, 0
	v_or3_b32 v5, v9, v8, 0
	;; [unrolled: 1-line block ×4, first 2 shown]
	ds_store_2addr_b64 v7, v[2:3], v[4:5] offset1:32
	s_wait_dscnt 0x0
	s_barrier_signal -1
	s_barrier_wait -1
	global_inv scope:SCOPE_SE
	s_cbranch_scc1 .LBB52_6
; %bb.5:
	s_load_b32 s2, s[0:1], 0xd0
	s_mov_b32 s21, s29
	s_wait_kmcnt 0x0
	s_mul_i32 s2, s2, s28
	s_delay_alu instid0(SALU_CYCLE_1)
	s_add_co_i32 s20, s2, ttmp9
	s_wait_alu 0xfffe
	s_lshl_b64 s[20:21], s[20:21], 2
	s_wait_alu 0xfffe
	s_add_nc_u64 s[14:15], s[14:15], s[20:21]
	s_load_b32 s2, s[14:15], 0x0
.LBB52_6:
	s_clause 0x2
	s_load_b64 s[14:15], s[0:1], 0x8c
	s_load_b128 s[24:27], s[0:1], 0x98
	s_load_b64 s[20:21], s[0:1], 0xa8
	s_mul_i32 s4, s5, s3
	s_ashr_i32 s11, s39, 1
	s_wait_alu 0xfffe
	s_sub_co_i32 s36, s36, s4
	s_xor_b32 s33, s31, s10
	s_add_co_i32 s10, s5, 1
	s_sub_co_i32 s37, s36, s3
	v_lshlrev_b32_e32 v47, 2, v40
	v_mul_u32_u24_e32 v53, 0x210, v0
	v_mbcnt_lo_u32_b32 v41, -1, 0
	s_wait_kmcnt 0x0
	s_ashr_i32 s4, s14, 2
	s_ashr_i32 s14, s26, 2
	s_cmp_ge_u32 s36, s3
	s_mul_u64 s[20:21], s[20:21], s[28:29]
	s_wait_alu 0xfffe
	s_cselect_b32 s5, s10, s5
	s_cselect_b32 s10, s37, s36
	s_add_nc_u64 s[8:9], s[8:9], s[20:21]
	s_wait_alu 0xfffe
	s_add_co_i32 s20, s5, 1
	s_cmp_ge_u32 s10, s3
	v_mul_lo_u32 v5, s4, v49
	v_mul_lo_u32 v2, s14, v49
	s_wait_alu 0xfffe
	s_cselect_b32 s5, s20, s5
	s_mul_u64 s[24:25], s[24:25], s[28:29]
	s_wait_alu 0xfffe
	s_xor_b32 s5, s5, s33
	s_add_nc_u64 s[6:7], s[6:7], s[24:25]
	s_wait_alu 0xfffe
	s_sub_co_i32 s5, s5, s33
	s_and_b32 s10, ttmp7, 0xffff
	s_wait_alu 0xfffe
	s_mul_i32 s20, s5, s15
	s_mul_i32 s24, s5, s27
	v_ashrrev_i32_e32 v6, 31, v5
	v_ashrrev_i32_e32 v3, 31, v2
	s_sub_co_i32 s3, s2, 32
	s_lshl_b32 s26, s10, 5
	s_wait_alu 0xfffe
	s_ashr_i32 s21, s20, 31
	s_ashr_i32 s25, s24, 31
	s_cmp_ge_i32 s26, s3
	s_wait_alu 0xfffe
	s_add_nc_u64 s[6:7], s[6:7], s[20:21]
	s_add_nc_u64 s[20:21], s[8:9], s[24:25]
	s_cbranch_scc1 .LBB52_12
; %bb.7:
	s_lshl_b32 s8, s4, 2
	s_ashr_i32 s5, s4, 31
	s_cmp_lg_u64 s[34:35], 0
	v_dual_mov_b32 v75, 0xfeffffff :: v_dual_add_nc_u32 v10, s8, v5
	s_cselect_b32 s24, -1, 0
	s_lshl_b32 s9, s14, 2
	s_delay_alu instid0(VALU_DEP_1)
	v_dual_mov_b32 v45, 0 :: v_dual_add_nc_u32 v12, s8, v10
	s_wait_alu 0xfffe
	v_add_nc_u32_e32 v26, s9, v2
	v_ashrrev_i32_e32 v11, 31, v10
	v_mad_u32_u24 v55, 0x210, v49, v47
	v_dual_mov_b32 v43, 0 :: v_dual_add_nc_u32 v14, s8, v12
	s_delay_alu instid0(VALU_DEP_4)
	v_add_nc_u32_e32 v28, s9, v26
	v_ashrrev_i32_e32 v13, 31, v12
	v_ashrrev_i32_e32 v27, 31, v26
	v_lshl_add_u32 v56, v49, 6, 0x4a00
	v_add_nc_u32_e32 v16, s8, v14
	v_add_nc_u32_e32 v30, s9, v28
	v_ashrrev_i32_e32 v15, 31, v14
	v_ashrrev_i32_e32 v29, 31, v28
	v_lshl_add_u32 v4, v49, 9, v47
	v_add_nc_u32_e32 v18, s8, v16
	v_add_nc_u32_e32 v32, s9, v30
	v_ashrrev_i32_e32 v17, 31, v16
	v_ashrrev_i32_e32 v31, 31, v30
	v_mad_co_u64_u32 v[7:8], null, v51, s11, v[0:1]
	s_delay_alu instid0(VALU_DEP_4)
	v_add_nc_u32_e32 v34, s9, v32
	v_add_nc_u32_e32 v20, s8, v18
	v_ashrrev_i32_e32 v19, 31, v18
	v_ashrrev_i32_e32 v33, 31, v32
	v_lshlrev_b64_e32 v[8:9], 2, v[5:6]
	v_add_nc_u32_e32 v36, s9, v34
	v_add_nc_u32_e32 v22, s8, v20
	v_ashrrev_i32_e32 v21, 31, v20
	v_ashrrev_i32_e32 v35, 31, v34
	v_lshlrev_b64_e32 v[10:11], 2, v[10:11]
	v_add_nc_u32_e32 v38, s9, v36
	v_ashrrev_i32_e32 v23, 31, v22
	v_ashrrev_i32_e32 v37, 31, v36
	v_lshlrev_b64_e32 v[12:13], 2, v[12:13]
	v_lshlrev_b64_e32 v[14:15], 2, v[14:15]
	v_ashrrev_i32_e32 v39, 31, v38
	v_lshlrev_b64_e32 v[16:17], 2, v[16:17]
	v_lshlrev_b64_e32 v[18:19], 2, v[18:19]
	;; [unrolled: 1-line block ×12, first 2 shown]
	v_dual_mov_b32 v74, 0 :: v_dual_add_nc_u32 v57, v48, v47
	v_add_nc_u32_e32 v58, 0x840, v55
	v_dual_mov_b32 v46, 0 :: v_dual_add_nc_u32 v59, 0x1080, v55
	v_add_nc_u32_e32 v60, 0x18c0, v55
	;; [unrolled: 2-line block ×3, first 2 shown]
	v_add_nc_u32_e32 v63, 0x3180, v55
	v_add_nc_u32_e32 v64, 0x39c0, v55
	v_lshl_add_u32 v65, v0, 1, v56
	v_add_nc_u32_e32 v66, 0x800, v4
	v_add_nc_u32_e32 v67, 0x1000, v4
	;; [unrolled: 1-line block ×7, first 2 shown]
	v_mbcnt_lo_u32_b32 v73, -1, 0
	s_ashr_i32 s15, s14, 31
	s_add_nc_u64 s[8:9], s[0:1], 0xd0
.LBB52_8:                               ; =>This Inner Loop Header: Depth=1
	s_ashr_i32 s27, s26, 31
	s_wait_alu 0xfffe
	s_mul_u64 s[36:37], s[26:27], s[4:5]
	s_wait_alu 0xfffe
	s_lshl_b64 s[36:37], s[36:37], 2
	s_wait_alu 0xfffe
	s_add_nc_u64 s[36:37], s[6:7], s[36:37]
	s_wait_alu 0xfffe
	v_add_co_u32 v4, vcc_lo, s36, v8
	s_wait_alu 0xfffd
	v_add_co_ci_u32_e64 v54, null, s37, v9, vcc_lo
	v_add_co_u32 v78, vcc_lo, s36, v10
	s_wait_alu 0xfffd
	v_add_co_ci_u32_e64 v79, null, s37, v11, vcc_lo
	v_add_co_u32 v76, vcc_lo, v4, v47
	s_wait_alu 0xfffd
	v_add_co_ci_u32_e64 v77, null, 0, v54, vcc_lo
	v_add_co_u32 v80, vcc_lo, v78, v47
	s_wait_alu 0xfffd
	v_add_co_ci_u32_e64 v81, null, 0, v79, vcc_lo
	v_add_co_u32 v4, vcc_lo, s36, v12
	s_wait_alu 0xfffd
	v_add_co_ci_u32_e64 v54, null, s37, v13, vcc_lo
	v_add_co_u32 v86, vcc_lo, s36, v14
	s_wait_alu 0xfffd
	v_add_co_ci_u32_e64 v87, null, s37, v15, vcc_lo
	v_add_co_u32 v84, vcc_lo, v4, v47
	s_wait_alu 0xfffd
	v_add_co_ci_u32_e64 v85, null, 0, v54, vcc_lo
	v_add_co_u32 v88, vcc_lo, v86, v47
	s_wait_alu 0xfffd
	v_add_co_ci_u32_e64 v89, null, 0, v87, vcc_lo
	v_add_co_u32 v4, vcc_lo, s36, v16
	s_wait_alu 0xfffd
	v_add_co_ci_u32_e64 v54, null, s37, v17, vcc_lo
	v_add_co_u32 v86, vcc_lo, s36, v18
	s_wait_alu 0xfffd
	v_add_co_ci_u32_e64 v87, null, s37, v19, vcc_lo
	v_add_co_u32 v92, vcc_lo, v4, v47
	s_wait_alu 0xfffd
	v_add_co_ci_u32_e64 v93, null, 0, v54, vcc_lo
	v_add_co_u32 v96, vcc_lo, v86, v47
	s_wait_alu 0xfffd
	v_add_co_ci_u32_e64 v97, null, 0, v87, vcc_lo
	v_add_co_u32 v4, vcc_lo, s36, v20
	s_wait_alu 0xfffd
	v_add_co_ci_u32_e64 v54, null, s37, v21, vcc_lo
	v_add_co_u32 v86, vcc_lo, s36, v22
	s_wait_alu 0xfffd
	v_add_co_ci_u32_e64 v87, null, s37, v23, vcc_lo
	v_add_co_u32 v100, vcc_lo, v4, v47
	s_wait_alu 0xfffd
	v_add_co_ci_u32_e64 v101, null, 0, v54, vcc_lo
	v_add_co_u32 v104, vcc_lo, v86, v47
	s_wait_alu 0xfffd
	v_add_co_ci_u32_e64 v105, null, 0, v87, vcc_lo
	s_clause 0x7
	global_load_b128 v[76:79], v[76:77], off
	global_load_b128 v[80:83], v[80:81], off
	;; [unrolled: 1-line block ×8, first 2 shown]
	v_mov_b32_e32 v4, 0
	v_mov_b32_e32 v54, 0
	s_and_not1_b32 vcc_lo, exec_lo, s24
	s_wait_loadcnt 0x7
	ds_store_b128 v55, v[76:79]
	s_wait_loadcnt 0x6
	ds_store_b128 v58, v[80:83]
	;; [unrolled: 2-line block ×8, first 2 shown]
	s_wait_dscnt 0x0
	s_barrier_signal -1
	s_barrier_wait -1
	global_inv scope:SCOPE_SE
	ds_load_b128 v[76:79], v53
	ds_load_b128 v[80:83], v52
	s_wait_dscnt 0x0
	;;#ASMSTART
	v_dot2_f32_f16 v4, v76, v80, v4
	;;#ASMEND
	;;#ASMSTART
	v_dot2_f32_f16 v4, v77, v81, v4
	;;#ASMEND
	;;#ASMSTART
	v_dot2_f32_f16 v4, v78, v82, v4
	;;#ASMEND
	;;#ASMSTART
	v_dot2_f32_f16 v4, v79, v83, v4
	;;#ASMEND
	ds_load_b128 v[76:79], v53 offset:16
	ds_load_b128 v[80:83], v52 offset:16
	s_wait_dscnt 0x0
	;;#ASMSTART
	v_dot2_f32_f16 v4, v76, v80, v4
	;;#ASMEND
	;;#ASMSTART
	v_dot2_f32_f16 v4, v77, v81, v4
	;;#ASMEND
	;;#ASMSTART
	v_dot2_f32_f16 v4, v78, v82, v4
	;;#ASMEND
	;;#ASMSTART
	v_dot2_f32_f16 v4, v79, v83, v4
	;;#ASMEND
	ds_load_b128 v[76:79], v53 offset:32
	ds_load_b128 v[80:83], v52 offset:32
	;; [unrolled: 15-line block ×31, first 2 shown]
	s_wait_dscnt 0x0
	;;#ASMSTART
	v_dot2_f32_f16 v4, v76, v80, v4
	;;#ASMEND
	;;#ASMSTART
	v_dot2_f32_f16 v4, v77, v81, v4
	;;#ASMEND
	;; [unrolled: 3-line block ×4, first 2 shown]
	s_wait_alu 0xfffe
	s_cbranch_vccnz .LBB52_10
; %bb.9:                                ;   in Loop: Header=BB52_8 Depth=1
	v_add_nc_u32_e32 v76, s26, v7
	s_delay_alu instid0(VALU_DEP_1) | instskip(NEXT) | instid1(VALU_DEP_1)
	v_ashrrev_i32_e32 v77, 31, v76
	v_lshlrev_b64_e32 v[76:77], 1, v[76:77]
	s_delay_alu instid0(VALU_DEP_1) | instskip(SKIP_1) | instid1(VALU_DEP_2)
	v_add_co_u32 v76, vcc_lo, s34, v76
	s_wait_alu 0xfffd
	v_add_co_ci_u32_e64 v77, null, s35, v77, vcc_lo
	global_load_u16 v54, v[76:77], off
	s_wait_loadcnt 0x0
	v_cvt_f32_f16_e32 v54, v54
	s_delay_alu instid0(VALU_DEP_1)
	v_mul_f32_e32 v54, v50, v54
.LBB52_10:                              ;   in Loop: Header=BB52_8 Depth=1
	s_mul_u64 s[36:37], s[26:27], s[14:15]
	s_wait_loadcnt 0x0
	s_wait_alu 0xfffe
	s_lshl_b64 s[36:37], s[36:37], 2
	s_barrier_signal -1
	s_wait_alu 0xfffe
	s_add_nc_u64 s[36:37], s[20:21], s[36:37]
	s_barrier_wait -1
	s_wait_alu 0xfffe
	v_add_co_u32 v76, vcc_lo, s36, v24
	s_wait_alu 0xfffd
	v_add_co_ci_u32_e64 v77, null, s37, v25, vcc_lo
	v_add_co_u32 v78, vcc_lo, s36, v26
	s_wait_alu 0xfffd
	v_add_co_ci_u32_e64 v79, null, s37, v27, vcc_lo
	v_add_co_u32 v76, vcc_lo, v76, v47
	s_wait_alu 0xfffd
	v_add_co_ci_u32_e64 v77, null, 0, v77, vcc_lo
	v_add_co_u32 v80, vcc_lo, v78, v47
	s_wait_alu 0xfffd
	v_add_co_ci_u32_e64 v81, null, 0, v79, vcc_lo
	v_add_co_u32 v78, vcc_lo, s36, v28
	s_wait_alu 0xfffd
	v_add_co_ci_u32_e64 v79, null, s37, v29, vcc_lo
	v_add_co_u32 v82, vcc_lo, s36, v30
	s_wait_alu 0xfffd
	v_add_co_ci_u32_e64 v83, null, s37, v31, vcc_lo
	v_add_co_u32 v84, vcc_lo, v78, v47
	s_wait_alu 0xfffd
	v_add_co_ci_u32_e64 v85, null, 0, v79, vcc_lo
	v_add_co_u32 v88, vcc_lo, v82, v47
	s_wait_alu 0xfffd
	v_add_co_ci_u32_e64 v89, null, 0, v83, vcc_lo
	v_add_co_u32 v78, vcc_lo, s36, v32
	s_wait_alu 0xfffd
	v_add_co_ci_u32_e64 v79, null, s37, v33, vcc_lo
	v_add_co_u32 v82, vcc_lo, s36, v34
	s_wait_alu 0xfffd
	v_add_co_ci_u32_e64 v83, null, s37, v35, vcc_lo
	v_add_co_u32 v92, vcc_lo, v78, v47
	s_wait_alu 0xfffd
	v_add_co_ci_u32_e64 v93, null, 0, v79, vcc_lo
	v_add_co_u32 v96, vcc_lo, v82, v47
	s_wait_alu 0xfffd
	v_add_co_ci_u32_e64 v97, null, 0, v83, vcc_lo
	v_add_co_u32 v78, vcc_lo, s36, v36
	s_wait_alu 0xfffd
	v_add_co_ci_u32_e64 v79, null, s37, v37, vcc_lo
	v_add_co_u32 v82, vcc_lo, s36, v38
	s_wait_alu 0xfffd
	v_add_co_ci_u32_e64 v83, null, s37, v39, vcc_lo
	v_add_co_u32 v100, vcc_lo, v78, v47
	s_wait_alu 0xfffd
	v_add_co_ci_u32_e64 v101, null, 0, v79, vcc_lo
	v_add_co_u32 v104, vcc_lo, v82, v47
	s_wait_alu 0xfffd
	v_add_co_ci_u32_e64 v105, null, 0, v83, vcc_lo
	global_inv scope:SCOPE_SE
	s_clause 0x7
	global_load_b128 v[76:79], v[76:77], off
	global_load_b128 v[80:83], v[80:81], off
	;; [unrolled: 1-line block ×8, first 2 shown]
	v_add_f32_e32 v54, v4, v54
	v_xor_b32_e32 v108, 16, v73
	v_max_num_f32_e32 v4, v75, v75
	v_add_nc_u32_e32 v118, 0x800, v42
	v_add_nc_u32_e32 v134, 0x1000, v42
	v_add_f32_e32 v109, 0x40051340, v54
	v_cmp_gt_i32_e32 vcc_lo, 32, v108
	v_add_nc_u32_e32 v150, 0x1800, v42
	v_add_nc_u32_e32 v166, 0x2000, v42
	v_add_nc_u32_e32 v182, 0x2800, v42
	v_max_num_f32_e32 v4, v4, v109
	v_xor_b32_e32 v109, 8, v73
	s_wait_alu 0xfffd
	v_cndmask_b32_e32 v108, v73, v108, vcc_lo
	v_add_nc_u32_e32 v198, 0x3000, v42
	v_add_nc_u32_e32 v214, 0x3800, v42
	v_cmp_gt_i32_e32 vcc_lo, 32, v109
	s_wait_alu 0xfffd
	v_cndmask_b32_e32 v109, v73, v109, vcc_lo
	s_delay_alu instid0(VALU_DEP_1) | instskip(SKIP_4) | instid1(VALU_DEP_1)
	v_lshlrev_b32_e32 v109, 2, v109
	v_lshlrev_b32_e32 v108, 2, v108
	ds_bpermute_b32 v108, v108, v4
	s_wait_dscnt 0x0
	v_max_num_f32_e32 v108, v108, v108
	v_max_num_f32_e32 v4, v4, v108
	ds_bpermute_b32 v108, v109, v4
	v_xor_b32_e32 v109, 4, v73
	s_delay_alu instid0(VALU_DEP_1) | instskip(SKIP_3) | instid1(VALU_DEP_1)
	v_cmp_gt_i32_e32 vcc_lo, 32, v109
	s_wait_alu 0xfffd
	v_cndmask_b32_e32 v109, v73, v109, vcc_lo
	s_wait_dscnt 0x0
	v_dual_max_num_f32 v108, v108, v108 :: v_dual_lshlrev_b32 v109, 2, v109
	s_delay_alu instid0(VALU_DEP_1) | instskip(SKIP_2) | instid1(VALU_DEP_1)
	v_max_num_f32_e32 v4, v4, v108
	ds_bpermute_b32 v108, v109, v4
	v_xor_b32_e32 v109, 2, v73
	v_cmp_gt_i32_e32 vcc_lo, 32, v109
	s_wait_alu 0xfffd
	v_cndmask_b32_e32 v109, v73, v109, vcc_lo
	s_wait_dscnt 0x0
	s_delay_alu instid0(VALU_DEP_1) | instskip(NEXT) | instid1(VALU_DEP_1)
	v_dual_max_num_f32 v108, v108, v108 :: v_dual_lshlrev_b32 v109, 2, v109
	v_max_num_f32_e32 v4, v4, v108
	ds_bpermute_b32 v108, v109, v4
	v_xor_b32_e32 v109, 1, v73
	s_delay_alu instid0(VALU_DEP_1) | instskip(SKIP_3) | instid1(VALU_DEP_1)
	v_cmp_gt_i32_e32 vcc_lo, 32, v109
	s_wait_alu 0xfffd
	v_cndmask_b32_e32 v109, v73, v109, vcc_lo
	s_wait_dscnt 0x0
	v_dual_max_num_f32 v108, v108, v108 :: v_dual_lshlrev_b32 v109, 2, v109
	s_delay_alu instid0(VALU_DEP_1) | instskip(SKIP_3) | instid1(VALU_DEP_1)
	v_max_num_f32_e32 v4, v4, v108
	ds_bpermute_b32 v108, v109, v4
	s_wait_dscnt 0x0
	v_max_num_f32_e32 v108, v108, v108
	v_max_num_f32_e32 v4, v4, v108
	s_delay_alu instid0(VALU_DEP_1) | instskip(SKIP_1) | instid1(VALU_DEP_2)
	v_sub_f32_e32 v54, v54, v4
	v_sub_f32_e32 v75, v75, v4
	v_mul_f32_e32 v111, 0x3fb8aa3b, v54
	s_delay_alu instid0(VALU_DEP_1) | instskip(SKIP_1) | instid1(VALU_DEP_2)
	v_fma_f32 v112, 0x3fb8aa3b, v54, -v111
	v_rndne_f32_e32 v113, v111
	v_fmac_f32_e32 v112, 0x32a5705f, v54
	v_mul_f32_e32 v108, 0x3fb8aa3b, v75
	s_delay_alu instid0(VALU_DEP_1) | instskip(SKIP_1) | instid1(VALU_DEP_1)
	v_fma_f32 v109, 0x3fb8aa3b, v75, -v108
	v_rndne_f32_e32 v110, v108
	v_dual_sub_f32 v108, v108, v110 :: v_dual_fmac_f32 v109, 0x32a5705f, v75
	v_cvt_i32_f32_e32 v110, v110
	v_cmp_ngt_f32_e32 vcc_lo, 0xc2ce8ed0, v75
	s_delay_alu instid0(VALU_DEP_3) | instskip(SKIP_1) | instid1(VALU_DEP_2)
	v_add_f32_e32 v108, v108, v109
	v_sub_f32_e32 v109, v111, v113
	v_exp_f32_e32 v108, v108
	s_delay_alu instid0(VALU_DEP_1) | instskip(NEXT) | instid1(VALU_DEP_1)
	v_add_f32_e32 v109, v109, v112
	v_exp_f32_e32 v109, v109
	s_delay_alu instid0(TRANS32_DEP_2) | instskip(SKIP_2) | instid1(VALU_DEP_2)
	v_ldexp_f32 v108, v108, v110
	v_cvt_i32_f32_e32 v110, v113
	s_wait_alu 0xfffd
	v_cndmask_b32_e32 v108, 0, v108, vcc_lo
	v_cmp_nlt_f32_e32 vcc_lo, 0x42b17218, v75
	s_delay_alu instid0(TRANS32_DEP_1) | instid1(VALU_DEP_3)
	v_ldexp_f32 v109, v109, v110
	s_wait_alu 0xfffd
	s_delay_alu instid0(VALU_DEP_3)
	v_cndmask_b32_e32 v75, 0x7f800000, v108, vcc_lo
	v_cmp_ngt_f32_e32 vcc_lo, 0xc2ce8ed0, v54
	s_wait_alu 0xfffd
	v_cndmask_b32_e32 v108, 0, v109, vcc_lo
	v_cmp_nlt_f32_e32 vcc_lo, 0x42b17218, v54
	v_cvt_f16_f32_e32 v109, v75
	s_wait_alu 0xfffd
	s_delay_alu instid0(VALU_DEP_3) | instskip(NEXT) | instid1(VALU_DEP_2)
	v_cndmask_b32_e32 v54, 0x7f800000, v108, vcc_lo
	v_and_b32_e32 v108, 0xffff, v109
	s_delay_alu instid0(VALU_DEP_2) | instskip(NEXT) | instid1(VALU_DEP_2)
	v_cvt_f16_f32_e32 v109, v54
	v_mul_u32_u24_e32 v218, 0x10001, v108
	v_fmac_f32_e32 v54, v74, v75
	ds_store_b16 v65, v109
	v_pk_mul_f16 v46, v46, v218
	v_pk_mul_f16 v45, v45, v218
	s_wait_loadcnt 0x7
	ds_store_b128 v57, v[76:79]
	s_wait_loadcnt 0x6
	ds_store_b128 v66, v[80:83]
	;; [unrolled: 2-line block ×8, first 2 shown]
	s_wait_dscnt 0x0
	s_barrier_signal -1
	s_barrier_wait -1
	global_inv scope:SCOPE_SE
	ds_load_2addr_b64 v[74:77], v42 offset1:32
	ds_load_b128 v[78:81], v56
	ds_load_b128 v[82:85], v56 offset:16
	ds_load_b128 v[86:89], v56 offset:32
	;; [unrolled: 1-line block ×3, first 2 shown]
	ds_load_2addr_b64 v[94:97], v42 offset0:64 offset1:96
	ds_load_2addr_b64 v[98:101], v42 offset0:128 offset1:160
	ds_load_2addr_b64 v[102:105], v42 offset0:192 offset1:224
	ds_load_2addr_b64 v[106:109], v118 offset1:32
	ds_load_2addr_b64 v[110:113], v118 offset0:64 offset1:96
	ds_load_2addr_b64 v[114:117], v118 offset0:128 offset1:160
	ds_load_2addr_b64 v[118:121], v118 offset0:192 offset1:224
	ds_load_2addr_b64 v[122:125], v134 offset1:32
	;; [unrolled: 4-line block ×7, first 2 shown]
	ds_load_2addr_b64 v[206:209], v214 offset0:64 offset1:96
	ds_load_2addr_b64 v[210:213], v214 offset0:128 offset1:160
	;; [unrolled: 1-line block ×3, first 2 shown]
	s_wait_dscnt 0x22
	v_lshrrev_b32_e32 v219, 16, v78
	v_and_b32_e32 v78, 0xffff, v78
	v_lshrrev_b32_e32 v220, 16, v79
	v_and_b32_e32 v79, 0xffff, v79
	v_lshrrev_b32_e32 v221, 16, v80
	v_mul_u32_u24_e32 v219, 0x10001, v219
	v_mul_u32_u24_e32 v78, 0x10001, v78
	v_and_b32_e32 v80, 0xffff, v80
	v_lshrrev_b32_e32 v222, 16, v81
	v_and_b32_e32 v81, 0xffff, v81
	s_wait_dscnt 0x21
	v_lshrrev_b32_e32 v223, 16, v82
	v_pk_mul_f16 v74, v74, v78
	v_pk_mul_f16 v75, v75, v78
	v_pk_fma_f16 v46, v76, v78, v46
	v_pk_fma_f16 v45, v77, v78, v45
	v_and_b32_e32 v82, 0xffff, v82
	v_pk_fma_f16 v43, v43, v218, v74
	v_pk_fma_f16 v44, v44, v218, v75
	v_mul_u32_u24_e32 v74, 0x10001, v79
	s_wait_dscnt 0x1e
	v_pk_fma_f16 v46, v96, v219, v46
	v_pk_fma_f16 v45, v97, v219, v45
	v_pk_fma_f16 v43, v94, v219, v43
	v_pk_fma_f16 v44, v95, v219, v44
	v_mul_u32_u24_e32 v75, 0x10001, v220
	s_wait_dscnt 0x1d
	v_pk_fma_f16 v46, v100, v74, v46
	v_pk_fma_f16 v45, v101, v74, v45
	;; [unrolled: 6-line block ×7, first 2 shown]
	v_pk_fma_f16 v43, v118, v75, v43
	v_pk_fma_f16 v44, v119, v75, v44
	v_lshrrev_b32_e32 v224, 16, v83
	v_and_b32_e32 v83, 0xffff, v83
	v_mul_u32_u24_e32 v75, 0x10001, v223
	s_wait_dscnt 0x17
	v_pk_fma_f16 v46, v124, v74, v46
	v_pk_fma_f16 v45, v125, v74, v45
	v_pk_fma_f16 v43, v122, v74, v43
	v_pk_fma_f16 v44, v123, v74, v44
	v_mul_u32_u24_e32 v74, 0x10001, v83
	s_wait_dscnt 0x16
	v_pk_fma_f16 v46, v128, v75, v46
	v_pk_fma_f16 v45, v129, v75, v45
	v_pk_fma_f16 v43, v126, v75, v43
	v_pk_fma_f16 v44, v127, v75, v44
	v_lshrrev_b32_e32 v225, 16, v84
	v_and_b32_e32 v84, 0xffff, v84
	v_mul_u32_u24_e32 v75, 0x10001, v224
	s_wait_dscnt 0x15
	v_pk_fma_f16 v46, v132, v74, v46
	v_pk_fma_f16 v45, v133, v74, v45
	v_pk_fma_f16 v43, v130, v74, v43
	v_pk_fma_f16 v44, v131, v74, v44
	v_mul_u32_u24_e32 v74, 0x10001, v84
	s_wait_dscnt 0x14
	v_pk_fma_f16 v46, v136, v75, v46
	v_pk_fma_f16 v45, v137, v75, v45
	;; [unrolled: 14-line block ×9, first 2 shown]
	v_pk_fma_f16 v43, v190, v75, v43
	v_pk_fma_f16 v44, v191, v75, v44
	v_lshrrev_b32_e32 v233, 16, v92
	v_and_b32_e32 v92, 0xffff, v92
	v_mul_u32_u24_e32 v75, 0x10001, v232
	s_wait_dscnt 0x5
	v_pk_fma_f16 v46, v196, v74, v46
	v_pk_fma_f16 v45, v197, v74, v45
	;; [unrolled: 1-line block ×4, first 2 shown]
	s_wait_loadcnt_dscnt 0x0
	s_barrier_signal -1
	s_barrier_wait -1
	global_inv scope:SCOPE_SE
	s_load_b32 s25, s[8:9], 0x4
	v_mul_u32_u24_e32 v74, 0x10001, v92
	v_pk_fma_f16 v46, v200, v75, v46
	v_pk_fma_f16 v45, v201, v75, v45
	;; [unrolled: 1-line block ×4, first 2 shown]
	v_lshrrev_b32_e32 v234, 16, v93
	v_and_b32_e32 v93, 0xffff, v93
	v_mul_u32_u24_e32 v75, 0x10001, v233
	v_pk_fma_f16 v46, v204, v74, v46
	v_pk_fma_f16 v45, v205, v74, v45
	v_pk_fma_f16 v43, v202, v74, v43
	v_pk_fma_f16 v44, v203, v74, v44
	v_mul_u32_u24_e32 v74, 0x10001, v93
	v_pk_fma_f16 v46, v208, v75, v46
	v_pk_fma_f16 v45, v209, v75, v45
	v_pk_fma_f16 v43, v206, v75, v43
	v_pk_fma_f16 v44, v207, v75, v44
	;; [unrolled: 5-line block ×3, first 2 shown]
	s_wait_kmcnt 0x0
	s_lshl_b32 s25, s25, 5
	v_pk_fma_f16 v46, v216, v75, v46
	v_pk_fma_f16 v45, v217, v75, v45
	;; [unrolled: 1-line block ×4, first 2 shown]
	s_wait_alu 0xfffe
	s_add_co_i32 s26, s25, s26
	s_wait_alu 0xfffe
	s_cmp_lt_i32 s26, s3
	s_cbranch_scc0 .LBB52_13
; %bb.11:                               ;   in Loop: Header=BB52_8 Depth=1
	v_dual_mov_b32 v75, v4 :: v_dual_mov_b32 v74, v54
	s_branch .LBB52_8
.LBB52_12:
	v_dual_mov_b32 v43, 0 :: v_dual_mov_b32 v4, 0xfeffffff
	v_dual_mov_b32 v44, 0 :: v_dual_mov_b32 v45, 0
	v_mov_b32_e32 v46, 0
.LBB52_13:
	s_cmp_gt_i32 s2, s26
	s_cbranch_scc1 .LBB52_16
; %bb.14:
	v_mbcnt_lo_u32_b32 v8, -1, 0
	v_mov_b32_e32 v7, 32
	s_delay_alu instid0(VALU_DEP_2)
	v_xor_b32_e32 v14, 16, v8
	v_xor_b32_e32 v12, 8, v8
	;; [unrolled: 1-line block ×5, first 2 shown]
	s_cbranch_execz .LBB52_17
; %bb.15:
	v_mov_b32_e32 v41, v8
	s_branch .LBB52_22
.LBB52_16:
                                        ; implicit-def: $vgpr8
                                        ; implicit-def: $vgpr7
                                        ; implicit-def: $vgpr14
                                        ; implicit-def: $vgpr12
                                        ; implicit-def: $vgpr13
                                        ; implicit-def: $vgpr15
                                        ; implicit-def: $vgpr16
.LBB52_17:
	s_ashr_i32 s27, s26, 31
	s_ashr_i32 s5, s4, 31
	v_lshlrev_b64_e32 v[6:7], 2, v[5:6]
	s_wait_alu 0xfffe
	s_mul_u64 s[24:25], s[26:27], s[4:5]
	s_sub_co_i32 s29, s2, s26
	s_wait_alu 0xfffe
	s_lshl_b64 s[24:25], s[24:25], 2
	s_mov_b32 s36, 0
	s_wait_alu 0xfffe
	s_add_nc_u64 s[24:25], s[6:7], s[24:25]
	s_mov_b64 s[8:9], src_private_base
	s_wait_alu 0xfffe
	v_add_co_u32 v6, vcc_lo, s24, v6
	s_wait_alu 0xfffd
	v_add_co_ci_u32_e64 v7, null, s25, v7, vcc_lo
	s_mov_b32 s37, s36
	v_add_co_u32 v6, vcc_lo, v6, v47
	s_wait_alu 0xfffd
	v_add_co_ci_u32_e64 v7, null, 0, v7, vcc_lo
	v_cmp_gt_i32_e32 vcc_lo, s29, v49
	s_mov_b32 s38, s36
	v_dual_mov_b32 v12, 0 :: v_dual_mov_b32 v17, s36
	s_wait_alu 0xfffe
	v_dual_mov_b32 v18, s37 :: v_dual_mov_b32 v19, s38
	s_wait_alu 0xfffd
	v_cndmask_b32_e32 v7, s9, v7, vcc_lo
	s_lshl_b32 s8, s4, 2
	s_wait_alu 0xfffe
	v_dual_cndmask_b32 v6, 0, v6 :: v_dual_add_nc_u32 v5, s8, v5
	s_clause 0x1
	scratch_store_b32 off, v12, off
	scratch_store_b96 off, v[17:19], off offset:4
	v_mad_u32_u24 v23, 0x210, v49, v47
	s_mov_b32 s15, exec_lo
	flat_load_b128 v[7:10], v[6:7]
	v_ashrrev_i32_e32 v6, 31, v5
	s_clause 0x1
	scratch_store_b32 off, v12, off
	scratch_store_b96 off, v[17:19], off offset:4
	v_add_nc_u32_e32 v20, s8, v5
	v_lshlrev_b64_e32 v[13:14], 2, v[5:6]
	v_add_nc_u32_e32 v6, 4, v49
	s_delay_alu instid0(VALU_DEP_3) | instskip(NEXT) | instid1(VALU_DEP_3)
	v_ashrrev_i32_e32 v21, 31, v20
	v_add_co_u32 v11, s2, s24, v13
	s_delay_alu instid0(VALU_DEP_1) | instskip(NEXT) | instid1(VALU_DEP_2)
	v_add_co_ci_u32_e64 v13, null, s25, v14, s2
	v_add_co_u32 v11, s2, v11, v47
	s_wait_alu 0xf1ff
	s_delay_alu instid0(VALU_DEP_2) | instskip(SKIP_2) | instid1(VALU_DEP_1)
	v_add_co_ci_u32_e64 v13, null, 0, v13, s2
	v_cmp_gt_i32_e64 s2, s29, v6
	s_wait_alu 0xf1ff
	v_cndmask_b32_e64 v14, s9, v13, s2
	v_cndmask_b32_e64 v13, 0, v11, s2
	s_wait_loadcnt_dscnt 0x0
	ds_store_b128 v23, v[7:10]
	flat_load_b128 v[8:11], v[13:14]
	v_lshlrev_b64_e32 v[13:14], 2, v[20:21]
	v_add_nc_u32_e32 v7, 8, v49
	s_clause 0x1
	scratch_store_b32 off, v12, off
	scratch_store_b96 off, v[17:19], off offset:4
	v_add_co_u32 v5, s3, s24, v13
	s_wait_alu 0xf1ff
	v_add_co_ci_u32_e64 v13, null, s25, v14, s3
	s_delay_alu instid0(VALU_DEP_2) | instskip(SKIP_1) | instid1(VALU_DEP_2)
	v_add_co_u32 v5, s3, v5, v47
	s_wait_alu 0xf1ff
	v_add_co_ci_u32_e64 v13, null, 0, v13, s3
	v_cmp_gt_i32_e64 s3, s29, v7
	s_wait_alu 0xf1ff
	s_delay_alu instid0(VALU_DEP_1)
	v_cndmask_b32_e64 v14, s9, v13, s3
	v_cndmask_b32_e64 v13, 0, v5, s3
	s_wait_loadcnt_dscnt 0x0
	ds_store_b128 v23, v[8:11] offset:2112
	flat_load_b128 v[13:16], v[13:14]
	v_add_nc_u32_e32 v9, s8, v20
	v_add_nc_u32_e32 v8, 12, v49
	s_clause 0x1
	scratch_store_b32 off, v12, off
	scratch_store_b96 off, v[17:19], off offset:4
	v_ashrrev_i32_e32 v10, 31, v9
	s_delay_alu instid0(VALU_DEP_1) | instskip(NEXT) | instid1(VALU_DEP_1)
	v_lshlrev_b64_e32 v[10:11], 2, v[9:10]
	v_add_co_u32 v5, s4, s24, v10
	s_wait_alu 0xf1ff
	s_delay_alu instid0(VALU_DEP_2) | instskip(NEXT) | instid1(VALU_DEP_2)
	v_add_co_ci_u32_e64 v10, null, s25, v11, s4
	v_add_co_u32 v5, s4, v5, v47
	s_wait_alu 0xf1ff
	s_delay_alu instid0(VALU_DEP_2) | instskip(SKIP_2) | instid1(VALU_DEP_1)
	v_add_co_ci_u32_e64 v10, null, 0, v10, s4
	v_cmp_gt_i32_e64 s4, s29, v8
	s_wait_alu 0xf1ff
	v_cndmask_b32_e64 v11, s9, v10, s4
	v_cndmask_b32_e64 v10, 0, v5, s4
	s_wait_loadcnt_dscnt 0x0
	ds_store_b128 v23, v[13:16] offset:4224
	flat_load_b128 v[13:16], v[10:11]
	v_add_nc_u32_e32 v10, s8, v9
	v_add_nc_u32_e32 v9, 16, v49
	s_clause 0x1
	scratch_store_b32 off, v12, off
	scratch_store_b96 off, v[17:19], off offset:4
	v_ashrrev_i32_e32 v11, 31, v10
	s_delay_alu instid0(VALU_DEP_1) | instskip(NEXT) | instid1(VALU_DEP_1)
	v_lshlrev_b64_e32 v[20:21], 2, v[10:11]
	v_add_co_u32 v5, s5, s24, v20
	s_wait_alu 0xf1ff
	s_delay_alu instid0(VALU_DEP_2) | instskip(NEXT) | instid1(VALU_DEP_2)
	v_add_co_ci_u32_e64 v11, null, s25, v21, s5
	v_add_co_u32 v5, s5, v5, v47
	s_wait_alu 0xf1ff
	s_delay_alu instid0(VALU_DEP_2) | instskip(SKIP_2) | instid1(VALU_DEP_1)
	v_add_co_ci_u32_e64 v11, null, 0, v11, s5
	v_cmp_gt_i32_e64 s5, s29, v9
	s_wait_alu 0xf1ff
	v_cndmask_b32_e64 v21, s9, v11, s5
	v_cndmask_b32_e64 v20, 0, v5, s5
	s_wait_loadcnt_dscnt 0x0
	ds_store_b128 v23, v[13:16] offset:6336
	flat_load_b128 v[13:16], v[20:21]
	v_add_nc_u32_e32 v20, s8, v10
	s_clause 0x1
	scratch_store_b32 off, v12, off
	scratch_store_b96 off, v[17:19], off offset:4
	v_ashrrev_i32_e32 v21, 31, v20
	s_delay_alu instid0(VALU_DEP_1) | instskip(SKIP_1) | instid1(VALU_DEP_2)
	v_lshlrev_b64_e32 v[10:11], 2, v[20:21]
	v_add_nc_u32_e32 v20, s8, v20
	v_add_co_u32 v5, s6, s24, v10
	s_delay_alu instid0(VALU_DEP_1) | instskip(SKIP_1) | instid1(VALU_DEP_3)
	v_add_co_ci_u32_e64 v11, null, s25, v11, s6
	v_add_nc_u32_e32 v10, 20, v49
	v_add_co_u32 v5, s6, v5, v47
	s_wait_alu 0xf1ff
	s_delay_alu instid0(VALU_DEP_3) | instskip(NEXT) | instid1(VALU_DEP_3)
	v_add_co_ci_u32_e64 v11, null, 0, v11, s6
	v_cmp_gt_i32_e64 s6, s29, v10
	s_wait_alu 0xf1ff
	s_delay_alu instid0(VALU_DEP_1)
	v_cndmask_b32_e64 v22, s9, v11, s6
	v_cndmask_b32_e64 v21, 0, v5, s6
	v_add_nc_u32_e32 v11, 24, v49
	s_wait_loadcnt_dscnt 0x0
	ds_store_b128 v23, v[13:16] offset:8448
	flat_load_b128 v[13:16], v[21:22]
	v_ashrrev_i32_e32 v21, 31, v20
	s_clause 0x1
	scratch_store_b32 off, v12, off
	scratch_store_b96 off, v[17:19], off offset:4
	v_lshlrev_b64_e32 v[21:22], 2, v[20:21]
	v_add_nc_u32_e32 v20, s8, v20
	s_delay_alu instid0(VALU_DEP_2) | instskip(SKIP_1) | instid1(VALU_DEP_3)
	v_add_co_u32 v5, s7, s24, v21
	s_wait_alu 0xf1ff
	v_add_co_ci_u32_e64 v21, null, s25, v22, s7
	s_delay_alu instid0(VALU_DEP_2) | instskip(SKIP_1) | instid1(VALU_DEP_2)
	v_add_co_u32 v5, s7, v5, v47
	s_wait_alu 0xf1ff
	v_add_co_ci_u32_e64 v21, null, 0, v21, s7
	v_cmp_gt_i32_e64 s7, s29, v11
	s_wait_alu 0xf1ff
	s_delay_alu instid0(VALU_DEP_1)
	v_cndmask_b32_e64 v22, s9, v21, s7
	v_cndmask_b32_e64 v21, 0, v5, s7
	v_add_nc_u32_e32 v5, 28, v49
	s_wait_loadcnt_dscnt 0x0
	ds_store_b128 v23, v[13:16] offset:10560
	flat_load_b128 v[13:16], v[21:22]
	v_ashrrev_i32_e32 v21, 31, v20
	s_clause 0x1
	scratch_store_b32 off, v12, off
	scratch_store_b96 off, v[17:19], off offset:4
	v_mov_b32_e32 v17, 0
	v_lshlrev_b64_e32 v[20:21], 2, v[20:21]
	s_delay_alu instid0(VALU_DEP_1) | instskip(SKIP_1) | instid1(VALU_DEP_2)
	v_add_co_u32 v20, s8, s24, v20
	s_wait_alu 0xf1ff
	v_add_co_ci_u32_e64 v21, null, s25, v21, s8
	s_delay_alu instid0(VALU_DEP_2) | instskip(SKIP_1) | instid1(VALU_DEP_2)
	v_add_co_u32 v20, s8, v20, v47
	s_wait_alu 0xf1ff
	v_add_co_ci_u32_e64 v21, null, 0, v21, s8
	v_cmp_gt_i32_e64 s8, s29, v5
	s_wait_alu 0xf1ff
	s_delay_alu instid0(VALU_DEP_1)
	v_cndmask_b32_e64 v21, s9, v21, s8
	v_cndmask_b32_e64 v20, 0, v20, s8
	s_wait_loadcnt_dscnt 0x0
	ds_store_b128 v23, v[13:16] offset:12672
	flat_load_b128 v[13:16], v[20:21]
	s_wait_loadcnt_dscnt 0x0
	ds_store_b128 v23, v[13:16] offset:14784
	s_wait_storecnt_dscnt 0x0
	s_barrier_signal -1
	s_barrier_wait -1
	global_inv scope:SCOPE_SE
	ds_load_b128 v[13:16], v53
	ds_load_b128 v[18:21], v52
	s_wait_dscnt 0x0
	;;#ASMSTART
	v_dot2_f32_f16 v17, v13, v18, v17
	;;#ASMEND
	;;#ASMSTART
	v_dot2_f32_f16 v17, v14, v19, v17
	;;#ASMEND
	;;#ASMSTART
	v_dot2_f32_f16 v17, v15, v20, v17
	;;#ASMEND
	;;#ASMSTART
	v_dot2_f32_f16 v17, v16, v21, v17
	;;#ASMEND
	ds_load_b128 v[13:16], v53 offset:16
	ds_load_b128 v[18:21], v52 offset:16
	s_wait_dscnt 0x0
	;;#ASMSTART
	v_dot2_f32_f16 v17, v13, v18, v17
	;;#ASMEND
	;;#ASMSTART
	v_dot2_f32_f16 v17, v14, v19, v17
	;;#ASMEND
	;;#ASMSTART
	v_dot2_f32_f16 v17, v15, v20, v17
	;;#ASMEND
	;;#ASMSTART
	v_dot2_f32_f16 v17, v16, v21, v17
	;;#ASMEND
	ds_load_b128 v[13:16], v53 offset:32
	ds_load_b128 v[18:21], v52 offset:32
	s_wait_dscnt 0x0
	;;#ASMSTART
	v_dot2_f32_f16 v17, v13, v18, v17
	;;#ASMEND
	;;#ASMSTART
	v_dot2_f32_f16 v17, v14, v19, v17
	;;#ASMEND
	;;#ASMSTART
	v_dot2_f32_f16 v17, v15, v20, v17
	;;#ASMEND
	;;#ASMSTART
	v_dot2_f32_f16 v17, v16, v21, v17
	;;#ASMEND
	ds_load_b128 v[13:16], v53 offset:48
	ds_load_b128 v[18:21], v52 offset:48
	s_wait_dscnt 0x0
	;;#ASMSTART
	v_dot2_f32_f16 v17, v13, v18, v17
	;;#ASMEND
	;;#ASMSTART
	v_dot2_f32_f16 v17, v14, v19, v17
	;;#ASMEND
	;;#ASMSTART
	v_dot2_f32_f16 v17, v15, v20, v17
	;;#ASMEND
	;;#ASMSTART
	v_dot2_f32_f16 v17, v16, v21, v17
	;;#ASMEND
	ds_load_b128 v[13:16], v53 offset:64
	ds_load_b128 v[18:21], v52 offset:64
	s_wait_dscnt 0x0
	;;#ASMSTART
	v_dot2_f32_f16 v17, v13, v18, v17
	;;#ASMEND
	;;#ASMSTART
	v_dot2_f32_f16 v17, v14, v19, v17
	;;#ASMEND
	;;#ASMSTART
	v_dot2_f32_f16 v17, v15, v20, v17
	;;#ASMEND
	;;#ASMSTART
	v_dot2_f32_f16 v17, v16, v21, v17
	;;#ASMEND
	ds_load_b128 v[13:16], v53 offset:80
	ds_load_b128 v[18:21], v52 offset:80
	s_wait_dscnt 0x0
	;;#ASMSTART
	v_dot2_f32_f16 v17, v13, v18, v17
	;;#ASMEND
	;;#ASMSTART
	v_dot2_f32_f16 v17, v14, v19, v17
	;;#ASMEND
	;;#ASMSTART
	v_dot2_f32_f16 v17, v15, v20, v17
	;;#ASMEND
	;;#ASMSTART
	v_dot2_f32_f16 v17, v16, v21, v17
	;;#ASMEND
	ds_load_b128 v[13:16], v53 offset:96
	ds_load_b128 v[18:21], v52 offset:96
	s_wait_dscnt 0x0
	;;#ASMSTART
	v_dot2_f32_f16 v17, v13, v18, v17
	;;#ASMEND
	;;#ASMSTART
	v_dot2_f32_f16 v17, v14, v19, v17
	;;#ASMEND
	;;#ASMSTART
	v_dot2_f32_f16 v17, v15, v20, v17
	;;#ASMEND
	;;#ASMSTART
	v_dot2_f32_f16 v17, v16, v21, v17
	;;#ASMEND
	ds_load_b128 v[13:16], v53 offset:112
	ds_load_b128 v[18:21], v52 offset:112
	s_wait_dscnt 0x0
	;;#ASMSTART
	v_dot2_f32_f16 v17, v13, v18, v17
	;;#ASMEND
	;;#ASMSTART
	v_dot2_f32_f16 v17, v14, v19, v17
	;;#ASMEND
	;;#ASMSTART
	v_dot2_f32_f16 v17, v15, v20, v17
	;;#ASMEND
	;;#ASMSTART
	v_dot2_f32_f16 v17, v16, v21, v17
	;;#ASMEND
	ds_load_b128 v[13:16], v53 offset:128
	ds_load_b128 v[18:21], v52 offset:128
	s_wait_dscnt 0x0
	;;#ASMSTART
	v_dot2_f32_f16 v17, v13, v18, v17
	;;#ASMEND
	;;#ASMSTART
	v_dot2_f32_f16 v17, v14, v19, v17
	;;#ASMEND
	;;#ASMSTART
	v_dot2_f32_f16 v17, v15, v20, v17
	;;#ASMEND
	;;#ASMSTART
	v_dot2_f32_f16 v17, v16, v21, v17
	;;#ASMEND
	ds_load_b128 v[13:16], v53 offset:144
	ds_load_b128 v[18:21], v52 offset:144
	s_wait_dscnt 0x0
	;;#ASMSTART
	v_dot2_f32_f16 v17, v13, v18, v17
	;;#ASMEND
	;;#ASMSTART
	v_dot2_f32_f16 v17, v14, v19, v17
	;;#ASMEND
	;;#ASMSTART
	v_dot2_f32_f16 v17, v15, v20, v17
	;;#ASMEND
	;;#ASMSTART
	v_dot2_f32_f16 v17, v16, v21, v17
	;;#ASMEND
	ds_load_b128 v[13:16], v53 offset:160
	ds_load_b128 v[18:21], v52 offset:160
	s_wait_dscnt 0x0
	;;#ASMSTART
	v_dot2_f32_f16 v17, v13, v18, v17
	;;#ASMEND
	;;#ASMSTART
	v_dot2_f32_f16 v17, v14, v19, v17
	;;#ASMEND
	;;#ASMSTART
	v_dot2_f32_f16 v17, v15, v20, v17
	;;#ASMEND
	;;#ASMSTART
	v_dot2_f32_f16 v17, v16, v21, v17
	;;#ASMEND
	ds_load_b128 v[13:16], v53 offset:176
	ds_load_b128 v[18:21], v52 offset:176
	s_wait_dscnt 0x0
	;;#ASMSTART
	v_dot2_f32_f16 v17, v13, v18, v17
	;;#ASMEND
	;;#ASMSTART
	v_dot2_f32_f16 v17, v14, v19, v17
	;;#ASMEND
	;;#ASMSTART
	v_dot2_f32_f16 v17, v15, v20, v17
	;;#ASMEND
	;;#ASMSTART
	v_dot2_f32_f16 v17, v16, v21, v17
	;;#ASMEND
	ds_load_b128 v[13:16], v53 offset:192
	ds_load_b128 v[18:21], v52 offset:192
	s_wait_dscnt 0x0
	;;#ASMSTART
	v_dot2_f32_f16 v17, v13, v18, v17
	;;#ASMEND
	;;#ASMSTART
	v_dot2_f32_f16 v17, v14, v19, v17
	;;#ASMEND
	;;#ASMSTART
	v_dot2_f32_f16 v17, v15, v20, v17
	;;#ASMEND
	;;#ASMSTART
	v_dot2_f32_f16 v17, v16, v21, v17
	;;#ASMEND
	ds_load_b128 v[13:16], v53 offset:208
	ds_load_b128 v[18:21], v52 offset:208
	s_wait_dscnt 0x0
	;;#ASMSTART
	v_dot2_f32_f16 v17, v13, v18, v17
	;;#ASMEND
	;;#ASMSTART
	v_dot2_f32_f16 v17, v14, v19, v17
	;;#ASMEND
	;;#ASMSTART
	v_dot2_f32_f16 v17, v15, v20, v17
	;;#ASMEND
	;;#ASMSTART
	v_dot2_f32_f16 v17, v16, v21, v17
	;;#ASMEND
	ds_load_b128 v[13:16], v53 offset:224
	ds_load_b128 v[18:21], v52 offset:224
	s_wait_dscnt 0x0
	;;#ASMSTART
	v_dot2_f32_f16 v17, v13, v18, v17
	;;#ASMEND
	;;#ASMSTART
	v_dot2_f32_f16 v17, v14, v19, v17
	;;#ASMEND
	;;#ASMSTART
	v_dot2_f32_f16 v17, v15, v20, v17
	;;#ASMEND
	;;#ASMSTART
	v_dot2_f32_f16 v17, v16, v21, v17
	;;#ASMEND
	ds_load_b128 v[13:16], v53 offset:240
	ds_load_b128 v[18:21], v52 offset:240
	s_wait_dscnt 0x0
	;;#ASMSTART
	v_dot2_f32_f16 v17, v13, v18, v17
	;;#ASMEND
	;;#ASMSTART
	v_dot2_f32_f16 v17, v14, v19, v17
	;;#ASMEND
	;;#ASMSTART
	v_dot2_f32_f16 v17, v15, v20, v17
	;;#ASMEND
	;;#ASMSTART
	v_dot2_f32_f16 v17, v16, v21, v17
	;;#ASMEND
	ds_load_b128 v[13:16], v53 offset:256
	ds_load_b128 v[18:21], v52 offset:256
	s_wait_dscnt 0x0
	;;#ASMSTART
	v_dot2_f32_f16 v17, v13, v18, v17
	;;#ASMEND
	;;#ASMSTART
	v_dot2_f32_f16 v17, v14, v19, v17
	;;#ASMEND
	;;#ASMSTART
	v_dot2_f32_f16 v17, v15, v20, v17
	;;#ASMEND
	;;#ASMSTART
	v_dot2_f32_f16 v17, v16, v21, v17
	;;#ASMEND
	ds_load_b128 v[13:16], v53 offset:272
	ds_load_b128 v[18:21], v52 offset:272
	s_wait_dscnt 0x0
	;;#ASMSTART
	v_dot2_f32_f16 v17, v13, v18, v17
	;;#ASMEND
	;;#ASMSTART
	v_dot2_f32_f16 v17, v14, v19, v17
	;;#ASMEND
	;;#ASMSTART
	v_dot2_f32_f16 v17, v15, v20, v17
	;;#ASMEND
	;;#ASMSTART
	v_dot2_f32_f16 v17, v16, v21, v17
	;;#ASMEND
	ds_load_b128 v[13:16], v53 offset:288
	ds_load_b128 v[18:21], v52 offset:288
	s_wait_dscnt 0x0
	;;#ASMSTART
	v_dot2_f32_f16 v17, v13, v18, v17
	;;#ASMEND
	;;#ASMSTART
	v_dot2_f32_f16 v17, v14, v19, v17
	;;#ASMEND
	;;#ASMSTART
	v_dot2_f32_f16 v17, v15, v20, v17
	;;#ASMEND
	;;#ASMSTART
	v_dot2_f32_f16 v17, v16, v21, v17
	;;#ASMEND
	ds_load_b128 v[13:16], v53 offset:304
	ds_load_b128 v[18:21], v52 offset:304
	s_wait_dscnt 0x0
	;;#ASMSTART
	v_dot2_f32_f16 v17, v13, v18, v17
	;;#ASMEND
	;;#ASMSTART
	v_dot2_f32_f16 v17, v14, v19, v17
	;;#ASMEND
	;;#ASMSTART
	v_dot2_f32_f16 v17, v15, v20, v17
	;;#ASMEND
	;;#ASMSTART
	v_dot2_f32_f16 v17, v16, v21, v17
	;;#ASMEND
	ds_load_b128 v[13:16], v53 offset:320
	ds_load_b128 v[18:21], v52 offset:320
	s_wait_dscnt 0x0
	;;#ASMSTART
	v_dot2_f32_f16 v17, v13, v18, v17
	;;#ASMEND
	;;#ASMSTART
	v_dot2_f32_f16 v17, v14, v19, v17
	;;#ASMEND
	;;#ASMSTART
	v_dot2_f32_f16 v17, v15, v20, v17
	;;#ASMEND
	;;#ASMSTART
	v_dot2_f32_f16 v17, v16, v21, v17
	;;#ASMEND
	ds_load_b128 v[13:16], v53 offset:336
	ds_load_b128 v[18:21], v52 offset:336
	s_wait_dscnt 0x0
	;;#ASMSTART
	v_dot2_f32_f16 v17, v13, v18, v17
	;;#ASMEND
	;;#ASMSTART
	v_dot2_f32_f16 v17, v14, v19, v17
	;;#ASMEND
	;;#ASMSTART
	v_dot2_f32_f16 v17, v15, v20, v17
	;;#ASMEND
	;;#ASMSTART
	v_dot2_f32_f16 v17, v16, v21, v17
	;;#ASMEND
	ds_load_b128 v[13:16], v53 offset:352
	ds_load_b128 v[18:21], v52 offset:352
	s_wait_dscnt 0x0
	;;#ASMSTART
	v_dot2_f32_f16 v17, v13, v18, v17
	;;#ASMEND
	;;#ASMSTART
	v_dot2_f32_f16 v17, v14, v19, v17
	;;#ASMEND
	;;#ASMSTART
	v_dot2_f32_f16 v17, v15, v20, v17
	;;#ASMEND
	;;#ASMSTART
	v_dot2_f32_f16 v17, v16, v21, v17
	;;#ASMEND
	ds_load_b128 v[13:16], v53 offset:368
	ds_load_b128 v[18:21], v52 offset:368
	s_wait_dscnt 0x0
	;;#ASMSTART
	v_dot2_f32_f16 v17, v13, v18, v17
	;;#ASMEND
	;;#ASMSTART
	v_dot2_f32_f16 v17, v14, v19, v17
	;;#ASMEND
	;;#ASMSTART
	v_dot2_f32_f16 v17, v15, v20, v17
	;;#ASMEND
	;;#ASMSTART
	v_dot2_f32_f16 v17, v16, v21, v17
	;;#ASMEND
	ds_load_b128 v[13:16], v53 offset:384
	ds_load_b128 v[18:21], v52 offset:384
	s_wait_dscnt 0x0
	;;#ASMSTART
	v_dot2_f32_f16 v17, v13, v18, v17
	;;#ASMEND
	;;#ASMSTART
	v_dot2_f32_f16 v17, v14, v19, v17
	;;#ASMEND
	;;#ASMSTART
	v_dot2_f32_f16 v17, v15, v20, v17
	;;#ASMEND
	;;#ASMSTART
	v_dot2_f32_f16 v17, v16, v21, v17
	;;#ASMEND
	ds_load_b128 v[13:16], v53 offset:400
	ds_load_b128 v[18:21], v52 offset:400
	s_wait_dscnt 0x0
	;;#ASMSTART
	v_dot2_f32_f16 v17, v13, v18, v17
	;;#ASMEND
	;;#ASMSTART
	v_dot2_f32_f16 v17, v14, v19, v17
	;;#ASMEND
	;;#ASMSTART
	v_dot2_f32_f16 v17, v15, v20, v17
	;;#ASMEND
	;;#ASMSTART
	v_dot2_f32_f16 v17, v16, v21, v17
	;;#ASMEND
	ds_load_b128 v[13:16], v53 offset:416
	ds_load_b128 v[18:21], v52 offset:416
	s_wait_dscnt 0x0
	;;#ASMSTART
	v_dot2_f32_f16 v17, v13, v18, v17
	;;#ASMEND
	;;#ASMSTART
	v_dot2_f32_f16 v17, v14, v19, v17
	;;#ASMEND
	;;#ASMSTART
	v_dot2_f32_f16 v17, v15, v20, v17
	;;#ASMEND
	;;#ASMSTART
	v_dot2_f32_f16 v17, v16, v21, v17
	;;#ASMEND
	ds_load_b128 v[13:16], v53 offset:432
	ds_load_b128 v[18:21], v52 offset:432
	s_wait_dscnt 0x0
	;;#ASMSTART
	v_dot2_f32_f16 v17, v13, v18, v17
	;;#ASMEND
	;;#ASMSTART
	v_dot2_f32_f16 v17, v14, v19, v17
	;;#ASMEND
	;;#ASMSTART
	v_dot2_f32_f16 v17, v15, v20, v17
	;;#ASMEND
	;;#ASMSTART
	v_dot2_f32_f16 v17, v16, v21, v17
	;;#ASMEND
	ds_load_b128 v[13:16], v53 offset:448
	ds_load_b128 v[18:21], v52 offset:448
	s_wait_dscnt 0x0
	;;#ASMSTART
	v_dot2_f32_f16 v17, v13, v18, v17
	;;#ASMEND
	;;#ASMSTART
	v_dot2_f32_f16 v17, v14, v19, v17
	;;#ASMEND
	;;#ASMSTART
	v_dot2_f32_f16 v17, v15, v20, v17
	;;#ASMEND
	;;#ASMSTART
	v_dot2_f32_f16 v17, v16, v21, v17
	;;#ASMEND
	ds_load_b128 v[13:16], v53 offset:464
	ds_load_b128 v[18:21], v52 offset:464
	s_wait_dscnt 0x0
	;;#ASMSTART
	v_dot2_f32_f16 v17, v13, v18, v17
	;;#ASMEND
	;;#ASMSTART
	v_dot2_f32_f16 v17, v14, v19, v17
	;;#ASMEND
	;;#ASMSTART
	v_dot2_f32_f16 v17, v15, v20, v17
	;;#ASMEND
	;;#ASMSTART
	v_dot2_f32_f16 v17, v16, v21, v17
	;;#ASMEND
	ds_load_b128 v[13:16], v53 offset:480
	ds_load_b128 v[18:21], v52 offset:480
	s_wait_dscnt 0x0
	;;#ASMSTART
	v_dot2_f32_f16 v17, v13, v18, v17
	;;#ASMEND
	;;#ASMSTART
	v_dot2_f32_f16 v17, v14, v19, v17
	;;#ASMEND
	;;#ASMSTART
	v_dot2_f32_f16 v17, v15, v20, v17
	;;#ASMEND
	;;#ASMSTART
	v_dot2_f32_f16 v17, v16, v21, v17
	;;#ASMEND
	ds_load_b128 v[18:21], v53 offset:496
	ds_load_b128 v[22:25], v52 offset:496
	v_mov_b32_e32 v13, v4
	s_wait_dscnt 0x0
	;;#ASMSTART
	v_dot2_f32_f16 v17, v18, v22, v17
	;;#ASMEND
	;;#ASMSTART
	v_dot2_f32_f16 v17, v19, v23, v17
	;;#ASMEND
	;; [unrolled: 3-line block ×4, first 2 shown]
	v_cmpx_gt_i32_e64 s29, v0
	s_cbranch_execz .LBB52_21
; %bb.18:
	s_cmp_eq_u64 s[34:35], 0
	s_cbranch_scc1 .LBB52_20
; %bb.19:
	v_mul_lo_u32 v12, v51, s11
	s_delay_alu instid0(VALU_DEP_1) | instskip(NEXT) | instid1(VALU_DEP_1)
	v_add3_u32 v12, v12, v0, s26
	v_ashrrev_i32_e32 v13, 31, v12
	s_delay_alu instid0(VALU_DEP_1) | instskip(NEXT) | instid1(VALU_DEP_1)
	v_lshlrev_b64_e32 v[12:13], 1, v[12:13]
	v_add_co_u32 v12, s9, s34, v12
	s_wait_alu 0xf1ff
	s_delay_alu instid0(VALU_DEP_2) | instskip(SKIP_3) | instid1(VALU_DEP_1)
	v_add_co_ci_u32_e64 v13, null, s35, v13, s9
	global_load_u16 v12, v[12:13], off
	s_wait_loadcnt 0x0
	v_cvt_f32_f16_e32 v12, v12
	v_mul_f32_e32 v12, v50, v12
.LBB52_20:
	s_delay_alu instid0(VALU_DEP_1) | instskip(NEXT) | instid1(VALU_DEP_1)
	v_add_f32_e32 v17, v17, v12
	v_dual_max_num_f32 v13, v4, v4 :: v_dual_add_f32 v12, 0x40051340, v17
	s_delay_alu instid0(VALU_DEP_1)
	v_max_num_f32_e32 v13, v13, v12
.LBB52_21:
	s_wait_alu 0xfffe
	s_or_b32 exec_lo, exec_lo, s15
	v_xor_b32_e32 v14, 16, v41
	s_ashr_i32 s15, s14, 31
	s_mov_b32 s24, 0
	s_wait_alu 0xfffe
	s_mul_u64 s[26:27], s[26:27], s[14:15]
	s_mov_b32 s25, s24
	v_cmp_gt_i32_e64 s9, 32, v14
	s_wait_alu 0xfffe
	s_lshl_b64 s[36:37], s[26:27], 2
	s_mov_b32 s26, s24
	s_wait_alu 0xfffe
	s_add_nc_u64 s[20:21], s[20:21], s[36:37]
	s_mov_b64 s[34:35], src_private_base
	v_cndmask_b32_e64 v12, v41, v14, s9
	s_wait_loadcnt 0x0
	s_barrier_signal -1
	s_barrier_wait -1
	global_inv scope:SCOPE_SE
	v_lshlrev_b32_e32 v12, 2, v12
	v_lshl_add_u32 v6, v6, 9, v47
	v_lshl_add_u32 v10, v10, 9, v47
	v_lshl_add_u32 v5, v5, 9, v47
	v_add_nc_u32_e32 v147, 0x3000, v42
	ds_bpermute_b32 v15, v12, v13
	v_xor_b32_e32 v12, 8, v41
	v_max_num_f32_e32 v13, v13, v13
	v_add_nc_u32_e32 v163, 0x3800, v42
	v_add_nc_u32_e32 v38, 0x1000, v42
	v_lshlrev_b32_e32 v26, 1, v0
	v_cmp_gt_i32_e64 s9, 32, v12
	v_add_nc_u32_e32 v30, v48, v47
	v_add_nc_u32_e32 v39, 0x1800, v42
	s_wait_alu 0xf1ff
	s_delay_alu instid0(VALU_DEP_3) | instskip(SKIP_1) | instid1(VALU_DEP_1)
	v_cndmask_b32_e64 v16, v41, v12, s9
	s_wait_dscnt 0x0
	v_dual_max_num_f32 v15, v15, v15 :: v_dual_lshlrev_b32 v16, 2, v16
	s_delay_alu instid0(VALU_DEP_1) | instskip(SKIP_4) | instid1(VALU_DEP_1)
	v_max_num_f32_e32 v15, v13, v15
	v_xor_b32_e32 v13, 4, v41
	ds_bpermute_b32 v16, v16, v15
	v_cmp_gt_i32_e64 s9, 32, v13
	s_wait_alu 0xf1ff
	v_cndmask_b32_e64 v18, v41, v13, s9
	s_delay_alu instid0(VALU_DEP_1) | instskip(SKIP_2) | instid1(VALU_DEP_1)
	v_lshlrev_b32_e32 v18, 2, v18
	s_wait_dscnt 0x0
	v_max_num_f32_e32 v16, v16, v16
	v_max_num_f32_e32 v16, v15, v16
	v_xor_b32_e32 v15, 2, v41
	s_delay_alu instid0(VALU_DEP_1) | instskip(SKIP_1) | instid1(VALU_DEP_1)
	v_cmp_gt_i32_e64 s9, 32, v15
	s_wait_alu 0xf1ff
	v_cndmask_b32_e64 v19, v41, v15, s9
	s_delay_alu instid0(VALU_DEP_1) | instskip(SKIP_3) | instid1(VALU_DEP_1)
	v_lshlrev_b32_e32 v19, 2, v19
	ds_bpermute_b32 v18, v18, v16
	s_wait_dscnt 0x0
	v_max_num_f32_e32 v18, v18, v18
	v_max_num_f32_e32 v18, v16, v18
	v_xor_b32_e32 v16, 1, v41
	ds_bpermute_b32 v19, v19, v18
	v_cmp_gt_i32_e64 s9, 32, v16
	s_wait_alu 0xf1ff
	s_delay_alu instid0(VALU_DEP_1) | instskip(SKIP_1) | instid1(VALU_DEP_1)
	v_cndmask_b32_e64 v20, v41, v16, s9
	s_wait_dscnt 0x0
	v_dual_max_num_f32 v19, v19, v19 :: v_dual_lshlrev_b32 v20, 2, v20
	s_delay_alu instid0(VALU_DEP_1) | instskip(SKIP_3) | instid1(VALU_DEP_1)
	v_max_num_f32_e32 v18, v18, v19
	ds_bpermute_b32 v19, v20, v18
	s_wait_dscnt 0x0
	v_max_num_f32_e32 v19, v19, v19
	v_max_num_f32_e32 v18, v18, v19
	s_delay_alu instid0(VALU_DEP_1) | instskip(NEXT) | instid1(VALU_DEP_1)
	v_sub_f32_e32 v21, v17, v18
	v_mul_f32_e32 v17, 0x3fb8aa3b, v21
	v_cmp_ngt_f32_e64 s9, 0xc2ce8ed0, v21
	s_delay_alu instid0(VALU_DEP_2) | instskip(SKIP_1) | instid1(VALU_DEP_2)
	v_fma_f32 v19, 0x3fb8aa3b, v21, -v17
	v_rndne_f32_e32 v20, v17
	v_fmac_f32_e32 v19, 0x32a5705f, v21
	s_delay_alu instid0(VALU_DEP_2) | instskip(SKIP_2) | instid1(VALU_DEP_3)
	v_sub_f32_e32 v17, v17, v20
	v_cvt_i32_f32_e32 v23, v20
	v_add_nc_u32_e32 v53, 0x2000, v42
	v_add_f32_e32 v17, v17, v19
	v_lshlrev_b64_e32 v[19:20], 2, v[2:3]
	s_delay_alu instid0(VALU_DEP_2) | instskip(SKIP_1) | instid1(TRANS32_DEP_1)
	v_exp_f32_e32 v22, v17
	v_lshlrev_b32_e32 v17, 6, v49
	v_ldexp_f32 v3, v22, v23
	s_wait_alu 0xf1ff
	s_delay_alu instid0(VALU_DEP_1)
	v_cndmask_b32_e64 v3, 0, v3, s9
	s_wait_alu 0xfffe
	v_add_co_u32 v19, s9, s20, v19
	s_wait_alu 0xf1ff
	v_add_co_ci_u32_e64 v20, null, s21, v20, s9
	v_cmp_nlt_f32_e64 s9, 0x42b17218, v21
	s_wait_alu 0xf1ff
	s_delay_alu instid0(VALU_DEP_1) | instskip(SKIP_4) | instid1(VALU_DEP_2)
	v_cndmask_b32_e64 v3, 0x7f800000, v3, s9
	v_add_co_u32 v19, s9, v19, v47
	s_wait_alu 0xf1ff
	v_add_co_ci_u32_e64 v20, null, 0, v20, s9
	v_cmp_gt_u32_e64 s9, s29, v0
	v_dual_mov_b32 v29, 0 :: v_dual_cndmask_b32 v20, s35, v20
	s_wait_alu 0xf1ff
	s_delay_alu instid0(VALU_DEP_2)
	v_cndmask_b32_e64 v3, 0, v3, s9
	s_lshl_b32 s9, s14, 2
	v_dual_mov_b32 v23, s24 :: v_dual_mov_b32 v24, s25
	v_add3_u32 v21, 0x4a00, v17, v26
	s_wait_alu 0xfffe
	v_add_nc_u32_e32 v26, s9, v2
	v_cvt_f16_f32_e32 v22, v3
	v_mov_b32_e32 v25, s26
	v_cndmask_b32_e32 v19, 0, v19, vcc_lo
	s_clause 0x1
	scratch_store_b32 off, v29, off
	scratch_store_b96 off, v[23:25], off offset:4
	v_ashrrev_i32_e32 v27, 31, v26
	ds_store_b16 v21, v22
	v_lshlrev_b64_e32 v[27:28], 2, v[26:27]
	v_add_nc_u32_e32 v26, s9, v26
	flat_load_b128 v[19:22], v[19:20]
	s_clause 0x1
	scratch_store_b32 off, v29, off
	scratch_store_b96 off, v[23:25], off offset:4
	v_add_co_u32 v2, vcc_lo, s20, v27
	s_wait_alu 0xfffd
	v_add_co_ci_u32_e64 v27, null, s21, v28, vcc_lo
	s_delay_alu instid0(VALU_DEP_2) | instskip(SKIP_1) | instid1(VALU_DEP_2)
	v_add_co_u32 v2, vcc_lo, v2, v47
	s_wait_alu 0xfffd
	v_add_co_ci_u32_e64 v27, null, 0, v27, vcc_lo
	s_delay_alu instid0(VALU_DEP_1) | instskip(NEXT) | instid1(VALU_DEP_3)
	v_cndmask_b32_e64 v28, s35, v27, s2
	v_cndmask_b32_e64 v27, 0, v2, s2
	s_wait_loadcnt_dscnt 0x0
	ds_store_b128 v30, v[19:22]
	flat_load_b128 v[19:22], v[27:28]
	v_ashrrev_i32_e32 v27, 31, v26
	s_clause 0x1
	scratch_store_b32 off, v29, off
	scratch_store_b96 off, v[23:25], off offset:4
	v_lshlrev_b64_e32 v[27:28], 2, v[26:27]
	v_add_nc_u32_e32 v26, s9, v26
	s_delay_alu instid0(VALU_DEP_2) | instskip(SKIP_1) | instid1(VALU_DEP_3)
	v_add_co_u32 v2, vcc_lo, s20, v27
	s_wait_alu 0xfffd
	v_add_co_ci_u32_e64 v27, null, s21, v28, vcc_lo
	s_delay_alu instid0(VALU_DEP_2) | instskip(SKIP_1) | instid1(VALU_DEP_2)
	v_add_co_u32 v2, vcc_lo, v2, v47
	s_wait_alu 0xfffd
	v_add_co_ci_u32_e64 v27, null, 0, v27, vcc_lo
	s_delay_alu instid0(VALU_DEP_1) | instskip(NEXT) | instid1(VALU_DEP_3)
	v_cndmask_b32_e64 v28, s35, v27, s3
	v_cndmask_b32_e64 v27, 0, v2, s3
	s_wait_loadcnt_dscnt 0x0
	ds_store_b128 v6, v[19:22]
	flat_load_b128 v[19:22], v[27:28]
	v_ashrrev_i32_e32 v27, 31, v26
	s_clause 0x1
	scratch_store_b32 off, v29, off
	scratch_store_b96 off, v[23:25], off offset:4
	v_lshlrev_b64_e32 v[27:28], 2, v[26:27]
	s_delay_alu instid0(VALU_DEP_1) | instskip(SKIP_1) | instid1(VALU_DEP_2)
	v_add_co_u32 v2, vcc_lo, s20, v27
	s_wait_alu 0xfffd
	v_add_co_ci_u32_e64 v6, null, s21, v28, vcc_lo
	v_lshl_add_u32 v27, v7, 9, v47
	s_delay_alu instid0(VALU_DEP_3) | instskip(SKIP_1) | instid1(VALU_DEP_3)
	v_add_co_u32 v2, vcc_lo, v2, v47
	s_wait_alu 0xfffd
	v_add_co_ci_u32_e64 v6, null, 0, v6, vcc_lo
	s_delay_alu instid0(VALU_DEP_1) | instskip(NEXT) | instid1(VALU_DEP_3)
	v_cndmask_b32_e64 v7, s35, v6, s4
	v_cndmask_b32_e64 v6, 0, v2, s4
	s_wait_loadcnt_dscnt 0x0
	ds_store_b128 v27, v[19:22]
	flat_load_b128 v[19:22], v[6:7]
	v_add_nc_u32_e32 v6, s9, v26
	s_clause 0x1
	scratch_store_b32 off, v29, off
	scratch_store_b96 off, v[23:25], off offset:4
	v_ashrrev_i32_e32 v7, 31, v6
	s_delay_alu instid0(VALU_DEP_1) | instskip(NEXT) | instid1(VALU_DEP_1)
	v_lshlrev_b64_e32 v[26:27], 2, v[6:7]
	v_add_co_u32 v2, vcc_lo, s20, v26
	s_wait_alu 0xfffd
	s_delay_alu instid0(VALU_DEP_2) | instskip(SKIP_1) | instid1(VALU_DEP_3)
	v_add_co_ci_u32_e64 v7, null, s21, v27, vcc_lo
	v_lshl_add_u32 v26, v8, 9, v47
	v_add_co_u32 v2, vcc_lo, v2, v47
	s_wait_alu 0xfffd
	s_delay_alu instid0(VALU_DEP_3) | instskip(NEXT) | instid1(VALU_DEP_1)
	v_add_co_ci_u32_e64 v7, null, 0, v7, vcc_lo
	v_cndmask_b32_e64 v8, s35, v7, s5
	s_delay_alu instid0(VALU_DEP_3)
	v_cndmask_b32_e64 v7, 0, v2, s5
	s_wait_loadcnt_dscnt 0x0
	ds_store_b128 v26, v[19:22]
	flat_load_b128 v[19:22], v[7:8]
	v_add_nc_u32_e32 v26, s9, v6
	v_lshl_add_u32 v8, v9, 9, v47
	s_clause 0x1
	scratch_store_b32 off, v29, off
	scratch_store_b96 off, v[23:25], off offset:4
	v_ashrrev_i32_e32 v27, 31, v26
	s_delay_alu instid0(VALU_DEP_1) | instskip(NEXT) | instid1(VALU_DEP_1)
	v_lshlrev_b64_e32 v[6:7], 2, v[26:27]
	v_add_co_u32 v2, vcc_lo, s20, v6
	s_wait_alu 0xfffd
	s_delay_alu instid0(VALU_DEP_2) | instskip(NEXT) | instid1(VALU_DEP_2)
	v_add_co_ci_u32_e64 v6, null, s21, v7, vcc_lo
	v_add_co_u32 v2, vcc_lo, v2, v47
	s_wait_alu 0xfffd
	s_delay_alu instid0(VALU_DEP_2) | instskip(NEXT) | instid1(VALU_DEP_1)
	v_add_co_ci_u32_e64 v6, null, 0, v6, vcc_lo
	v_cndmask_b32_e64 v7, s35, v6, s6
	s_delay_alu instid0(VALU_DEP_3)
	v_cndmask_b32_e64 v6, 0, v2, s6
	s_wait_loadcnt_dscnt 0x0
	ds_store_b128 v8, v[19:22]
	flat_load_b128 v[6:9], v[6:7]
	v_add_nc_u32_e32 v19, s9, v26
	s_clause 0x1
	scratch_store_b32 off, v29, off
	scratch_store_b96 off, v[23:25], off offset:4
	v_ashrrev_i32_e32 v20, 31, v19
	s_delay_alu instid0(VALU_DEP_1) | instskip(SKIP_1) | instid1(VALU_DEP_2)
	v_lshlrev_b64_e32 v[20:21], 2, v[19:20]
	v_add_nc_u32_e32 v19, s9, v19
	v_add_co_u32 v2, vcc_lo, s20, v20
	s_wait_alu 0xfffd
	s_delay_alu instid0(VALU_DEP_3) | instskip(NEXT) | instid1(VALU_DEP_2)
	v_add_co_ci_u32_e64 v20, null, s21, v21, vcc_lo
	v_add_co_u32 v2, vcc_lo, v2, v47
	s_wait_alu 0xfffd
	s_delay_alu instid0(VALU_DEP_2) | instskip(NEXT) | instid1(VALU_DEP_1)
	v_add_co_ci_u32_e64 v20, null, 0, v20, vcc_lo
	v_cndmask_b32_e64 v21, s35, v20, s7
	s_delay_alu instid0(VALU_DEP_3)
	v_cndmask_b32_e64 v20, 0, v2, s7
	s_wait_loadcnt_dscnt 0x0
	ds_store_b128 v10, v[6:9]
	flat_load_b128 v[6:9], v[20:21]
	v_ashrrev_i32_e32 v20, 31, v19
	s_clause 0x1
	scratch_store_b32 off, v29, off
	scratch_store_b96 off, v[23:25], off offset:4
	v_lshlrev_b64_e32 v[19:20], 2, v[19:20]
	s_delay_alu instid0(VALU_DEP_1) | instskip(SKIP_1) | instid1(VALU_DEP_2)
	v_add_co_u32 v2, vcc_lo, s20, v19
	s_wait_alu 0xfffd
	v_add_co_ci_u32_e64 v10, null, s21, v20, vcc_lo
	v_lshl_add_u32 v19, v11, 9, v47
	s_delay_alu instid0(VALU_DEP_3) | instskip(SKIP_1) | instid1(VALU_DEP_3)
	v_add_co_u32 v2, vcc_lo, v2, v47
	s_wait_alu 0xfffd
	v_add_co_ci_u32_e64 v10, null, 0, v10, vcc_lo
	s_delay_alu instid0(VALU_DEP_1) | instskip(NEXT) | instid1(VALU_DEP_3)
	v_cndmask_b32_e64 v11, s35, v10, s8
	v_cndmask_b32_e64 v10, 0, v2, s8
	v_sub_f32_e32 v2, v4, v18
	s_delay_alu instid0(VALU_DEP_1)
	v_mul_f32_e32 v4, 0x3fb8aa3b, v2
	v_cmp_ngt_f32_e32 vcc_lo, 0xc2ce8ed0, v2
	s_wait_loadcnt_dscnt 0x0
	ds_store_b128 v19, v[6:9]
	flat_load_b128 v[8:11], v[10:11]
	v_fma_f32 v6, 0x3fb8aa3b, v2, -v4
	v_rndne_f32_e32 v7, v4
	s_delay_alu instid0(VALU_DEP_2) | instskip(NEXT) | instid1(VALU_DEP_2)
	v_fmac_f32_e32 v6, 0x32a5705f, v2
	v_sub_f32_e32 v4, v4, v7
	s_delay_alu instid0(VALU_DEP_1) | instskip(SKIP_2) | instid1(VALU_DEP_3)
	v_add_f32_e32 v4, v4, v6
	v_cvt_i32_f32_e32 v6, v7
	v_mov_b32_e32 v7, 32
	v_exp_f32_e32 v4, v4
	s_delay_alu instid0(TRANS32_DEP_1) | instskip(SKIP_2) | instid1(VALU_DEP_2)
	v_ldexp_f32 v4, v4, v6
	v_add_nc_u32_e32 v6, 0x800, v42
	s_wait_alu 0xfffd
	v_cndmask_b32_e32 v4, 0, v4, vcc_lo
	v_cmp_nlt_f32_e32 vcc_lo, 0x42b17218, v2
	s_wait_alu 0xfffd
	s_delay_alu instid0(VALU_DEP_2) | instskip(NEXT) | instid1(VALU_DEP_1)
	v_cndmask_b32_e32 v2, 0x7f800000, v4, vcc_lo
	v_cvt_f16_f32_e32 v4, v2
	v_fmac_f32_e32 v3, v54, v2
	v_add_nc_u32_e32 v131, 0x2800, v42
	s_delay_alu instid0(VALU_DEP_3) | instskip(NEXT) | instid1(VALU_DEP_3)
	v_and_b32_e32 v4, 0xffff, v4
	v_mov_b32_e32 v54, v3
	s_delay_alu instid0(VALU_DEP_2) | instskip(SKIP_1) | instid1(VALU_DEP_2)
	v_mul_u32_u24_e32 v167, 0x10001, v4
	v_mov_b32_e32 v4, v18
	v_pk_mul_f16 v168, v46, v167
	v_pk_mul_f16 v169, v45, v167
	s_wait_loadcnt_dscnt 0x0
	ds_store_b128 v5, v[8:11]
	s_wait_storecnt_dscnt 0x0
	s_barrier_signal -1
	s_barrier_wait -1
	global_inv scope:SCOPE_SE
	ds_load_2addr_b64 v[8:11], v42 offset1:32
	ds_load_b128 v[18:21], v17 offset:18944
	ds_load_b128 v[22:25], v17 offset:18960
	;; [unrolled: 1-line block ×4, first 2 shown]
	ds_load_2addr_b64 v[34:37], v42 offset0:64 offset1:96
	ds_load_2addr_b64 v[45:48], v42 offset0:128 offset1:160
	ds_load_2addr_b64 v[49:52], v42 offset0:192 offset1:224
	ds_load_2addr_b64 v[55:58], v6 offset1:32
	ds_load_2addr_b64 v[59:62], v6 offset0:64 offset1:96
	ds_load_2addr_b64 v[63:66], v6 offset0:128 offset1:160
	ds_load_2addr_b64 v[67:70], v6 offset0:192 offset1:224
	ds_load_2addr_b64 v[71:74], v38 offset1:32
	;; [unrolled: 4-line block ×7, first 2 shown]
	ds_load_2addr_b64 v[155:158], v163 offset0:64 offset1:96
	ds_load_2addr_b64 v[159:162], v163 offset0:128 offset1:160
	;; [unrolled: 1-line block ×3, first 2 shown]
	s_wait_dscnt 0x22
	v_lshrrev_b32_e32 v5, 16, v18
	v_and_b32_e32 v18, 0xffff, v18
	v_lshrrev_b32_e32 v6, 16, v19
	v_and_b32_e32 v19, 0xffff, v19
	v_lshrrev_b32_e32 v17, 16, v20
	v_mul_u32_u24_e32 v5, 0x10001, v5
	v_mul_u32_u24_e32 v18, 0x10001, v18
	v_and_b32_e32 v20, 0xffff, v20
	v_mul_u32_u24_e32 v6, 0x10001, v6
	v_lshrrev_b32_e32 v38, 16, v21
	v_and_b32_e32 v21, 0xffff, v21
	v_pk_mul_f16 v8, v8, v18
	v_pk_mul_f16 v9, v9, v18
	v_pk_fma_f16 v10, v10, v18, v168
	v_pk_fma_f16 v11, v11, v18, v169
	v_mul_u32_u24_e32 v18, 0x10001, v19
	v_pk_fma_f16 v8, v43, v167, v8
	v_pk_fma_f16 v9, v44, v167, v9
	s_wait_dscnt 0x1e
	v_pk_fma_f16 v10, v36, v5, v10
	v_pk_fma_f16 v11, v37, v5, v11
	v_lshrrev_b32_e32 v39, 16, v22
	v_pk_fma_f16 v8, v34, v5, v8
	v_pk_fma_f16 v5, v35, v5, v9
	s_wait_dscnt 0x1d
	v_pk_fma_f16 v9, v47, v18, v10
	v_pk_fma_f16 v10, v48, v18, v11
	v_mul_u32_u24_e32 v11, 0x10001, v20
	v_pk_fma_f16 v8, v45, v18, v8
	v_pk_fma_f16 v5, v46, v18, v5
	s_wait_dscnt 0x1c
	v_pk_fma_f16 v9, v51, v6, v9
	v_pk_fma_f16 v10, v52, v6, v10
	v_and_b32_e32 v22, 0xffff, v22
	v_pk_fma_f16 v8, v49, v6, v8
	v_pk_fma_f16 v5, v50, v6, v5
	v_mul_u32_u24_e32 v6, 0x10001, v17
	s_wait_dscnt 0x1b
	v_pk_fma_f16 v9, v57, v11, v9
	v_pk_fma_f16 v10, v58, v11, v10
	v_pk_fma_f16 v8, v55, v11, v8
	v_pk_fma_f16 v5, v56, v11, v5
	v_mul_u32_u24_e32 v11, 0x10001, v21
	s_wait_dscnt 0x1a
	v_pk_fma_f16 v9, v61, v6, v9
	v_pk_fma_f16 v10, v62, v6, v10
	;; [unrolled: 6-line block ×4, first 2 shown]
	v_pk_fma_f16 v8, v67, v6, v8
	v_pk_fma_f16 v5, v68, v6, v5
	v_lshrrev_b32_e32 v42, 16, v23
	v_and_b32_e32 v23, 0xffff, v23
	v_mul_u32_u24_e32 v6, 0x10001, v39
	s_wait_dscnt 0x17
	v_pk_fma_f16 v9, v73, v11, v9
	v_pk_fma_f16 v10, v74, v11, v10
	v_pk_fma_f16 v8, v71, v11, v8
	v_pk_fma_f16 v5, v72, v11, v5
	v_mul_u32_u24_e32 v11, 0x10001, v23
	s_wait_dscnt 0x16
	v_pk_fma_f16 v9, v77, v6, v9
	v_pk_fma_f16 v10, v78, v6, v10
	v_pk_fma_f16 v8, v75, v6, v8
	v_pk_fma_f16 v5, v76, v6, v5
	v_lshrrev_b32_e32 v53, 16, v24
	v_and_b32_e32 v24, 0xffff, v24
	v_mul_u32_u24_e32 v6, 0x10001, v42
	s_wait_dscnt 0x15
	v_pk_fma_f16 v9, v81, v11, v9
	v_pk_fma_f16 v10, v82, v11, v10
	v_pk_fma_f16 v8, v79, v11, v8
	v_pk_fma_f16 v5, v80, v11, v5
	v_mul_u32_u24_e32 v11, 0x10001, v24
	s_wait_dscnt 0x14
	v_pk_fma_f16 v9, v85, v6, v9
	v_pk_fma_f16 v10, v86, v6, v10
	;; [unrolled: 14-line block ×11, first 2 shown]
	v_pk_fma_f16 v8, v155, v6, v8
	v_pk_fma_f16 v5, v156, v6, v5
	v_mul_u32_u24_e32 v6, 0x10001, v178
	s_wait_dscnt 0x1
	v_pk_fma_f16 v9, v161, v11, v9
	v_pk_fma_f16 v10, v162, v11, v10
	;; [unrolled: 1-line block ×4, first 2 shown]
	s_wait_loadcnt_dscnt 0x0
	v_pk_fma_f16 v46, v165, v6, v9
	v_pk_fma_f16 v45, v166, v6, v10
	;; [unrolled: 1-line block ×4, first 2 shown]
	s_barrier_signal -1
	s_barrier_wait -1
	global_inv scope:SCOPE_SE
.LBB52_22:
	v_cmp_lt_i32_e32 vcc_lo, v14, v7
	s_cmp_eq_u64 s[12:13], 0
	s_cselect_b32 s2, -1, 0
	s_cmp_lg_u32 s10, 0
	s_wait_alu 0xfffd
	v_cndmask_b32_e32 v2, v41, v14, vcc_lo
	v_cmp_lt_i32_e32 vcc_lo, v12, v7
	s_cselect_b32 s3, -1, 0
	s_wait_alu 0xfffe
	s_or_b32 s2, s3, s2
	s_wait_alu 0xfffd
	v_cndmask_b32_e32 v3, v41, v12, vcc_lo
	v_cmp_lt_i32_e32 vcc_lo, v13, v7
	s_delay_alu instid0(VALU_DEP_2)
	v_lshlrev_b32_e32 v3, 2, v3
	s_wait_alu 0xfffd
	v_dual_cndmask_b32 v5, v41, v13 :: v_dual_lshlrev_b32 v2, 2, v2
	v_cmp_lt_i32_e32 vcc_lo, v15, v7
	ds_bpermute_b32 v2, v2, v54
	s_wait_dscnt 0x0
	v_add_f32_e32 v2, v54, v2
	ds_bpermute_b32 v3, v3, v2
	s_wait_dscnt 0x0
	v_dual_add_f32 v2, v2, v3 :: v_dual_lshlrev_b32 v5, 2, v5
	ds_bpermute_b32 v3, v5, v2
	s_wait_alu 0xfffd
	v_cndmask_b32_e32 v5, v41, v15, vcc_lo
	v_cmp_lt_i32_e32 vcc_lo, v16, v7
	s_wait_dscnt 0x0
	s_delay_alu instid0(VALU_DEP_2)
	v_dual_add_f32 v2, v2, v3 :: v_dual_lshlrev_b32 v5, 2, v5
	ds_bpermute_b32 v3, v5, v2
	s_wait_alu 0xfffd
	v_cndmask_b32_e32 v5, v41, v16, vcc_lo
	s_wait_alu 0xfffe
	s_and_b32 vcc_lo, exec_lo, s2
	s_wait_dscnt 0x0
	s_delay_alu instid0(VALU_DEP_1)
	v_dual_add_f32 v2, v2, v3 :: v_dual_lshlrev_b32 v5, 2, v5
	ds_bpermute_b32 v3, v5, v2
	s_wait_dscnt 0x0
	v_add_f32_e32 v5, v2, v3
	s_wait_alu 0xfffe
	s_cbranch_vccnz .LBB52_24
; %bb.23:
	v_dual_mov_b32 v2, 0 :: v_dual_max_num_f32 v3, v4, v4
	s_lshl_b64 s[2:3], s[30:31], 2
	s_wait_alu 0xfffe
	s_add_nc_u64 s[2:3], s[12:13], s[2:3]
	global_load_b32 v2, v2, s[2:3]
	s_wait_loadcnt 0x0
	v_max_num_f32_e32 v6, v2, v2
	s_delay_alu instid0(VALU_DEP_1) | instskip(NEXT) | instid1(VALU_DEP_1)
	v_max_num_f32_e32 v3, v3, v6
	v_sub_f32_e32 v4, v4, v3
	s_delay_alu instid0(VALU_DEP_1) | instskip(SKIP_1) | instid1(VALU_DEP_2)
	v_mul_f32_e32 v6, 0x3fb8aa3b, v4
	v_sub_f32_e32 v2, v2, v3
	v_rndne_f32_e32 v8, v6
	s_delay_alu instid0(VALU_DEP_2) | instskip(SKIP_2) | instid1(VALU_DEP_3)
	v_mul_f32_e32 v9, 0x3fb8aa3b, v2
	v_fma_f32 v7, 0x3fb8aa3b, v4, -v6
	v_cmp_ngt_f32_e32 vcc_lo, 0xc2ce8ed0, v4
	v_rndne_f32_e32 v11, v9
	s_delay_alu instid0(VALU_DEP_3) | instskip(SKIP_3) | instid1(VALU_DEP_3)
	v_fmac_f32_e32 v7, 0x32a5705f, v4
	v_sub_f32_e32 v6, v6, v8
	v_fma_f32 v10, 0x3fb8aa3b, v2, -v9
	v_cvt_i32_f32_e32 v8, v8
	v_add_f32_e32 v6, v6, v7
	s_delay_alu instid0(VALU_DEP_3) | instskip(NEXT) | instid1(VALU_DEP_2)
	v_dual_fmac_f32 v10, 0x32a5705f, v2 :: v_dual_sub_f32 v7, v9, v11
	v_exp_f32_e32 v6, v6
	s_delay_alu instid0(VALU_DEP_1) | instskip(NEXT) | instid1(VALU_DEP_1)
	v_add_f32_e32 v7, v7, v10
	v_exp_f32_e32 v7, v7
	s_delay_alu instid0(TRANS32_DEP_2) | instskip(SKIP_2) | instid1(VALU_DEP_2)
	v_ldexp_f32 v6, v6, v8
	v_cvt_i32_f32_e32 v8, v11
	s_wait_alu 0xfffd
	v_cndmask_b32_e32 v6, 0, v6, vcc_lo
	v_cmp_nlt_f32_e32 vcc_lo, 0x42b17218, v4
	s_delay_alu instid0(TRANS32_DEP_1) | instid1(VALU_DEP_3)
	v_ldexp_f32 v7, v7, v8
	s_wait_alu 0xfffd
	s_delay_alu instid0(VALU_DEP_3) | instskip(SKIP_3) | instid1(VALU_DEP_3)
	v_cndmask_b32_e32 v4, 0x7f800000, v6, vcc_lo
	v_cmp_ngt_f32_e32 vcc_lo, 0xc2ce8ed0, v2
	s_wait_alu 0xfffd
	v_cndmask_b32_e32 v6, 0, v7, vcc_lo
	v_cvt_f16_f32_e32 v7, v4
	v_cmp_nlt_f32_e32 vcc_lo, 0x42b17218, v2
	s_wait_alu 0xfffd
	s_delay_alu instid0(VALU_DEP_3) | instskip(NEXT) | instid1(VALU_DEP_3)
	v_cndmask_b32_e32 v2, 0x7f800000, v6, vcc_lo
	v_and_b32_e32 v6, 0xffff, v7
	s_delay_alu instid0(VALU_DEP_2) | instskip(NEXT) | instid1(VALU_DEP_2)
	v_fmac_f32_e32 v2, v5, v4
	v_mul_u32_u24_e32 v4, 0x10001, v6
	s_delay_alu instid0(VALU_DEP_2) | instskip(NEXT) | instid1(VALU_DEP_2)
	v_mov_b32_e32 v5, v2
	v_pk_mul_f16 v43, v43, v4
	v_pk_mul_f16 v44, v44, v4
	;; [unrolled: 1-line block ×4, first 2 shown]
	v_mov_b32_e32 v4, v3
.LBB52_24:
	s_mov_b32 s2, exec_lo
	v_cmpx_gt_i32_e64 s22, v1
	s_cbranch_execz .LBB52_27
; %bb.25:
	v_div_scale_f32 v3, null, v5, v5, 1.0
	s_load_b32 s1, s[0:1], 0xd4
	v_mad_co_u64_u32 v[1:2], null, s28, s22, v[1:2]
	v_rcp_f32_e32 v8, v3
	v_div_scale_f32 v7, vcc_lo, 1.0, v5, 1.0
	v_cmp_eq_u32_e64 s0, 0, v0
	v_cvt_f32_f16_e32 v10, v44
	v_lshrrev_b32_e32 v11, 16, v43
	v_mad_co_u64_u32 v[1:2], null, v1, s23, s[30:31]
	v_lshrrev_b32_e32 v13, 16, v45
	v_lshrrev_b32_e32 v14, 16, v46
	s_delay_alu instid0(TRANS32_DEP_1)
	v_fma_f32 v6, -v3, v8, 1.0
	v_cvt_f32_f16_e32 v12, v43
	v_cvt_f32_f16_e32 v11, v11
	;; [unrolled: 1-line block ×4, first 2 shown]
	v_fmac_f32_e32 v8, v6, v8
	v_lshrrev_b32_e32 v6, 16, v44
	s_wait_kmcnt 0x0
	v_mad_co_u64_u32 v[0:1], null, s1, v1, s[10:11]
	s_cmp_lg_u32 s1, 1
	v_dual_mul_f32 v9, v7, v8 :: v_dual_mov_b32 v2, 0
	v_cvt_f32_f16_e32 v18, v6
	s_cselect_b32 s1, -1, 0
	v_cvt_f32_f16_e32 v13, v13
	s_delay_alu instid0(VALU_DEP_3) | instskip(SKIP_3) | instid1(VALU_DEP_2)
	v_fma_f32 v1, -v3, v9, v7
	v_cvt_f32_f16_e32 v19, v14
	s_wait_alu 0xfffe
	s_and_b32 s0, s0, s1
	v_fmac_f32_e32 v9, v1, v8
	v_lshl_add_u32 v1, v0, 8, v40
	s_delay_alu instid0(VALU_DEP_2) | instskip(NEXT) | instid1(VALU_DEP_2)
	v_fma_f32 v3, -v3, v9, v7
	v_lshlrev_b64_e32 v[6:7], 2, v[1:2]
	v_add_nc_u32_e32 v1, 0x80, v1
	s_wait_alu 0xfffd
	s_delay_alu instid0(VALU_DEP_3) | instskip(NEXT) | instid1(VALU_DEP_2)
	v_div_fmas_f32 v3, v3, v8, v9
	v_lshlrev_b64_e32 v[1:2], 2, v[1:2]
	s_delay_alu instid0(VALU_DEP_4) | instskip(NEXT) | instid1(VALU_DEP_3)
	v_add_co_u32 v14, vcc_lo, s16, v6
	v_div_fixup_f32 v3, v3, v5, 1.0
	s_wait_alu 0xfffd
	v_add_co_ci_u32_e64 v15, null, s17, v7, vcc_lo
	s_delay_alu instid0(VALU_DEP_4) | instskip(NEXT) | instid1(VALU_DEP_3)
	v_add_co_u32 v1, vcc_lo, s16, v1
	v_cndmask_b32_e64 v3, v3, 1.0, s1
	s_wait_alu 0xfffd
	v_add_co_ci_u32_e64 v2, null, s17, v2, vcc_lo
	s_delay_alu instid0(VALU_DEP_2)
	v_mul_f32_e32 v9, v3, v18
	v_mul_f32_e32 v8, v3, v10
	v_mul_f32_e32 v7, v3, v11
	v_mul_f32_e32 v6, v3, v12
	v_mul_f32_e32 v13, v3, v13
	v_mul_f32_e32 v12, v3, v16
	v_mul_f32_e32 v11, v3, v19
	v_mul_f32_e32 v10, v3, v17
	s_clause 0x1
	global_store_b128 v[14:15], v[6:9], off
	global_store_b128 v[1:2], v[10:13], off
	s_wait_alu 0xfffe
	s_and_b32 exec_lo, exec_lo, s0
	s_cbranch_execz .LBB52_27
; %bb.26:
	v_ashrrev_i32_e32 v1, 31, v0
	s_delay_alu instid0(VALU_DEP_1) | instskip(NEXT) | instid1(VALU_DEP_1)
	v_lshlrev_b64_e32 v[0:1], 3, v[0:1]
	v_add_co_u32 v0, vcc_lo, s18, v0
	s_wait_alu 0xfffd
	s_delay_alu instid0(VALU_DEP_2)
	v_add_co_ci_u32_e64 v1, null, s19, v1, vcc_lo
	global_store_b64 v[0:1], v[4:5], off
.LBB52_27:
	s_nop 0
	s_sendmsg sendmsg(MSG_DEALLOC_VGPRS)
	s_endpgm
	.section	.rodata,"a",@progbits
	.p2align	6, 0x0
	.amdhsa_kernel _ZL15flash_attn_tileILi256ELi256ELi4ELi1ELb0EEvPKcS1_S1_S1_S1_PKiPfP15HIP_vector_typeIfLj2EEffffjfiS5_IjLj3EEiiiiiiiiiiiliiliiiiil
		.amdhsa_group_segment_fixed_size 19200
		.amdhsa_private_segment_fixed_size 32
		.amdhsa_kernarg_size 464
		.amdhsa_user_sgpr_count 2
		.amdhsa_user_sgpr_dispatch_ptr 0
		.amdhsa_user_sgpr_queue_ptr 0
		.amdhsa_user_sgpr_kernarg_segment_ptr 1
		.amdhsa_user_sgpr_dispatch_id 0
		.amdhsa_user_sgpr_private_segment_size 0
		.amdhsa_wavefront_size32 1
		.amdhsa_uses_dynamic_stack 0
		.amdhsa_enable_private_segment 1
		.amdhsa_system_sgpr_workgroup_id_x 1
		.amdhsa_system_sgpr_workgroup_id_y 1
		.amdhsa_system_sgpr_workgroup_id_z 1
		.amdhsa_system_sgpr_workgroup_info 0
		.amdhsa_system_vgpr_workitem_id 1
		.amdhsa_next_free_vgpr 235
		.amdhsa_next_free_sgpr 47
		.amdhsa_reserve_vcc 1
		.amdhsa_float_round_mode_32 0
		.amdhsa_float_round_mode_16_64 0
		.amdhsa_float_denorm_mode_32 3
		.amdhsa_float_denorm_mode_16_64 3
		.amdhsa_fp16_overflow 0
		.amdhsa_workgroup_processor_mode 1
		.amdhsa_memory_ordered 1
		.amdhsa_forward_progress 1
		.amdhsa_inst_pref_size 115
		.amdhsa_round_robin_scheduling 0
		.amdhsa_exception_fp_ieee_invalid_op 0
		.amdhsa_exception_fp_denorm_src 0
		.amdhsa_exception_fp_ieee_div_zero 0
		.amdhsa_exception_fp_ieee_overflow 0
		.amdhsa_exception_fp_ieee_underflow 0
		.amdhsa_exception_fp_ieee_inexact 0
		.amdhsa_exception_int_div_zero 0
	.end_amdhsa_kernel
	.section	.text._ZL15flash_attn_tileILi256ELi256ELi4ELi1ELb0EEvPKcS1_S1_S1_S1_PKiPfP15HIP_vector_typeIfLj2EEffffjfiS5_IjLj3EEiiiiiiiiiiiliiliiiiil,"axG",@progbits,_ZL15flash_attn_tileILi256ELi256ELi4ELi1ELb0EEvPKcS1_S1_S1_S1_PKiPfP15HIP_vector_typeIfLj2EEffffjfiS5_IjLj3EEiiiiiiiiiiiliiliiiiil,comdat
.Lfunc_end52:
	.size	_ZL15flash_attn_tileILi256ELi256ELi4ELi1ELb0EEvPKcS1_S1_S1_S1_PKiPfP15HIP_vector_typeIfLj2EEffffjfiS5_IjLj3EEiiiiiiiiiiiliiliiiiil, .Lfunc_end52-_ZL15flash_attn_tileILi256ELi256ELi4ELi1ELb0EEvPKcS1_S1_S1_S1_PKiPfP15HIP_vector_typeIfLj2EEffffjfiS5_IjLj3EEiiiiiiiiiiiliiliiiiil
                                        ; -- End function
	.set _ZL15flash_attn_tileILi256ELi256ELi4ELi1ELb0EEvPKcS1_S1_S1_S1_PKiPfP15HIP_vector_typeIfLj2EEffffjfiS5_IjLj3EEiiiiiiiiiiiliiliiiiil.num_vgpr, 235
	.set _ZL15flash_attn_tileILi256ELi256ELi4ELi1ELb0EEvPKcS1_S1_S1_S1_PKiPfP15HIP_vector_typeIfLj2EEffffjfiS5_IjLj3EEiiiiiiiiiiiliiliiiiil.num_agpr, 0
	.set _ZL15flash_attn_tileILi256ELi256ELi4ELi1ELb0EEvPKcS1_S1_S1_S1_PKiPfP15HIP_vector_typeIfLj2EEffffjfiS5_IjLj3EEiiiiiiiiiiiliiliiiiil.numbered_sgpr, 47
	.set _ZL15flash_attn_tileILi256ELi256ELi4ELi1ELb0EEvPKcS1_S1_S1_S1_PKiPfP15HIP_vector_typeIfLj2EEffffjfiS5_IjLj3EEiiiiiiiiiiiliiliiiiil.num_named_barrier, 0
	.set _ZL15flash_attn_tileILi256ELi256ELi4ELi1ELb0EEvPKcS1_S1_S1_S1_PKiPfP15HIP_vector_typeIfLj2EEffffjfiS5_IjLj3EEiiiiiiiiiiiliiliiiiil.private_seg_size, 32
	.set _ZL15flash_attn_tileILi256ELi256ELi4ELi1ELb0EEvPKcS1_S1_S1_S1_PKiPfP15HIP_vector_typeIfLj2EEffffjfiS5_IjLj3EEiiiiiiiiiiiliiliiiiil.uses_vcc, 1
	.set _ZL15flash_attn_tileILi256ELi256ELi4ELi1ELb0EEvPKcS1_S1_S1_S1_PKiPfP15HIP_vector_typeIfLj2EEffffjfiS5_IjLj3EEiiiiiiiiiiiliiliiiiil.uses_flat_scratch, 1
	.set _ZL15flash_attn_tileILi256ELi256ELi4ELi1ELb0EEvPKcS1_S1_S1_S1_PKiPfP15HIP_vector_typeIfLj2EEffffjfiS5_IjLj3EEiiiiiiiiiiiliiliiiiil.has_dyn_sized_stack, 0
	.set _ZL15flash_attn_tileILi256ELi256ELi4ELi1ELb0EEvPKcS1_S1_S1_S1_PKiPfP15HIP_vector_typeIfLj2EEffffjfiS5_IjLj3EEiiiiiiiiiiiliiliiiiil.has_recursion, 0
	.set _ZL15flash_attn_tileILi256ELi256ELi4ELi1ELb0EEvPKcS1_S1_S1_S1_PKiPfP15HIP_vector_typeIfLj2EEffffjfiS5_IjLj3EEiiiiiiiiiiiliiliiiiil.has_indirect_call, 0
	.section	.AMDGPU.csdata,"",@progbits
; Kernel info:
; codeLenInByte = 14624
; TotalNumSgprs: 49
; NumVgprs: 235
; ScratchSize: 32
; MemoryBound: 0
; FloatMode: 240
; IeeeMode: 1
; LDSByteSize: 19200 bytes/workgroup (compile time only)
; SGPRBlocks: 0
; VGPRBlocks: 29
; NumSGPRsForWavesPerEU: 49
; NumVGPRsForWavesPerEU: 235
; Occupancy: 6
; WaveLimiterHint : 1
; COMPUTE_PGM_RSRC2:SCRATCH_EN: 1
; COMPUTE_PGM_RSRC2:USER_SGPR: 2
; COMPUTE_PGM_RSRC2:TRAP_HANDLER: 0
; COMPUTE_PGM_RSRC2:TGID_X_EN: 1
; COMPUTE_PGM_RSRC2:TGID_Y_EN: 1
; COMPUTE_PGM_RSRC2:TGID_Z_EN: 1
; COMPUTE_PGM_RSRC2:TIDIG_COMP_CNT: 1
	.section	.text._ZL33flash_attn_stream_k_fixup_uniformILi256ELi4ELi1EEvPfPK15HIP_vector_typeIfLj2EEiiiiiiS1_IjLj3EES5_S5_,"axG",@progbits,_ZL33flash_attn_stream_k_fixup_uniformILi256ELi4ELi1EEvPfPK15HIP_vector_typeIfLj2EEiiiiiiS1_IjLj3EES5_S5_,comdat
	.globl	_ZL33flash_attn_stream_k_fixup_uniformILi256ELi4ELi1EEvPfPK15HIP_vector_typeIfLj2EEiiiiiiS1_IjLj3EES5_S5_ ; -- Begin function _ZL33flash_attn_stream_k_fixup_uniformILi256ELi4ELi1EEvPfPK15HIP_vector_typeIfLj2EEiiiiiiS1_IjLj3EES5_S5_
	.p2align	8
	.type	_ZL33flash_attn_stream_k_fixup_uniformILi256ELi4ELi1EEvPfPK15HIP_vector_typeIfLj2EEiiiiiiS1_IjLj3EES5_S5_,@function
_ZL33flash_attn_stream_k_fixup_uniformILi256ELi4ELi1EEvPfPK15HIP_vector_typeIfLj2EEiiiiiiS1_IjLj3EES5_S5_: ; @_ZL33flash_attn_stream_k_fixup_uniformILi256ELi4ELi1EEvPfPK15HIP_vector_typeIfLj2EEiiiiiiS1_IjLj3EES5_S5_
; %bb.0:
	s_clause 0x1
	s_load_b256 s[4:11], s[0:1], 0x1c
	s_load_b128 s[12:15], s[0:1], 0x3c
	s_wait_kmcnt 0x0
	s_mul_hi_u32 s2, s7, ttmp9
	s_delay_alu instid0(SALU_CYCLE_1) | instskip(NEXT) | instid1(SALU_CYCLE_1)
	s_add_co_i32 s2, ttmp9, s2
	s_lshr_b32 s2, s2, s8
	s_delay_alu instid0(SALU_CYCLE_1) | instskip(SKIP_2) | instid1(SALU_CYCLE_1)
	s_mul_i32 s3, s2, s9
	s_load_b64 s[8:9], s[0:1], 0x10
	s_sub_co_i32 s7, ttmp9, s3
	s_mul_hi_u32 s3, s7, s10
	s_delay_alu instid0(SALU_CYCLE_1) | instskip(NEXT) | instid1(SALU_CYCLE_1)
	s_add_co_i32 s3, s7, s3
	s_lshr_b32 s3, s3, s11
	s_delay_alu instid0(SALU_CYCLE_1) | instskip(NEXT) | instid1(SALU_CYCLE_1)
	s_mul_i32 s10, s3, s12
	s_sub_co_i32 s7, s7, s10
	s_delay_alu instid0(SALU_CYCLE_1) | instskip(NEXT) | instid1(SALU_CYCLE_1)
	s_mul_hi_u32 s10, s7, s13
	s_add_co_i32 s10, s7, s10
	s_delay_alu instid0(SALU_CYCLE_1) | instskip(NEXT) | instid1(SALU_CYCLE_1)
	s_lshr_b32 s11, s10, s14
	s_mul_i32 s10, s11, s15
	s_delay_alu instid0(SALU_CYCLE_1) | instskip(SKIP_2) | instid1(SALU_CYCLE_1)
	s_sub_co_i32 s12, s7, s10
	s_and_b32 s7, ttmp7, 0xffff
	s_lshl_b32 s10, s12, 2
	s_add_co_i32 s13, s10, s7
	s_lshr_b32 s10, ttmp7, 16
	s_wait_kmcnt 0x0
	s_cmp_lt_i32 s13, s8
	s_cselect_b32 s13, -1, 0
	s_add_co_i32 s14, s11, s10
	s_delay_alu instid0(SALU_CYCLE_1) | instskip(SKIP_1) | instid1(SALU_CYCLE_1)
	s_cmp_lt_i32 s14, s5
	s_cselect_b32 s14, -1, 0
	s_and_b32 s13, s13, s14
	s_delay_alu instid0(SALU_CYCLE_1)
	s_and_not1_b32 vcc_lo, exec_lo, s13
	s_cbranch_vccnz .LBB53_6
; %bb.1:
	s_mul_i32 s2, s2, s8
	s_mul_i32 s5, s3, s5
	s_add_co_i32 s2, s2, s7
	s_delay_alu instid0(SALU_CYCLE_1) | instskip(NEXT) | instid1(SALU_CYCLE_1)
	s_mul_i32 s2, s2, s9
	s_add_co_i32 s8, s2, s10
	s_load_b128 s[0:3], s[0:1], 0x0
	s_add_co_i32 s5, s8, s5
	s_mul_i32 s8, s9, s12
	s_add_co_i32 s5, s5, s11
	s_lshl_b32 s8, s8, 10
	s_lshl_b32 s5, s5, 8
	s_add_co_i32 s9, s7, s10
	s_add_co_i32 s8, s8, s5
	s_delay_alu instid0(SALU_CYCLE_1) | instskip(SKIP_3) | instid1(SALU_CYCLE_1)
	v_or_b32_e32 v1, s8, v0
	s_mul_i32 s8, s6, ttmp9
	s_wait_alu 0xfffe
	s_add_co_i32 s5, s8, s6
	s_add_co_i32 s7, s5, -2
	v_ashrrev_i32_e32 v2, 31, v1
	s_delay_alu instid0(VALU_DEP_1) | instskip(SKIP_1) | instid1(VALU_DEP_1)
	v_lshlrev_b64_e32 v[1:2], 2, v[1:2]
	s_wait_kmcnt 0x0
	v_add_co_u32 v1, vcc_lo, s0, v1
	s_delay_alu instid0(VALU_DEP_1)
	v_add_co_ci_u32_e64 v2, null, s1, v2, vcc_lo
	s_lshl_b32 s0, s5, 2
	s_wait_alu 0xfffe
	s_add_co_i32 s0, s9, s0
	global_load_b32 v5, v[1:2], off
	s_wait_alu 0xfffe
	s_add_co_i32 s0, s0, -4
	s_wait_alu 0xfffe
	s_ashr_i32 s1, s0, 31
	s_wait_alu 0xfffe
	s_lshl_b64 s[0:1], s[0:1], 3
	s_cmp_lt_i32 s7, s8
	s_wait_alu 0xfffe
	s_add_nc_u64 s[0:1], s[2:3], s[0:1]
	s_load_b32 s10, s[0:1], 0x4
	s_cbranch_scc1 .LBB53_4
; %bb.2:
	s_load_b32 s0, s[0:1], 0x0
	s_add_co_i32 s7, ttmp9, 1
	s_wait_kmcnt 0x0
	v_mov_b32_e32 v6, s10
	s_mul_i32 s1, s6, s7
	s_lshl_b32 s7, s9, 8
	s_wait_alu 0xfffe
	s_lshl_b32 s11, s1, 10
	s_lshl_b32 s6, s4, 4
	s_wait_alu 0xfffe
	s_add_co_i32 s11, s7, s11
	s_lshl_b32 s1, s1, 2
	s_wait_alu 0xfffe
	v_or_b32_e32 v0, s11, v0
	s_ashr_i32 s7, s6, 31
	s_add_co_i32 s1, s9, s1
	s_lshl_b32 s4, s4, 2
	s_lshl_b64 s[6:7], s[6:7], 2
	v_add_nc_u32_e32 v3, 0xfffff800, v0
	s_wait_alu 0xfffe
	s_add_co_i32 s4, s1, s4
	s_add_nc_u64 s[6:7], s[2:3], s[6:7]
	s_add_co_i32 s1, s5, -1
	s_add_co_i32 s4, s4, -8
.LBB53_3:                               ; =>This Inner Loop Header: Depth=1
	v_ashrrev_i32_e32 v4, 31, v3
	s_ashr_i32 s5, s4, 31
	v_mov_b32_e32 v10, v6
	s_lshl_b64 s[10:11], s[4:5], 3
	s_wait_loadcnt 0x0
	v_mov_b32_e32 v9, v5
	v_lshlrev_b64_e32 v[7:8], 2, v[3:4]
	s_wait_alu 0xfffe
	s_add_nc_u64 s[10:11], s[2:3], s[10:11]
	v_max_num_f32_e64 v4, s0, s0
	s_load_b64 s[10:11], s[10:11], 0x0
	v_add_nc_u32_e32 v3, 0xfffffc00, v3
	v_add_co_u32 v7, vcc_lo, s6, v7
	s_wait_alu 0xfffd
	v_add_co_ci_u32_e64 v8, null, s7, v8, vcc_lo
	v_readfirstlane_b32 s5, v4
	global_load_b32 v0, v[7:8], off
	s_wait_kmcnt 0x0
	v_max_num_f32_e64 v4, s10, s10
	s_delay_alu instid0(VALU_DEP_1) | instskip(SKIP_1) | instid1(SALU_CYCLE_3)
	v_readfirstlane_b32 s9, v4
	s_max_num_f32 s5, s5, s9
	s_sub_f32 s0, s0, s5
	s_sub_f32 s9, s10, s5
	s_wait_alu 0xfffe
	s_delay_alu instid0(SALU_CYCLE_1) | instskip(NEXT) | instid1(SALU_CYCLE_1)
	s_mul_f32 s10, s0, 0x3fb8aa3b
	s_mul_f32 s12, s9, 0x3fb8aa3b
	s_wait_alu 0xfffe
	s_delay_alu instid0(SALU_CYCLE_1)
	s_xor_b32 s13, s10, 0x80000000
	s_rndne_f32 s14, s10
	s_fmamk_f32 s13, s0, 0x3fb8aa3b, s13
	s_cmp_nlt_f32 s0, 0xc2ce8ed0
	s_rndne_f32 s15, s12
	s_wait_alu 0xfffe
	s_sub_f32 s10, s10, s14
	s_fmamk_f32 s13, s0, 0x32a5705f, s13
	s_cvt_i32_f32 s14, s14
	s_cselect_b32 vcc_lo, -1, 0
	s_cmp_ngt_f32 s0, 0x42b17218
	s_wait_alu 0xfffe
	s_add_f32 s10, s10, s13
	s_sub_f32 s13, s12, s15
	s_wait_alu 0xfffe
	s_delay_alu instid0(SALU_CYCLE_1) | instskip(SKIP_1) | instid1(TRANS32_DEP_1)
	v_s_exp_f32 s10, s10
	s_wait_alu 0xf1ff
	v_ldexp_f32 v4, s10, s14
	s_cvt_i32_f32 s10, s15
	s_delay_alu instid0(VALU_DEP_1) | instskip(SKIP_3) | instid1(VALU_DEP_1)
	v_cndmask_b32_e32 v4, 0, v4, vcc_lo
	s_cselect_b32 vcc_lo, -1, 0
	s_cmp_ge_f32 s0, 0xc1a00000
	s_wait_alu 0xfffe
	v_cndmask_b32_e32 v4, 0x7f800000, v4, vcc_lo
	s_cselect_b32 vcc_lo, -1, 0
	s_xor_b32 s0, s12, 0x80000000
	s_cmp_nlt_f32 s9, 0xc2ce8ed0
	s_wait_alu 0xfffe
	s_fmamk_f32 s0, s9, 0x3fb8aa3b, s0
	s_wait_alu 0xfffe
	s_delay_alu instid0(SALU_CYCLE_2) | instskip(SKIP_1) | instid1(SALU_CYCLE_2)
	s_fmamk_f32 s0, s9, 0x32a5705f, s0
	s_wait_alu 0xfffe
	s_add_f32 s0, s13, s0
	s_wait_alu 0xfffe
	s_delay_alu instid0(SALU_CYCLE_2) | instskip(SKIP_1) | instid1(TRANS32_DEP_1)
	v_s_exp_f32 s0, s0
	s_wait_alu 0xf1ff
	v_ldexp_f32 v7, s0, s10
	s_cselect_b32 s0, -1, 0
	s_cmp_ngt_f32 s9, 0x42b17218
	s_wait_alu 0xfffe
	s_delay_alu instid0(VALU_DEP_1) | instskip(SKIP_3) | instid1(VALU_DEP_1)
	v_cndmask_b32_e64 v7, 0, v7, s0
	s_cselect_b32 s0, -1, 0
	s_cmp_ge_f32 s9, 0xc1a00000
	s_wait_alu 0xfffe
	v_cndmask_b32_e64 v7, 0x7f800000, v7, s0
	s_cselect_b32 s0, -1, 0
	s_add_co_i32 s1, s1, -1
	s_add_co_i32 s4, s4, -4
	s_wait_alu 0xfffe
	s_cmp_le_i32 s1, s8
	v_cndmask_b32_e64 v7, 0, v7, s0
	s_mov_b32 s0, s5
	s_wait_loadcnt 0x0
	s_delay_alu instid0(VALU_DEP_1) | instskip(NEXT) | instid1(VALU_DEP_1)
	v_dual_mul_f32 v5, v0, v7 :: v_dual_cndmask_b32 v4, 0, v4
	v_dual_mul_f32 v8, s11, v7 :: v_dual_fmac_f32 v5, v9, v4
	s_delay_alu instid0(VALU_DEP_1) | instskip(NEXT) | instid1(VALU_DEP_1)
	v_mov_b32_e32 v6, v8
	v_fmac_f32_e32 v6, v10, v4
	s_cbranch_scc0 .LBB53_3
	s_branch .LBB53_5
.LBB53_4:
	s_wait_kmcnt 0x0
	v_mov_b32_e32 v6, s10
.LBB53_5:
	s_wait_loadcnt 0x0
	s_delay_alu instid0(VALU_DEP_1) | instskip(NEXT) | instid1(VALU_DEP_1)
	v_div_scale_f32 v0, null, v6, v6, v5
	v_rcp_f32_e32 v3, v0
	s_delay_alu instid0(TRANS32_DEP_1) | instskip(NEXT) | instid1(VALU_DEP_1)
	v_fma_f32 v4, -v0, v3, 1.0
	v_fmac_f32_e32 v3, v4, v3
	v_div_scale_f32 v4, vcc_lo, v5, v6, v5
	s_delay_alu instid0(VALU_DEP_1) | instskip(NEXT) | instid1(VALU_DEP_1)
	v_mul_f32_e32 v7, v4, v3
	v_fma_f32 v8, -v0, v7, v4
	s_delay_alu instid0(VALU_DEP_1) | instskip(NEXT) | instid1(VALU_DEP_1)
	v_fmac_f32_e32 v7, v8, v3
	v_fma_f32 v0, -v0, v7, v4
	s_wait_alu 0xfffd
	s_delay_alu instid0(VALU_DEP_1) | instskip(NEXT) | instid1(VALU_DEP_1)
	v_div_fmas_f32 v0, v0, v3, v7
	v_div_fixup_f32 v0, v0, v6, v5
	global_store_b32 v[1:2], v0, off
.LBB53_6:
	s_endpgm
	.section	.rodata,"a",@progbits
	.p2align	6, 0x0
	.amdhsa_kernel _ZL33flash_attn_stream_k_fixup_uniformILi256ELi4ELi1EEvPfPK15HIP_vector_typeIfLj2EEiiiiiiS1_IjLj3EES5_S5_
		.amdhsa_group_segment_fixed_size 0
		.amdhsa_private_segment_fixed_size 0
		.amdhsa_kernarg_size 76
		.amdhsa_user_sgpr_count 2
		.amdhsa_user_sgpr_dispatch_ptr 0
		.amdhsa_user_sgpr_queue_ptr 0
		.amdhsa_user_sgpr_kernarg_segment_ptr 1
		.amdhsa_user_sgpr_dispatch_id 0
		.amdhsa_user_sgpr_private_segment_size 0
		.amdhsa_wavefront_size32 1
		.amdhsa_uses_dynamic_stack 0
		.amdhsa_enable_private_segment 0
		.amdhsa_system_sgpr_workgroup_id_x 1
		.amdhsa_system_sgpr_workgroup_id_y 1
		.amdhsa_system_sgpr_workgroup_id_z 1
		.amdhsa_system_sgpr_workgroup_info 0
		.amdhsa_system_vgpr_workitem_id 0
		.amdhsa_next_free_vgpr 11
		.amdhsa_next_free_sgpr 16
		.amdhsa_reserve_vcc 1
		.amdhsa_float_round_mode_32 0
		.amdhsa_float_round_mode_16_64 0
		.amdhsa_float_denorm_mode_32 3
		.amdhsa_float_denorm_mode_16_64 3
		.amdhsa_fp16_overflow 0
		.amdhsa_workgroup_processor_mode 1
		.amdhsa_memory_ordered 1
		.amdhsa_forward_progress 1
		.amdhsa_inst_pref_size 9
		.amdhsa_round_robin_scheduling 0
		.amdhsa_exception_fp_ieee_invalid_op 0
		.amdhsa_exception_fp_denorm_src 0
		.amdhsa_exception_fp_ieee_div_zero 0
		.amdhsa_exception_fp_ieee_overflow 0
		.amdhsa_exception_fp_ieee_underflow 0
		.amdhsa_exception_fp_ieee_inexact 0
		.amdhsa_exception_int_div_zero 0
	.end_amdhsa_kernel
	.section	.text._ZL33flash_attn_stream_k_fixup_uniformILi256ELi4ELi1EEvPfPK15HIP_vector_typeIfLj2EEiiiiiiS1_IjLj3EES5_S5_,"axG",@progbits,_ZL33flash_attn_stream_k_fixup_uniformILi256ELi4ELi1EEvPfPK15HIP_vector_typeIfLj2EEiiiiiiS1_IjLj3EES5_S5_,comdat
.Lfunc_end53:
	.size	_ZL33flash_attn_stream_k_fixup_uniformILi256ELi4ELi1EEvPfPK15HIP_vector_typeIfLj2EEiiiiiiS1_IjLj3EES5_S5_, .Lfunc_end53-_ZL33flash_attn_stream_k_fixup_uniformILi256ELi4ELi1EEvPfPK15HIP_vector_typeIfLj2EEiiiiiiS1_IjLj3EES5_S5_
                                        ; -- End function
	.set _ZL33flash_attn_stream_k_fixup_uniformILi256ELi4ELi1EEvPfPK15HIP_vector_typeIfLj2EEiiiiiiS1_IjLj3EES5_S5_.num_vgpr, 11
	.set _ZL33flash_attn_stream_k_fixup_uniformILi256ELi4ELi1EEvPfPK15HIP_vector_typeIfLj2EEiiiiiiS1_IjLj3EES5_S5_.num_agpr, 0
	.set _ZL33flash_attn_stream_k_fixup_uniformILi256ELi4ELi1EEvPfPK15HIP_vector_typeIfLj2EEiiiiiiS1_IjLj3EES5_S5_.numbered_sgpr, 16
	.set _ZL33flash_attn_stream_k_fixup_uniformILi256ELi4ELi1EEvPfPK15HIP_vector_typeIfLj2EEiiiiiiS1_IjLj3EES5_S5_.num_named_barrier, 0
	.set _ZL33flash_attn_stream_k_fixup_uniformILi256ELi4ELi1EEvPfPK15HIP_vector_typeIfLj2EEiiiiiiS1_IjLj3EES5_S5_.private_seg_size, 0
	.set _ZL33flash_attn_stream_k_fixup_uniformILi256ELi4ELi1EEvPfPK15HIP_vector_typeIfLj2EEiiiiiiS1_IjLj3EES5_S5_.uses_vcc, 1
	.set _ZL33flash_attn_stream_k_fixup_uniformILi256ELi4ELi1EEvPfPK15HIP_vector_typeIfLj2EEiiiiiiS1_IjLj3EES5_S5_.uses_flat_scratch, 0
	.set _ZL33flash_attn_stream_k_fixup_uniformILi256ELi4ELi1EEvPfPK15HIP_vector_typeIfLj2EEiiiiiiS1_IjLj3EES5_S5_.has_dyn_sized_stack, 0
	.set _ZL33flash_attn_stream_k_fixup_uniformILi256ELi4ELi1EEvPfPK15HIP_vector_typeIfLj2EEiiiiiiS1_IjLj3EES5_S5_.has_recursion, 0
	.set _ZL33flash_attn_stream_k_fixup_uniformILi256ELi4ELi1EEvPfPK15HIP_vector_typeIfLj2EEiiiiiiS1_IjLj3EES5_S5_.has_indirect_call, 0
	.section	.AMDGPU.csdata,"",@progbits
; Kernel info:
; codeLenInByte = 1120
; TotalNumSgprs: 18
; NumVgprs: 11
; ScratchSize: 0
; MemoryBound: 0
; FloatMode: 240
; IeeeMode: 1
; LDSByteSize: 0 bytes/workgroup (compile time only)
; SGPRBlocks: 0
; VGPRBlocks: 1
; NumSGPRsForWavesPerEU: 18
; NumVGPRsForWavesPerEU: 11
; Occupancy: 16
; WaveLimiterHint : 0
; COMPUTE_PGM_RSRC2:SCRATCH_EN: 0
; COMPUTE_PGM_RSRC2:USER_SGPR: 2
; COMPUTE_PGM_RSRC2:TRAP_HANDLER: 0
; COMPUTE_PGM_RSRC2:TGID_X_EN: 1
; COMPUTE_PGM_RSRC2:TGID_Y_EN: 1
; COMPUTE_PGM_RSRC2:TGID_Z_EN: 1
; COMPUTE_PGM_RSRC2:TIDIG_COMP_CNT: 0
	.section	.text._ZL33flash_attn_stream_k_fixup_generalILi256ELi4ELi1EEvPfPK15HIP_vector_typeIfLj2EEiiiiS1_IjLj3EES5_S5_S5_,"axG",@progbits,_ZL33flash_attn_stream_k_fixup_generalILi256ELi4ELi1EEvPfPK15HIP_vector_typeIfLj2EEiiiiS1_IjLj3EES5_S5_S5_,comdat
	.globl	_ZL33flash_attn_stream_k_fixup_generalILi256ELi4ELi1EEvPfPK15HIP_vector_typeIfLj2EEiiiiS1_IjLj3EES5_S5_S5_ ; -- Begin function _ZL33flash_attn_stream_k_fixup_generalILi256ELi4ELi1EEvPfPK15HIP_vector_typeIfLj2EEiiiiS1_IjLj3EES5_S5_S5_
	.p2align	8
	.type	_ZL33flash_attn_stream_k_fixup_generalILi256ELi4ELi1EEvPfPK15HIP_vector_typeIfLj2EEiiiiS1_IjLj3EES5_S5_S5_,@function
_ZL33flash_attn_stream_k_fixup_generalILi256ELi4ELi1EEvPfPK15HIP_vector_typeIfLj2EEiiiiS1_IjLj3EES5_S5_S5_: ; @_ZL33flash_attn_stream_k_fixup_generalILi256ELi4ELi1EEvPfPK15HIP_vector_typeIfLj2EEiiiiS1_IjLj3EES5_S5_S5_
; %bb.0:
	s_clause 0x1
	s_load_b128 s[4:7], s[0:1], 0x10
	s_load_b32 s16, s[0:1], 0x50
	s_mov_b32 s2, ttmp9
	s_ashr_i32 s3, ttmp9, 31
	s_mov_b32 s17, 0
	s_delay_alu instid0(SALU_CYCLE_1) | instskip(SKIP_3) | instid1(SALU_CYCLE_1)
	s_mov_b32 s8, s17
	s_wait_kmcnt 0x0
	s_ashr_i32 s19, s7, 31
	s_mov_b32 s18, s7
	s_mul_u64 s[2:3], s[18:19], s[2:3]
	s_delay_alu instid0(SALU_CYCLE_1) | instskip(NEXT) | instid1(SALU_CYCLE_1)
	s_mov_b32 s9, s3
	s_cmp_lg_u64 s[8:9], 0
	s_cbranch_scc0 .LBB54_21
; %bb.1:
	s_add_nc_u64 s[8:9], s[16:17], 0
	s_mov_b32 s15, s17
	s_xor_b64 s[8:9], s[8:9], 0
	s_mov_b32 s23, s17
	s_cvt_f32_u32 s7, s8
	s_cvt_f32_u32 s10, s9
	s_sub_nc_u64 s[12:13], 0, s[8:9]
	s_delay_alu instid0(SALU_CYCLE_2) | instskip(NEXT) | instid1(SALU_CYCLE_3)
	s_fmamk_f32 s7, s10, 0x4f800000, s7
	v_s_rcp_f32 s7, s7
	s_delay_alu instid0(TRANS32_DEP_1) | instskip(SKIP_1) | instid1(SALU_CYCLE_2)
	s_mul_f32 s7, s7, 0x5f7ffffc
	s_wait_alu 0xfffe
	s_mul_f32 s10, s7, 0x2f800000
	s_delay_alu instid0(SALU_CYCLE_3) | instskip(NEXT) | instid1(SALU_CYCLE_3)
	s_trunc_f32 s10, s10
	s_fmamk_f32 s7, s10, 0xcf800000, s7
	s_cvt_u32_f32 s11, s10
	s_wait_alu 0xfffe
	s_delay_alu instid0(SALU_CYCLE_1) | instskip(NEXT) | instid1(SALU_CYCLE_3)
	s_cvt_u32_f32 s10, s7
	s_mul_u64 s[20:21], s[12:13], s[10:11]
	s_delay_alu instid0(SALU_CYCLE_1)
	s_mul_hi_u32 s25, s10, s21
	s_mul_i32 s24, s10, s21
	s_mul_hi_u32 s14, s10, s20
	s_mul_i32 s22, s11, s20
	s_add_nc_u64 s[14:15], s[14:15], s[24:25]
	s_mul_hi_u32 s7, s11, s20
	s_mul_hi_u32 s26, s11, s21
	s_add_co_u32 s14, s14, s22
	s_wait_alu 0xfffe
	s_add_co_ci_u32 s22, s15, s7
	s_mul_i32 s20, s11, s21
	s_add_co_ci_u32 s21, s26, 0
	s_delay_alu instid0(SALU_CYCLE_1)
	s_add_nc_u64 s[14:15], s[22:23], s[20:21]
	s_mov_b32 s21, s17
	s_add_co_u32 s10, s10, s14
	s_cselect_b32 s7, -1, 0
	s_wait_alu 0xfffe
	s_cmp_lg_u32 s7, 0
	s_add_co_ci_u32 s11, s11, s15
	s_mov_b32 s15, s17
	s_mul_u64 s[12:13], s[12:13], s[10:11]
	s_delay_alu instid0(SALU_CYCLE_1)
	s_mul_hi_u32 s23, s10, s13
	s_mul_i32 s22, s10, s13
	s_mul_hi_u32 s14, s10, s12
	s_mul_i32 s20, s11, s12
	s_add_nc_u64 s[14:15], s[14:15], s[22:23]
	s_mul_hi_u32 s7, s11, s12
	s_mul_hi_u32 s24, s11, s13
	s_mul_i32 s12, s11, s13
	s_add_co_u32 s13, s14, s20
	s_wait_alu 0xfffe
	s_add_co_ci_u32 s20, s15, s7
	s_add_co_ci_u32 s13, s24, 0
	s_mov_b32 s15, s17
	s_add_nc_u64 s[12:13], s[20:21], s[12:13]
	s_delay_alu instid0(SALU_CYCLE_1) | instskip(SKIP_1) | instid1(SALU_CYCLE_1)
	s_add_co_u32 s7, s10, s12
	s_cselect_b32 s10, -1, 0
	s_cmp_lg_u32 s10, 0
	s_add_co_ci_u32 s20, s11, s13
	s_ashr_i32 s10, s3, 31
	s_delay_alu instid0(SALU_CYCLE_1) | instskip(NEXT) | instid1(SALU_CYCLE_1)
	s_mov_b32 s11, s10
	s_add_nc_u64 s[12:13], s[2:3], s[10:11]
	s_delay_alu instid0(SALU_CYCLE_1) | instskip(NEXT) | instid1(SALU_CYCLE_1)
	s_xor_b64 s[12:13], s[12:13], s[10:11]
	s_mul_hi_u32 s23, s12, s20
	s_mul_i32 s22, s12, s20
	s_wait_alu 0xfffe
	s_mul_hi_u32 s14, s12, s7
	s_mul_hi_u32 s24, s13, s7
	s_mul_i32 s7, s13, s7
	s_add_nc_u64 s[14:15], s[14:15], s[22:23]
	s_mul_hi_u32 s3, s13, s20
	s_wait_alu 0xfffe
	s_add_co_u32 s7, s14, s7
	s_mul_i32 s22, s13, s20
	s_add_co_ci_u32 s20, s15, s24
	s_add_co_ci_u32 s23, s3, 0
	s_delay_alu instid0(SALU_CYCLE_1) | instskip(NEXT) | instid1(SALU_CYCLE_1)
	s_add_nc_u64 s[14:15], s[20:21], s[22:23]
	s_mul_u64 s[20:21], s[8:9], s[14:15]
	s_delay_alu instid0(SALU_CYCLE_1)
	s_sub_co_u32 s3, s12, s20
	s_cselect_b32 s7, -1, 0
	s_sub_co_i32 s12, s13, s21
	s_wait_alu 0xfffe
	s_cmp_lg_u32 s7, 0
	s_sub_co_ci_u32 s12, s12, s9
	s_sub_co_u32 s20, s3, s8
	s_cselect_b32 s22, -1, 0
	s_delay_alu instid0(SALU_CYCLE_1) | instskip(SKIP_2) | instid1(SALU_CYCLE_1)
	s_cmp_lg_u32 s22, 0
	s_add_nc_u64 s[22:23], s[14:15], 1
	s_sub_co_ci_u32 s12, s12, 0
	s_cmp_ge_u32 s12, s9
	s_cselect_b32 s24, -1, 0
	s_cmp_ge_u32 s20, s8
	s_cselect_b32 s20, -1, 0
	s_cmp_eq_u32 s12, s9
	s_cselect_b32 s12, s20, s24
	s_add_nc_u64 s[24:25], s[14:15], 2
	s_cmp_lg_u32 s12, 0
	s_cselect_b32 s12, s24, s22
	s_cselect_b32 s20, s25, s23
	s_cmp_lg_u32 s7, 0
	s_sub_co_ci_u32 s7, s13, s21
	s_wait_alu 0xfffe
	s_cmp_ge_u32 s7, s9
	s_cselect_b32 s13, -1, 0
	s_cmp_ge_u32 s3, s8
	s_cselect_b32 s3, -1, 0
	s_cmp_eq_u32 s7, s9
	s_cselect_b32 s3, s3, s13
	s_delay_alu instid0(SALU_CYCLE_1) | instskip(SKIP_4) | instid1(SALU_CYCLE_1)
	s_cmp_lg_u32 s3, 0
	s_mov_b32 s3, s17
	s_cselect_b32 s9, s20, s15
	s_cselect_b32 s8, s12, s14
	s_xor_b64 s[10:11], s[10:11], 0
	s_xor_b64 s[8:9], s[8:9], s[10:11]
	s_delay_alu instid0(SALU_CYCLE_1)
	s_sub_nc_u64 s[20:21], s[8:9], s[10:11]
	s_and_not1_b32 vcc_lo, exec_lo, s3
	s_cbranch_vccnz .LBB54_3
.LBB54_2:
	v_cvt_f32_u32_e32 v1, s16
	s_sub_co_i32 s7, 0, s16
	s_delay_alu instid0(VALU_DEP_1) | instskip(NEXT) | instid1(TRANS32_DEP_1)
	v_rcp_iflag_f32_e32 v1, v1
	v_mul_f32_e32 v1, 0x4f7ffffe, v1
	s_delay_alu instid0(VALU_DEP_1) | instskip(NEXT) | instid1(VALU_DEP_1)
	v_cvt_u32_f32_e32 v1, v1
	v_readfirstlane_b32 s3, v1
	s_wait_alu 0xfffe
	s_mul_i32 s7, s7, s3
	s_wait_alu 0xfffe
	s_mul_hi_u32 s7, s3, s7
	s_wait_alu 0xfffe
	s_add_co_i32 s3, s3, s7
	s_delay_alu instid0(SALU_CYCLE_1) | instskip(NEXT) | instid1(SALU_CYCLE_1)
	s_mul_hi_u32 s3, s2, s3
	s_mul_i32 s7, s3, s16
	s_wait_alu 0xfffe
	s_sub_co_i32 s2, s2, s7
	s_add_co_i32 s7, s3, 1
	s_sub_co_i32 s8, s2, s16
	s_cmp_ge_u32 s2, s16
	s_wait_alu 0xfffe
	s_cselect_b32 s3, s7, s3
	s_cselect_b32 s2, s8, s2
	s_add_co_i32 s7, s3, 1
	s_cmp_ge_u32 s2, s16
	s_wait_alu 0xfffe
	s_cselect_b32 s20, s7, s3
.LBB54_3:
	s_add_co_i32 s2, ttmp9, 1
	s_mov_b32 s8, 0
	s_ashr_i32 s3, s2, 31
	s_delay_alu instid0(SALU_CYCLE_1) | instskip(NEXT) | instid1(SALU_CYCLE_1)
	s_mul_u64 s[2:3], s[18:19], s[2:3]
	s_mov_b32 s9, s3
	s_delay_alu instid0(SALU_CYCLE_1)
	s_cmp_lg_u64 s[8:9], 0
	s_cbranch_scc0 .LBB54_22
; %bb.4:
	s_add_nc_u64 s[10:11], s[16:17], 0
	s_mov_b32 s23, s8
	s_xor_b64 s[10:11], s[10:11], 0
	s_mov_b32 s27, s8
	s_cvt_f32_u32 s7, s10
	s_cvt_f32_u32 s9, s11
	s_sub_nc_u64 s[14:15], 0, s[10:11]
	s_wait_alu 0xfffe
	s_delay_alu instid0(SALU_CYCLE_1) | instskip(SKIP_1) | instid1(SALU_CYCLE_2)
	s_fmamk_f32 s7, s9, 0x4f800000, s7
	s_wait_alu 0xfffe
	v_s_rcp_f32 s7, s7
	s_delay_alu instid0(TRANS32_DEP_1) | instskip(SKIP_1) | instid1(SALU_CYCLE_2)
	s_mul_f32 s7, s7, 0x5f7ffffc
	s_wait_alu 0xfffe
	s_mul_f32 s9, s7, 0x2f800000
	s_delay_alu instid0(SALU_CYCLE_3) | instskip(NEXT) | instid1(SALU_CYCLE_3)
	s_trunc_f32 s9, s9
	s_fmamk_f32 s7, s9, 0xcf800000, s7
	s_cvt_u32_f32 s13, s9
	s_wait_alu 0xfffe
	s_delay_alu instid0(SALU_CYCLE_1) | instskip(NEXT) | instid1(SALU_CYCLE_3)
	s_cvt_u32_f32 s12, s7
	s_mul_u64 s[24:25], s[14:15], s[12:13]
	s_delay_alu instid0(SALU_CYCLE_1)
	s_mul_hi_u32 s29, s12, s25
	s_mul_i32 s28, s12, s25
	s_mul_hi_u32 s22, s12, s24
	s_mul_i32 s9, s13, s24
	s_add_nc_u64 s[22:23], s[22:23], s[28:29]
	s_mul_hi_u32 s7, s13, s24
	s_mul_hi_u32 s21, s13, s25
	s_add_co_u32 s9, s22, s9
	s_wait_alu 0xfffe
	s_add_co_ci_u32 s26, s23, s7
	s_mul_i32 s24, s13, s25
	s_add_co_ci_u32 s25, s21, 0
	s_delay_alu instid0(SALU_CYCLE_1)
	s_add_nc_u64 s[22:23], s[26:27], s[24:25]
	s_mov_b32 s25, s8
	s_add_co_u32 s12, s12, s22
	s_cselect_b32 s7, -1, 0
	s_wait_alu 0xfffe
	s_cmp_lg_u32 s7, 0
	s_add_co_ci_u32 s13, s13, s23
	s_mov_b32 s23, s8
	s_mul_u64 s[14:15], s[14:15], s[12:13]
	s_delay_alu instid0(SALU_CYCLE_1)
	s_mul_hi_u32 s27, s12, s15
	s_mul_i32 s26, s12, s15
	s_mul_hi_u32 s22, s12, s14
	s_mul_i32 s9, s13, s14
	s_add_nc_u64 s[22:23], s[22:23], s[26:27]
	s_mul_hi_u32 s7, s13, s14
	s_mul_hi_u32 s21, s13, s15
	s_add_co_u32 s9, s22, s9
	s_wait_alu 0xfffe
	s_add_co_ci_u32 s24, s23, s7
	s_mul_i32 s14, s13, s15
	s_add_co_ci_u32 s15, s21, 0
	s_mov_b32 s23, s8
	s_add_nc_u64 s[14:15], s[24:25], s[14:15]
	s_delay_alu instid0(SALU_CYCLE_1) | instskip(SKIP_1) | instid1(SALU_CYCLE_1)
	s_add_co_u32 s7, s12, s14
	s_cselect_b32 s9, -1, 0
	s_cmp_lg_u32 s9, 0
	s_add_co_ci_u32 s9, s13, s15
	s_ashr_i32 s12, s3, 31
	s_delay_alu instid0(SALU_CYCLE_1) | instskip(NEXT) | instid1(SALU_CYCLE_1)
	s_mov_b32 s13, s12
	s_add_nc_u64 s[14:15], s[2:3], s[12:13]
	s_delay_alu instid0(SALU_CYCLE_1) | instskip(NEXT) | instid1(SALU_CYCLE_1)
	s_xor_b64 s[14:15], s[14:15], s[12:13]
	s_mul_hi_u32 s27, s14, s9
	s_mul_i32 s26, s14, s9
	s_wait_alu 0xfffe
	s_mul_hi_u32 s22, s14, s7
	s_mul_hi_u32 s21, s15, s7
	s_mul_i32 s7, s15, s7
	s_add_nc_u64 s[22:23], s[22:23], s[26:27]
	s_mul_hi_u32 s3, s15, s9
	s_wait_alu 0xfffe
	s_add_co_u32 s7, s22, s7
	s_add_co_ci_u32 s24, s23, s21
	s_mul_i32 s26, s15, s9
	s_add_co_ci_u32 s27, s3, 0
	s_delay_alu instid0(SALU_CYCLE_1) | instskip(NEXT) | instid1(SALU_CYCLE_1)
	s_add_nc_u64 s[22:23], s[24:25], s[26:27]
	s_mul_u64 s[24:25], s[10:11], s[22:23]
	s_add_nc_u64 s[26:27], s[22:23], 1
	s_sub_co_u32 s3, s14, s24
	s_cselect_b32 s7, -1, 0
	s_sub_co_i32 s9, s15, s25
	s_wait_alu 0xfffe
	s_cmp_lg_u32 s7, 0
	s_add_nc_u64 s[28:29], s[22:23], 2
	s_sub_co_ci_u32 s9, s9, s11
	s_sub_co_u32 s14, s3, s10
	s_cselect_b32 s21, -1, 0
	s_delay_alu instid0(SALU_CYCLE_1) | instskip(SKIP_1) | instid1(SALU_CYCLE_1)
	s_cmp_lg_u32 s21, 0
	s_sub_co_ci_u32 s9, s9, 0
	s_cmp_ge_u32 s9, s11
	s_cselect_b32 s21, -1, 0
	s_cmp_ge_u32 s14, s10
	s_cselect_b32 s14, -1, 0
	s_cmp_eq_u32 s9, s11
	s_cselect_b32 s9, s14, s21
	s_delay_alu instid0(SALU_CYCLE_1)
	s_cmp_lg_u32 s9, 0
	s_cselect_b32 s9, s28, s26
	s_cselect_b32 s14, s29, s27
	s_cmp_lg_u32 s7, 0
	s_sub_co_ci_u32 s7, s15, s25
	s_wait_alu 0xfffe
	s_cmp_ge_u32 s7, s11
	s_cselect_b32 s15, -1, 0
	s_cmp_ge_u32 s3, s10
	s_cselect_b32 s3, -1, 0
	s_cmp_eq_u32 s7, s11
	s_cselect_b32 s3, s3, s15
	s_delay_alu instid0(SALU_CYCLE_1) | instskip(SKIP_3) | instid1(SALU_CYCLE_1)
	s_cmp_lg_u32 s3, 0
	s_cselect_b32 s11, s14, s23
	s_cselect_b32 s10, s9, s22
	s_xor_b64 s[12:13], s[12:13], 0
	s_xor_b64 s[10:11], s[10:11], s[12:13]
	s_delay_alu instid0(SALU_CYCLE_1)
	s_sub_nc_u64 s[10:11], s[10:11], s[12:13]
	s_load_b96 s[12:14], s[0:1], 0x44
	s_and_not1_b32 vcc_lo, exec_lo, s8
	s_cbranch_vccnz .LBB54_6
.LBB54_5:
	v_cvt_f32_u32_e32 v1, s16
	s_sub_co_i32 s7, 0, s16
	s_delay_alu instid0(VALU_DEP_1) | instskip(NEXT) | instid1(TRANS32_DEP_1)
	v_rcp_iflag_f32_e32 v1, v1
	v_mul_f32_e32 v1, 0x4f7ffffe, v1
	s_delay_alu instid0(VALU_DEP_1) | instskip(NEXT) | instid1(VALU_DEP_1)
	v_cvt_u32_f32_e32 v1, v1
	v_readfirstlane_b32 s3, v1
	s_wait_alu 0xfffe
	s_mul_i32 s7, s7, s3
	s_wait_alu 0xfffe
	s_mul_hi_u32 s7, s3, s7
	s_wait_alu 0xfffe
	s_add_co_i32 s3, s3, s7
	s_delay_alu instid0(SALU_CYCLE_1) | instskip(NEXT) | instid1(SALU_CYCLE_1)
	s_mul_hi_u32 s3, s2, s3
	s_mul_i32 s7, s3, s16
	s_wait_alu 0xfffe
	s_sub_co_i32 s2, s2, s7
	s_add_co_i32 s7, s3, 1
	s_sub_co_i32 s8, s2, s16
	s_cmp_ge_u32 s2, s16
	s_wait_alu 0xfffe
	s_cselect_b32 s3, s7, s3
	s_cselect_b32 s2, s8, s2
	s_add_co_i32 s7, s3, 1
	s_cmp_ge_u32 s2, s16
	s_wait_alu 0xfffe
	s_cselect_b32 s10, s7, s3
.LBB54_6:
	s_mov_b32 s21, 0
	s_wait_kmcnt 0x0
	s_mov_b32 s22, s12
	s_mov_b32 s23, s21
	s_cmp_eq_u32 s20, s10
	s_mul_u64 s[2:3], s[20:21], s[22:23]
	s_cselect_b32 s7, -1, 0
	s_add_co_i32 s2, s3, s20
	s_mov_b32 s11, s21
	s_lshr_b32 s12, s2, s13
	s_mul_u64 s[2:3], s[10:11], s[22:23]
	s_mul_i32 s2, s12, s14
	s_delay_alu instid0(SALU_CYCLE_1) | instskip(SKIP_2) | instid1(SALU_CYCLE_1)
	s_cmp_eq_u32 s2, s20
	s_cselect_b32 s2, -1, 0
	s_add_co_i32 s3, s3, s10
	s_lshr_b32 s3, s3, s13
	s_delay_alu instid0(SALU_CYCLE_1)
	s_cmp_eq_u32 s12, s3
	s_mul_i32 s3, s3, s14
	s_cselect_b32 s8, -1, 0
	s_cmp_lg_u32 s3, s10
	s_cselect_b32 s3, -1, 0
	s_wait_alu 0xfffe
	s_or_b32 s2, s7, s2
	s_and_b32 s3, s8, s3
	s_delay_alu instid0(SALU_CYCLE_1) | instskip(NEXT) | instid1(SALU_CYCLE_1)
	s_or_b32 s2, s2, s3
	s_and_b32 vcc_lo, exec_lo, s2
	s_cbranch_vccnz .LBB54_24
; %bb.7:
	s_load_b256 s[24:31], s[0:1], 0x20
	s_mov_b32 s3, s21
	s_and_b32 s15, ttmp7, 0xffff
	s_wait_kmcnt 0x0
	s_mov_b32 s2, s24
	s_delay_alu instid0(SALU_CYCLE_1) | instskip(NEXT) | instid1(SALU_CYCLE_1)
	s_mul_u64 s[2:3], s[20:21], s[2:3]
	s_add_co_i32 s2, s3, s20
	s_delay_alu instid0(SALU_CYCLE_1) | instskip(SKIP_4) | instid1(SALU_CYCLE_1)
	s_lshr_b32 s3, s2, s25
	s_load_b32 s2, s[0:1], 0x40
	s_mul_i32 s7, s3, s26
	s_wait_alu 0xfffe
	s_sub_co_i32 s8, s20, s7
	s_mul_hi_u32 s7, s8, s27
	s_wait_alu 0xfffe
	s_add_co_i32 s7, s8, s7
	s_wait_alu 0xfffe
	s_lshr_b32 s7, s7, s28
	s_wait_alu 0xfffe
	s_mul_i32 s9, s7, s29
	s_delay_alu instid0(SALU_CYCLE_1) | instskip(NEXT) | instid1(SALU_CYCLE_1)
	s_sub_co_i32 s8, s8, s9
	s_mul_hi_u32 s9, s8, s30
	s_delay_alu instid0(SALU_CYCLE_1) | instskip(NEXT) | instid1(SALU_CYCLE_1)
	s_add_co_i32 s9, s8, s9
	s_lshr_b32 s24, s9, s31
	s_mov_b32 s9, s21
	s_wait_kmcnt 0x0
	s_mul_i32 s2, s24, s2
	s_delay_alu instid0(SALU_CYCLE_1) | instskip(NEXT) | instid1(SALU_CYCLE_1)
	s_sub_co_i32 s8, s8, s2
	s_mul_u64 s[10:11], s[8:9], s[22:23]
	s_delay_alu instid0(SALU_CYCLE_1) | instskip(NEXT) | instid1(SALU_CYCLE_1)
	s_add_co_i32 s2, s8, s11
	s_lshr_b32 s21, s2, s13
	s_delay_alu instid0(SALU_CYCLE_1) | instskip(NEXT) | instid1(SALU_CYCLE_1)
	s_lshl_b32 s2, s21, 2
	s_add_co_i32 s8, s2, s15
	s_lshr_b32 s2, ttmp7, 16
	s_cmp_lt_i32 s8, s4
	s_cselect_b32 s8, -1, 0
	s_add_co_i32 s9, s24, s2
	s_delay_alu instid0(SALU_CYCLE_1) | instskip(SKIP_1) | instid1(SALU_CYCLE_1)
	s_cmp_lt_i32 s9, s6
	s_cselect_b32 s9, -1, 0
	s_and_b32 s8, s8, s9
	s_delay_alu instid0(SALU_CYCLE_1)
	s_and_not1_b32 vcc_lo, exec_lo, s8
	s_cbranch_vccnz .LBB54_24
; %bb.8:
	s_mul_i32 s3, s3, s4
	s_mul_i32 s7, s7, s6
	s_add_co_i32 s3, s3, s15
	s_load_b128 s[8:11], s[0:1], 0x0
	s_mul_i32 s3, s3, s5
	s_mul_i32 s1, s5, s21
	s_add_co_i32 s3, s3, s2
	s_lshl_b32 s1, s1, 10
	s_add_co_i32 s0, s3, s7
	s_add_co_i32 s15, s15, s2
	;; [unrolled: 1-line block ×3, first 2 shown]
	v_cvt_f32_u32_e32 v4, s16
	s_lshl_b32 s0, s0, 8
	s_add_co_i32 s34, ttmp9, -1
	s_add_co_i32 s1, s1, s0
	s_delay_alu instid0(VALU_DEP_1)
	v_rcp_iflag_f32_e32 v4, v4
	v_or_b32_e32 v1, s1, v0
	s_add_nc_u64 s[0:1], s[16:17], 0
	v_lshl_or_b32 v0, s15, 8, v0
	s_wait_alu 0xfffe
	s_xor_b64 s[6:7], s[0:1], 0
	s_lshl_b32 s0, ttmp9, 2
	v_ashrrev_i32_e32 v2, 31, v1
	s_wait_alu 0xfffe
	s_cvt_f32_u32 s1, s6
	s_cvt_f32_u32 s2, s7
	s_add_co_i32 s0, s0, s15
	s_sub_nc_u64 s[30:31], 0, s[6:7]
	v_lshlrev_b64_e32 v[1:2], 2, v[1:2]
	s_wait_alu 0xfffe
	s_fmamk_f32 s2, s2, 0x4f800000, s1
	s_ashr_i32 s1, s0, 31
	s_wait_alu 0xfffe
	s_lshl_b64 s[0:1], s[0:1], 3
	v_s_rcp_f32 s2, s2
	s_wait_kmcnt 0x0
	v_add_co_u32 v1, vcc_lo, s8, v1
	s_delay_alu instid0(VALU_DEP_1)
	v_add_co_ci_u32_e64 v2, null, s9, v2, vcc_lo
	s_wait_alu 0xfffe
	s_add_nc_u64 s[0:1], s[10:11], s[0:1]
	s_mov_b32 s8, 0
	s_load_b64 s[26:27], s[0:1], 0x0
	global_load_b32 v3, v[1:2], off
	s_mul_f32 s2, s2, 0x5f7ffffc
	v_mul_f32_e32 v4, 0x4f7ffffe, v4
	s_lshl_b32 s0, s16, 4
	s_wait_alu 0xfffe
	s_mul_f32 s1, s2, 0x2f800000
	s_wait_alu 0xfffe
	s_delay_alu instid0(SALU_CYCLE_2)
	s_trunc_f32 s3, s1
	s_mov_b32 s1, s8
	s_wait_alu 0xfffe
	s_lshl_b64 s[0:1], s[0:1], 2
	s_fmamk_f32 s2, s3, 0xcf800000, s2
	s_cvt_u32_f32 s29, s3
	s_wait_alu 0xfffe
	s_add_nc_u64 s[24:25], s[10:11], s[0:1]
	s_cvt_u32_f32 s28, s2
	s_wait_kmcnt 0x0
	v_mov_b32_e32 v5, s27
	v_cvt_u32_f32_e32 v4, v4
.LBB54_9:                               ; =>This Inner Loop Header: Depth=1
	s_wait_alu 0xfffe
	s_ashr_i32 s35, s34, 31
	s_mov_b32 s2, -1
	s_wait_alu 0xfffe
	s_mul_u64 s[0:1], s[34:35], s[18:19]
                                        ; implicit-def: $sgpr38_sgpr39
	s_wait_alu 0xfffe
	s_mov_b32 s9, s1
	s_wait_alu 0xfffe
	s_cmp_lg_u64 s[8:9], 0
	s_cbranch_scc0 .LBB54_11
; %bb.10:                               ;   in Loop: Header=BB54_9 Depth=1
	s_mul_u64 s[2:3], s[30:31], s[28:29]
	s_mov_b32 s37, s8
	s_wait_alu 0xfffe
	s_mul_hi_u32 s5, s28, s3
	s_mul_i32 s4, s28, s3
	s_mul_hi_u32 s36, s28, s2
	s_mul_hi_u32 s9, s29, s2
	s_wait_alu 0xfffe
	s_add_nc_u64 s[4:5], s[36:37], s[4:5]
	s_mul_i32 s2, s29, s2
	s_mul_hi_u32 s17, s29, s3
	s_wait_alu 0xfffe
	s_add_co_u32 s2, s4, s2
	s_add_co_ci_u32 s2, s5, s9
	s_add_co_ci_u32 s5, s17, 0
	s_mul_i32 s4, s29, s3
	s_mov_b32 s3, s8
	s_mov_b32 s39, s8
	s_wait_alu 0xfffe
	s_add_nc_u64 s[2:3], s[2:3], s[4:5]
	s_wait_alu 0xfffe
	s_add_co_u32 s2, s28, s2
	s_cselect_b32 s4, -1, 0
	s_wait_alu 0xfffe
	s_cmp_lg_u32 s4, 0
	s_add_co_ci_u32 s3, s29, s3
	s_wait_alu 0xfffe
	s_mul_u64 s[4:5], s[30:31], s[2:3]
	s_wait_alu 0xfffe
	s_mul_hi_u32 s37, s2, s5
	s_mul_i32 s36, s2, s5
	s_mul_hi_u32 s38, s2, s4
	s_mul_hi_u32 s9, s3, s4
	s_mul_i32 s4, s3, s4
	s_wait_alu 0xfffe
	s_add_nc_u64 s[36:37], s[38:39], s[36:37]
	s_mul_hi_u32 s17, s3, s5
	s_wait_alu 0xfffe
	s_add_co_u32 s4, s36, s4
	s_add_co_ci_u32 s4, s37, s9
	s_add_co_ci_u32 s37, s17, 0
	s_mul_i32 s36, s3, s5
	s_mov_b32 s5, s8
	s_wait_alu 0xfffe
	s_add_nc_u64 s[4:5], s[4:5], s[36:37]
	s_mov_b32 s37, s8
	s_wait_alu 0xfffe
	s_add_co_u32 s9, s2, s4
	s_cselect_b32 s2, -1, 0
	s_wait_alu 0xfffe
	s_cmp_lg_u32 s2, 0
	s_add_co_ci_u32 s17, s3, s5
	s_ashr_i32 s2, s1, 31
	s_wait_alu 0xfffe
	s_mov_b32 s3, s2
	s_wait_alu 0xfffe
	s_add_nc_u64 s[4:5], s[0:1], s[2:3]
	s_wait_alu 0xfffe
	s_xor_b64 s[4:5], s[4:5], s[2:3]
	s_wait_alu 0xfffe
	s_mul_hi_u32 s39, s4, s17
	s_mul_i32 s38, s4, s17
	s_mul_hi_u32 s36, s4, s9
	s_mul_i32 s21, s5, s9
	s_wait_alu 0xfffe
	s_add_nc_u64 s[36:37], s[36:37], s[38:39]
	s_mul_hi_u32 s9, s5, s9
	s_mul_hi_u32 s1, s5, s17
	s_wait_alu 0xfffe
	s_add_co_u32 s21, s36, s21
	s_add_co_ci_u32 s36, s37, s9
	s_add_co_ci_u32 s39, s1, 0
	s_mul_i32 s38, s5, s17
	s_mov_b32 s37, s8
	s_wait_alu 0xfffe
	s_add_nc_u64 s[36:37], s[36:37], s[38:39]
	s_wait_alu 0xfffe
	s_mul_u64 s[38:39], s[6:7], s[36:37]
	s_add_nc_u64 s[40:41], s[36:37], 1
	s_sub_co_u32 s1, s4, s38
	s_cselect_b32 s4, -1, 0
	s_sub_co_i32 s9, s5, s39
	s_wait_alu 0xfffe
	s_cmp_lg_u32 s4, 0
	s_add_nc_u64 s[42:43], s[36:37], 2
	s_sub_co_ci_u32 s9, s9, s7
	s_sub_co_u32 s17, s1, s6
	s_cselect_b32 s21, -1, 0
	s_delay_alu instid0(SALU_CYCLE_1)
	s_cmp_lg_u32 s21, 0
	s_wait_alu 0xfffe
	s_sub_co_ci_u32 s9, s9, 0
	s_wait_alu 0xfffe
	s_cmp_ge_u32 s9, s7
	s_cselect_b32 s21, -1, 0
	s_cmp_ge_u32 s17, s6
	s_cselect_b32 s17, -1, 0
	s_cmp_eq_u32 s9, s7
	s_wait_alu 0xfffe
	s_cselect_b32 s9, s17, s21
	s_wait_alu 0xfffe
	s_cmp_lg_u32 s9, 0
	s_cselect_b32 s9, s42, s40
	s_cselect_b32 s17, s43, s41
	s_cmp_lg_u32 s4, 0
	s_sub_co_ci_u32 s4, s5, s39
	s_wait_alu 0xfffe
	s_cmp_ge_u32 s4, s7
	s_cselect_b32 s5, -1, 0
	s_cmp_ge_u32 s1, s6
	s_cselect_b32 s1, -1, 0
	s_cmp_eq_u32 s4, s7
	s_wait_alu 0xfffe
	s_cselect_b32 s1, s1, s5
	s_wait_alu 0xfffe
	s_cmp_lg_u32 s1, 0
	s_cselect_b32 s5, s17, s37
	s_cselect_b32 s4, s9, s36
	s_xor_b64 s[2:3], s[2:3], 0
	s_wait_alu 0xfffe
	s_xor_b64 s[4:5], s[4:5], s[2:3]
	s_wait_alu 0xfffe
	s_sub_nc_u64 s[38:39], s[4:5], s[2:3]
	s_mov_b32 s2, 0
.LBB54_11:                              ;   in Loop: Header=BB54_9 Depth=1
	s_wait_alu 0xfffe
	s_and_not1_b32 vcc_lo, exec_lo, s2
	s_wait_alu 0xfffe
	s_cbranch_vccnz .LBB54_13
; %bb.12:                               ;   in Loop: Header=BB54_9 Depth=1
	v_readfirstlane_b32 s1, v4
	s_sub_co_i32 s2, 0, s16
	s_wait_alu 0xfffe
	s_mul_i32 s2, s2, s1
	s_wait_alu 0xfffe
	s_mul_hi_u32 s2, s1, s2
	s_wait_alu 0xfffe
	s_add_co_i32 s1, s1, s2
	s_wait_alu 0xfffe
	s_mul_hi_u32 s1, s0, s1
	s_wait_alu 0xfffe
	s_mul_i32 s2, s1, s16
	s_wait_alu 0xfffe
	s_sub_co_i32 s0, s0, s2
	s_add_co_i32 s2, s1, 1
	s_wait_alu 0xfffe
	s_sub_co_i32 s3, s0, s16
	s_cmp_ge_u32 s0, s16
	s_cselect_b32 s1, s2, s1
	s_wait_alu 0xfffe
	s_cselect_b32 s0, s3, s0
	s_add_co_i32 s2, s1, 1
	s_wait_alu 0xfffe
	s_cmp_ge_u32 s0, s16
	s_cselect_b32 s38, s2, s1
.LBB54_13:                              ;   in Loop: Header=BB54_9 Depth=1
	v_readfirstlane_b32 s9, v0
	s_cmp_lg_u32 s20, s38
	s_mov_b32 s0, -1
                                        ; implicit-def: $sgpr21
                                        ; implicit-def: $vgpr6
                                        ; implicit-def: $vgpr7
                                        ; implicit-def: $sgpr17
                                        ; implicit-def: $sgpr27
	s_cbranch_scc1 .LBB54_16
; %bb.14:                               ;   in Loop: Header=BB54_9 Depth=1
	s_wait_alu 0xfffe
	s_and_not1_b32 vcc_lo, exec_lo, s0
	s_wait_alu 0xfffe
	s_cbranch_vccz .LBB54_19
.LBB54_15:                              ;   in Loop: Header=BB54_9 Depth=1
	s_and_not1_b32 vcc_lo, exec_lo, s21
	s_wait_alu 0xfffe
	s_cbranch_vccnz .LBB54_20
	s_branch .LBB54_23
.LBB54_16:                              ;   in Loop: Header=BB54_9 Depth=1
	s_add_co_i32 s0, s34, s16
	s_mov_b32 s1, s8
	s_wait_alu 0xfffe
	s_lshl_b32 s0, s0, 2
	v_max_num_f32_e64 v6, s26, s26
	s_wait_alu 0xfffe
	s_add_co_i32 s0, s0, s15
	s_mov_b32 s39, s8
	s_wait_alu 0xfffe
	s_lshl_b64 s[0:1], s[0:1], 3
	s_mul_u64 s[40:41], s[38:39], s[22:23]
	s_wait_alu 0xfffe
	s_add_nc_u64 s[0:1], s[10:11], s[0:1]
	s_mov_b32 s27, s20
	s_load_b64 s[36:37], s[0:1], 0x0
	v_readfirstlane_b32 s0, v6
	s_wait_kmcnt 0x0
	v_max_num_f32_e64 v7, s36, s36
	s_delay_alu instid0(VALU_DEP_1) | instskip(SKIP_2) | instid1(SALU_CYCLE_2)
	v_readfirstlane_b32 s1, v7
	s_max_num_f32 s9, s0, s1
	s_wait_alu 0xfffe
	s_sub_f32 s33, s26, s9
	s_sub_f32 s35, s36, s9
	s_wait_alu 0xfffe
	s_delay_alu instid0(SALU_CYCLE_1)
	s_cmp_nlt_f32 s33, 0xc2ce8ed0
	s_cselect_b32 s0, -1, 0
	s_cmp_ngt_f32 s33, 0x42b17218
	s_cselect_b32 s1, -1, 0
	s_cmp_ge_f32 s33, 0xc1a00000
	s_cselect_b32 s2, -1, 0
	s_cmp_nlt_f32 s35, 0xc2ce8ed0
	s_cselect_b32 s3, -1, 0
	s_cmp_ngt_f32 s35, 0x42b17218
	s_cselect_b32 s4, -1, 0
	s_cmp_ge_f32 s35, 0xc1a00000
	s_cselect_b32 s5, -1, 0
	s_add_co_i32 s17, s41, s38
	s_wait_alu 0xfffe
	s_lshr_b32 s17, s17, s13
	s_wait_alu 0xfffe
	s_mul_i32 s21, s17, s14
	s_delay_alu instid0(SALU_CYCLE_1)
	s_cmp_eq_u32 s21, s38
	s_cselect_b32 s21, -1, 0
	s_cmp_lt_u32 s17, s12
	s_cselect_b32 s17, -1, 0
	s_wait_alu 0xfffe
	s_or_b32 s17, s17, s21
	s_mov_b32 s21, -1
	s_wait_alu 0xfffe
	s_and_b32 vcc_lo, exec_lo, s17
	s_mov_b32 s17, s34
	s_wait_alu 0xfffe
	s_cbranch_vccnz .LBB54_18
; %bb.17:                               ;   in Loop: Header=BB54_9 Depth=1
	s_add_co_i32 s17, s34, -1
	s_mov_b32 s21, 0
	s_mov_b32 s27, s38
.LBB54_18:                              ;   in Loop: Header=BB54_9 Depth=1
	v_lshl_add_u32 v6, s34, 10, v0
	s_mul_f32 s36, s35, 0x3fb8aa3b
	s_mul_f32 s38, s33, 0x3fb8aa3b
	s_wait_alu 0xfffe
	s_delay_alu instid0(SALU_CYCLE_1)
	s_xor_b32 s39, s36, 0x80000000
	v_ashrrev_i32_e32 v7, 31, v6
	s_rndne_f32 s40, s36
	s_fmamk_f32 s39, s35, 0x3fb8aa3b, s39
	s_xor_b32 s41, s38, 0x80000000
	s_rndne_f32 s42, s38
	v_lshlrev_b64_e32 v[6:7], 2, v[6:7]
	s_sub_f32 s36, s36, s40
	s_fmamk_f32 s35, s35, 0x32a5705f, s39
	s_fmamk_f32 s39, s33, 0x3fb8aa3b, s41
	s_sub_f32 s38, s38, s42
	s_delay_alu instid0(VALU_DEP_1)
	v_add_co_u32 v6, vcc_lo, s24, v6
	s_wait_alu 0xfffd
	v_add_co_ci_u32_e64 v7, null, s25, v7, vcc_lo
	s_wait_alu 0xfffe
	s_add_f32 s35, s36, s35
	s_fmamk_f32 s33, s33, 0x32a5705f, s39
	s_cvt_i32_f32 s36, s40
	global_load_b32 v6, v[6:7], off
	s_wait_alu 0xfffe
	v_s_exp_f32 s35, s35
	s_add_f32 s33, s38, s33
	s_wait_alu 0xfffe
	s_delay_alu instid0(SALU_CYCLE_2) | instskip(NEXT) | instid1(TRANS32_DEP_2)
	v_s_exp_f32 s33, s33
	v_ldexp_f32 v7, s35, s36
	s_cvt_i32_f32 s35, s42
	s_wait_alu 0xf1fe
	s_delay_alu instid0(TRANS32_DEP_1) | instid1(SALU_CYCLE_2)
	v_ldexp_f32 v8, s33, s35
	s_delay_alu instid0(VALU_DEP_2) | instskip(NEXT) | instid1(VALU_DEP_2)
	v_cndmask_b32_e64 v7, 0, v7, s3
	v_cndmask_b32_e64 v8, 0, v8, s0
	s_delay_alu instid0(VALU_DEP_2) | instskip(NEXT) | instid1(VALU_DEP_2)
	v_cndmask_b32_e64 v7, 0x7f800000, v7, s4
	v_cndmask_b32_e64 v8, 0x7f800000, v8, s1
	;; [unrolled: 3-line block ×3, first 2 shown]
	s_wait_loadcnt 0x0
	s_delay_alu instid0(VALU_DEP_2) | instskip(SKIP_1) | instid1(VALU_DEP_1)
	v_mul_f32_e32 v6, v6, v7
	v_mul_f32_e32 v7, s37, v7
	v_fmac_f32_e32 v7, v5, v8
	s_delay_alu instid0(VALU_DEP_3)
	v_fmac_f32_e32 v6, v3, v8
	s_cbranch_execnz .LBB54_15
.LBB54_19:                              ;   in Loop: Header=BB54_9 Depth=1
	s_wait_loadcnt 0x0
	v_dual_mov_b32 v7, v5 :: v_dual_mov_b32 v6, v3
	s_add_co_i32 s17, s34, -1
	s_mov_b32 s27, s20
	s_mov_b32 s9, s26
	s_cbranch_execz .LBB54_23
.LBB54_20:                              ;   in Loop: Header=BB54_9 Depth=1
	v_mov_b32_e32 v5, v7
	s_wait_loadcnt 0x0
	v_mov_b32_e32 v3, v6
	s_wait_alu 0xfffe
	s_mov_b32 s20, s27
	s_mov_b32 s34, s17
	;; [unrolled: 1-line block ×3, first 2 shown]
	s_branch .LBB54_9
.LBB54_21:
                                        ; implicit-def: $sgpr20_sgpr21
	s_branch .LBB54_2
.LBB54_22:
                                        ; implicit-def: $sgpr10_sgpr11
	s_load_b96 s[12:14], s[0:1], 0x44
	s_branch .LBB54_5
.LBB54_23:
	v_div_scale_f32 v0, null, v7, v7, v6
	s_wait_loadcnt 0x0
	s_delay_alu instid0(VALU_DEP_1) | instskip(NEXT) | instid1(TRANS32_DEP_1)
	v_rcp_f32_e32 v3, v0
	v_fma_f32 v4, -v0, v3, 1.0
	s_delay_alu instid0(VALU_DEP_1) | instskip(SKIP_1) | instid1(VALU_DEP_1)
	v_fmac_f32_e32 v3, v4, v3
	v_div_scale_f32 v4, vcc_lo, v6, v7, v6
	v_mul_f32_e32 v5, v4, v3
	s_delay_alu instid0(VALU_DEP_1) | instskip(NEXT) | instid1(VALU_DEP_1)
	v_fma_f32 v8, -v0, v5, v4
	v_fmac_f32_e32 v5, v8, v3
	s_delay_alu instid0(VALU_DEP_1) | instskip(SKIP_1) | instid1(VALU_DEP_1)
	v_fma_f32 v0, -v0, v5, v4
	s_wait_alu 0xfffd
	v_div_fmas_f32 v0, v0, v3, v5
	s_delay_alu instid0(VALU_DEP_1)
	v_div_fixup_f32 v0, v0, v7, v6
	global_store_b32 v[1:2], v0, off
.LBB54_24:
	s_endpgm
	.section	.rodata,"a",@progbits
	.p2align	6, 0x0
	.amdhsa_kernel _ZL33flash_attn_stream_k_fixup_generalILi256ELi4ELi1EEvPfPK15HIP_vector_typeIfLj2EEiiiiS1_IjLj3EES5_S5_S5_
		.amdhsa_group_segment_fixed_size 0
		.amdhsa_private_segment_fixed_size 0
		.amdhsa_kernarg_size 336
		.amdhsa_user_sgpr_count 2
		.amdhsa_user_sgpr_dispatch_ptr 0
		.amdhsa_user_sgpr_queue_ptr 0
		.amdhsa_user_sgpr_kernarg_segment_ptr 1
		.amdhsa_user_sgpr_dispatch_id 0
		.amdhsa_user_sgpr_private_segment_size 0
		.amdhsa_wavefront_size32 1
		.amdhsa_uses_dynamic_stack 0
		.amdhsa_enable_private_segment 0
		.amdhsa_system_sgpr_workgroup_id_x 1
		.amdhsa_system_sgpr_workgroup_id_y 1
		.amdhsa_system_sgpr_workgroup_id_z 1
		.amdhsa_system_sgpr_workgroup_info 0
		.amdhsa_system_vgpr_workitem_id 0
		.amdhsa_next_free_vgpr 9
		.amdhsa_next_free_sgpr 44
		.amdhsa_reserve_vcc 1
		.amdhsa_float_round_mode_32 0
		.amdhsa_float_round_mode_16_64 0
		.amdhsa_float_denorm_mode_32 3
		.amdhsa_float_denorm_mode_16_64 3
		.amdhsa_fp16_overflow 0
		.amdhsa_workgroup_processor_mode 1
		.amdhsa_memory_ordered 1
		.amdhsa_forward_progress 1
		.amdhsa_inst_pref_size 28
		.amdhsa_round_robin_scheduling 0
		.amdhsa_exception_fp_ieee_invalid_op 0
		.amdhsa_exception_fp_denorm_src 0
		.amdhsa_exception_fp_ieee_div_zero 0
		.amdhsa_exception_fp_ieee_overflow 0
		.amdhsa_exception_fp_ieee_underflow 0
		.amdhsa_exception_fp_ieee_inexact 0
		.amdhsa_exception_int_div_zero 0
	.end_amdhsa_kernel
	.section	.text._ZL33flash_attn_stream_k_fixup_generalILi256ELi4ELi1EEvPfPK15HIP_vector_typeIfLj2EEiiiiS1_IjLj3EES5_S5_S5_,"axG",@progbits,_ZL33flash_attn_stream_k_fixup_generalILi256ELi4ELi1EEvPfPK15HIP_vector_typeIfLj2EEiiiiS1_IjLj3EES5_S5_S5_,comdat
.Lfunc_end54:
	.size	_ZL33flash_attn_stream_k_fixup_generalILi256ELi4ELi1EEvPfPK15HIP_vector_typeIfLj2EEiiiiS1_IjLj3EES5_S5_S5_, .Lfunc_end54-_ZL33flash_attn_stream_k_fixup_generalILi256ELi4ELi1EEvPfPK15HIP_vector_typeIfLj2EEiiiiS1_IjLj3EES5_S5_S5_
                                        ; -- End function
	.set _ZL33flash_attn_stream_k_fixup_generalILi256ELi4ELi1EEvPfPK15HIP_vector_typeIfLj2EEiiiiS1_IjLj3EES5_S5_S5_.num_vgpr, 9
	.set _ZL33flash_attn_stream_k_fixup_generalILi256ELi4ELi1EEvPfPK15HIP_vector_typeIfLj2EEiiiiS1_IjLj3EES5_S5_S5_.num_agpr, 0
	.set _ZL33flash_attn_stream_k_fixup_generalILi256ELi4ELi1EEvPfPK15HIP_vector_typeIfLj2EEiiiiS1_IjLj3EES5_S5_S5_.numbered_sgpr, 44
	.set _ZL33flash_attn_stream_k_fixup_generalILi256ELi4ELi1EEvPfPK15HIP_vector_typeIfLj2EEiiiiS1_IjLj3EES5_S5_S5_.num_named_barrier, 0
	.set _ZL33flash_attn_stream_k_fixup_generalILi256ELi4ELi1EEvPfPK15HIP_vector_typeIfLj2EEiiiiS1_IjLj3EES5_S5_S5_.private_seg_size, 0
	.set _ZL33flash_attn_stream_k_fixup_generalILi256ELi4ELi1EEvPfPK15HIP_vector_typeIfLj2EEiiiiS1_IjLj3EES5_S5_S5_.uses_vcc, 1
	.set _ZL33flash_attn_stream_k_fixup_generalILi256ELi4ELi1EEvPfPK15HIP_vector_typeIfLj2EEiiiiS1_IjLj3EES5_S5_S5_.uses_flat_scratch, 0
	.set _ZL33flash_attn_stream_k_fixup_generalILi256ELi4ELi1EEvPfPK15HIP_vector_typeIfLj2EEiiiiS1_IjLj3EES5_S5_S5_.has_dyn_sized_stack, 0
	.set _ZL33flash_attn_stream_k_fixup_generalILi256ELi4ELi1EEvPfPK15HIP_vector_typeIfLj2EEiiiiS1_IjLj3EES5_S5_S5_.has_recursion, 0
	.set _ZL33flash_attn_stream_k_fixup_generalILi256ELi4ELi1EEvPfPK15HIP_vector_typeIfLj2EEiiiiS1_IjLj3EES5_S5_S5_.has_indirect_call, 0
	.section	.AMDGPU.csdata,"",@progbits
; Kernel info:
; codeLenInByte = 3556
; TotalNumSgprs: 46
; NumVgprs: 9
; ScratchSize: 0
; MemoryBound: 0
; FloatMode: 240
; IeeeMode: 1
; LDSByteSize: 0 bytes/workgroup (compile time only)
; SGPRBlocks: 0
; VGPRBlocks: 1
; NumSGPRsForWavesPerEU: 46
; NumVGPRsForWavesPerEU: 9
; Occupancy: 16
; WaveLimiterHint : 0
; COMPUTE_PGM_RSRC2:SCRATCH_EN: 0
; COMPUTE_PGM_RSRC2:USER_SGPR: 2
; COMPUTE_PGM_RSRC2:TRAP_HANDLER: 0
; COMPUTE_PGM_RSRC2:TGID_X_EN: 1
; COMPUTE_PGM_RSRC2:TGID_Y_EN: 1
; COMPUTE_PGM_RSRC2:TGID_Z_EN: 1
; COMPUTE_PGM_RSRC2:TIDIG_COMP_CNT: 0
	.section	.text._ZL15flash_attn_tileILi256ELi256ELi2ELi1ELb0EEvPKcS1_S1_S1_S1_PKiPfP15HIP_vector_typeIfLj2EEffffjfiS5_IjLj3EEiiiiiiiiiiiliiliiiiil,"axG",@progbits,_ZL15flash_attn_tileILi256ELi256ELi2ELi1ELb0EEvPKcS1_S1_S1_S1_PKiPfP15HIP_vector_typeIfLj2EEffffjfiS5_IjLj3EEiiiiiiiiiiiliiliiiiil,comdat
	.globl	_ZL15flash_attn_tileILi256ELi256ELi2ELi1ELb0EEvPKcS1_S1_S1_S1_PKiPfP15HIP_vector_typeIfLj2EEffffjfiS5_IjLj3EEiiiiiiiiiiiliiliiiiil ; -- Begin function _ZL15flash_attn_tileILi256ELi256ELi2ELi1ELb0EEvPKcS1_S1_S1_S1_PKiPfP15HIP_vector_typeIfLj2EEffffjfiS5_IjLj3EEiiiiiiiiiiiliiliiiiil
	.p2align	8
	.type	_ZL15flash_attn_tileILi256ELi256ELi2ELi1ELb0EEvPKcS1_S1_S1_S1_PKiPfP15HIP_vector_typeIfLj2EEffffjfiS5_IjLj3EEiiiiiiiiiiiliiliiiiil,@function
_ZL15flash_attn_tileILi256ELi256ELi2ELi1ELb0EEvPKcS1_S1_S1_S1_PKiPfP15HIP_vector_typeIfLj2EEffffjfiS5_IjLj3EEiiiiiiiiiiiliiliiiiil: ; @_ZL15flash_attn_tileILi256ELi256ELi2ELi1ELb0EEvPKcS1_S1_S1_S1_PKiPfP15HIP_vector_typeIfLj2EEffffjfiS5_IjLj3EEiiiiiiiiiiiliiliiiiil
; %bb.0:
	s_clause 0x1
	s_load_b128 s[20:23], s[0:1], 0x5c
	s_load_b64 s[2:3], s[0:1], 0x80
	s_lshr_b32 s6, ttmp7, 16
	s_load_b64 s[38:39], s[0:1], 0xb8
	s_mov_b32 s37, 0
	s_mov_b64 s[34:35], 0
	s_wait_kmcnt 0x0
	s_cvt_f32_u32 s4, s23
	s_sub_co_i32 s5, 0, s23
	s_delay_alu instid0(SALU_CYCLE_2) | instskip(NEXT) | instid1(TRANS32_DEP_1)
	v_rcp_iflag_f32_e32 v1, s4
	v_readfirstlane_b32 s4, v1
	s_mul_f32 s4, s4, 0x4f7ffffe
	s_wait_alu 0xfffe
	s_delay_alu instid0(SALU_CYCLE_2) | instskip(SKIP_1) | instid1(SALU_CYCLE_2)
	s_cvt_u32_f32 s4, s4
	s_wait_alu 0xfffe
	s_mul_i32 s5, s5, s4
	s_wait_alu 0xfffe
	s_mul_hi_u32 s5, s4, s5
	s_wait_alu 0xfffe
	s_add_co_i32 s4, s4, s5
	s_wait_alu 0xfffe
	s_mul_hi_u32 s4, s6, s4
	s_wait_alu 0xfffe
	s_mul_i32 s5, s4, s23
	s_add_co_i32 s7, s4, 1
	s_wait_alu 0xfffe
	s_sub_co_i32 s5, s6, s5
	s_wait_alu 0xfffe
	s_sub_co_i32 s8, s5, s23
	s_cmp_ge_u32 s5, s23
	s_cselect_b32 s4, s7, s4
	s_cselect_b32 s5, s8, s5
	s_wait_alu 0xfffe
	s_add_co_i32 s7, s4, 1
	s_cmp_ge_u32 s5, s23
	s_cselect_b32 s28, s7, s4
	s_abs_i32 s4, s3
	s_abs_i32 s9, s23
	s_wait_alu 0xfffe
	s_cvt_f32_u32 s5, s4
	s_sub_co_i32 s7, 0, s4
	s_mul_i32 s8, s28, s23
	s_xor_b32 s3, s23, s3
	s_wait_alu 0xfffe
	v_rcp_iflag_f32_e32 v1, s5
	s_sub_co_i32 s30, s6, s8
	s_ashr_i32 s3, s3, 31
	s_delay_alu instid0(TRANS32_DEP_1) | instskip(SKIP_2) | instid1(SALU_CYCLE_2)
	v_readfirstlane_b32 s5, v1
	s_mul_f32 s5, s5, 0x4f7ffffe
	s_wait_alu 0xfffe
	s_cvt_u32_f32 s5, s5
	s_wait_alu 0xfffe
	s_delay_alu instid0(SALU_CYCLE_2) | instskip(NEXT) | instid1(SALU_CYCLE_1)
	s_mul_i32 s7, s7, s5
	s_mul_hi_u32 s7, s5, s7
	s_delay_alu instid0(SALU_CYCLE_1)
	s_add_co_i32 s5, s5, s7
	s_wait_alu 0xfffe
	s_mul_hi_u32 s5, s9, s5
	s_wait_alu 0xfffe
	s_mul_i32 s6, s5, s4
	s_add_co_i32 s7, s5, 1
	s_sub_co_i32 s6, s9, s6
	s_delay_alu instid0(SALU_CYCLE_1)
	s_sub_co_i32 s8, s6, s4
	s_cmp_ge_u32 s6, s4
	s_cselect_b32 s5, s7, s5
	s_cselect_b32 s6, s8, s6
	s_wait_alu 0xfffe
	s_add_co_i32 s7, s5, 1
	s_cmp_ge_u32 s6, s4
	s_cselect_b32 s4, s7, s5
	s_abs_i32 s36, s30
	s_wait_alu 0xfffe
	s_xor_b32 s4, s4, s3
	s_wait_alu 0xfffe
	s_sub_co_i32 s29, s4, s3
	s_delay_alu instid0(SALU_CYCLE_1) | instskip(NEXT) | instid1(SALU_CYCLE_1)
	s_abs_i32 s3, s29
	s_cvt_f32_u32 s4, s3
	s_sub_co_i32 s25, 0, s3
	s_wait_alu 0xfffe
	s_delay_alu instid0(SALU_CYCLE_1) | instskip(SKIP_1) | instid1(TRANS32_DEP_1)
	v_rcp_iflag_f32_e32 v1, s4
	s_load_b512 s[4:19], s[0:1], 0x0
	v_readfirstlane_b32 s24, v1
	s_mul_f32 s24, s24, 0x4f7ffffe
	s_delay_alu instid0(SALU_CYCLE_3) | instskip(NEXT) | instid1(SALU_CYCLE_3)
	s_cvt_u32_f32 s24, s24
	s_mul_i32 s25, s25, s24
	s_delay_alu instid0(SALU_CYCLE_1) | instskip(NEXT) | instid1(SALU_CYCLE_1)
	s_mul_hi_u32 s25, s24, s25
	s_add_co_i32 s40, s24, s25
	s_wait_kmcnt 0x0
	s_cmp_eq_u64 s[10:11], 0
	s_cbranch_scc1 .LBB55_2
; %bb.1:
	s_abs_i32 s26, s38
	s_delay_alu instid0(SALU_CYCLE_1) | instskip(NEXT) | instid1(SALU_CYCLE_3)
	s_cvt_f32_u32 s24, s26
	v_rcp_iflag_f32_e32 v1, s24
	s_delay_alu instid0(TRANS32_DEP_1) | instskip(SKIP_2) | instid1(SALU_CYCLE_2)
	v_readfirstlane_b32 s24, v1
	s_mul_f32 s24, s24, 0x4f7ffffe
	s_wait_alu 0xfffe
	s_cvt_u32_f32 s27, s24
	s_sub_co_i32 s24, 0, s26
	s_wait_alu 0xfffe
	s_delay_alu instid0(SALU_CYCLE_1) | instskip(SKIP_4) | instid1(SALU_CYCLE_1)
	s_mul_i32 s24, s24, s27
	s_wait_alu 0xfffe
	s_mul_hi_u32 s31, s27, s24
	s_load_b64 s[24:25], s[0:1], 0xc8
	s_add_co_i32 s27, s27, s31
	s_mul_hi_u32 s27, s28, s27
	s_delay_alu instid0(SALU_CYCLE_1) | instskip(NEXT) | instid1(SALU_CYCLE_1)
	s_mul_i32 s27, s27, s26
	s_sub_co_i32 s27, s28, s27
	s_delay_alu instid0(SALU_CYCLE_1) | instskip(SKIP_2) | instid1(SALU_CYCLE_1)
	s_sub_co_i32 s31, s27, s26
	s_cmp_ge_u32 s27, s26
	s_cselect_b32 s27, s31, s27
	s_sub_co_i32 s31, s27, s26
	s_cmp_ge_u32 s27, s26
	s_cselect_b32 s26, s31, s27
	s_delay_alu instid0(SALU_CYCLE_1)
	s_ashr_i32 s27, s26, 31
	s_wait_kmcnt 0x0
	s_mul_u64 s[24:25], s[24:25], s[26:27]
	s_wait_alu 0xfffe
	s_add_nc_u64 s[34:35], s[10:11], s[24:25]
.LBB55_2:
	s_clause 0x1
	s_load_b128 s[24:27], s[0:1], 0x40
	s_load_b32 s10, s[0:1], 0x50
	v_mov_b32_e32 v56, 1.0
	s_mov_b32 s41, s37
	s_wait_kmcnt 0x0
	s_cmp_le_f32 s25, 0
	s_cbranch_scc1 .LBB55_4
; %bb.3:
	v_sub_co_u32 v1, s10, s30, s10
	s_and_b32 s25, s10, exec_lo
	s_cselect_b32 s25, s26, s27
	s_add_co_i32 s26, s30, 1
	v_readfirstlane_b32 s11, v1
	s_lshl_b32 s11, s11, 1
	s_wait_alu 0xfffe
	s_or_b32 s11, s11, 1
	s_and_b32 s10, s10, exec_lo
	s_wait_alu 0xfffe
	s_cselect_b32 s10, s26, s11
	s_cmp_neq_f32 s25, 1.0
	s_wait_alu 0xfffe
	s_cvt_f32_i32 s10, s10
	s_wait_alu 0xfffe
	s_delay_alu instid0(SALU_CYCLE_2)
	s_cselect_b32 s11, s10, 1.0
	s_wait_alu 0xfffe
	s_cmp_neq_f32 s11, 0
	s_cselect_b32 s10, s25, 1.0
	s_wait_alu 0xfffe
	v_frexp_mant_f32_e64 v1, |s10|
	s_delay_alu instid0(VALU_DEP_1) | instskip(SKIP_3) | instid1(SALU_CYCLE_1)
	v_readfirstlane_b32 s25, v1
	v_cvt_f64_f32_e64 v[1:2], |s10|
	s_cmp_lt_f32 s25, 0x3f2aaaab
	s_cselect_b32 s26, -1, 0
	s_and_b32 s27, s26, exec_lo
	s_cselect_b32 s27, 2.0, 1.0
	s_delay_alu instid0(SALU_CYCLE_1) | instskip(SKIP_1) | instid1(SALU_CYCLE_2)
	s_mul_f32 s25, s25, s27
	s_wait_alu 0xfffe
	s_add_f32 s27, s25, 1.0
	s_add_f32 s33, s25, -1.0
	s_delay_alu instid0(SALU_CYCLE_2) | instskip(SKIP_1) | instid1(SALU_CYCLE_3)
	v_s_rcp_f32 s31, s27
	s_add_f32 s43, s27, -1.0
	s_sub_f32 s25, s25, s43
	s_delay_alu instid0(TRANS32_DEP_1) | instskip(NEXT) | instid1(SALU_CYCLE_3)
	s_mul_f32 s38, s33, s31
	s_mul_f32 s42, s27, s38
	s_delay_alu instid0(SALU_CYCLE_3) | instskip(NEXT) | instid1(VALU_DEP_1)
	s_xor_b32 s44, s42, 0x80000000
	v_frexp_exp_i32_f64_e32 v1, v[1:2]
	s_fmac_f32 s44, s38, s27
	s_wait_alu 0xfffe
	s_delay_alu instid0(SALU_CYCLE_2) | instskip(NEXT) | instid1(SALU_CYCLE_3)
	s_fmac_f32 s44, s38, s25
	s_add_f32 s25, s42, s44
	s_wait_alu 0xfffe
	s_delay_alu instid0(SALU_CYCLE_2) | instskip(SKIP_2) | instid1(SALU_CYCLE_1)
	s_sub_f32 s27, s33, s25
	s_sub_f32 s42, s25, s42
	s_wait_alu 0xfffe
	s_sub_f32 s33, s33, s27
	s_delay_alu instid0(SALU_CYCLE_1) | instskip(NEXT) | instid1(SALU_CYCLE_2)
	s_sub_f32 s42, s42, s44
	s_sub_f32 s25, s33, s25
	s_wait_alu 0xfffe
	s_delay_alu instid0(SALU_CYCLE_2) | instskip(SKIP_2) | instid1(SALU_CYCLE_1)
	s_add_f32 s25, s42, s25
	s_mov_b32 s42, 0x3e76c4e1
	s_wait_alu 0xfffe
	s_add_f32 s25, s27, s25
	s_wait_alu 0xfffe
	s_delay_alu instid0(SALU_CYCLE_2) | instskip(SKIP_1) | instid1(SALU_CYCLE_2)
	s_mul_f32 s25, s31, s25
	s_wait_alu 0xfffe
	s_add_f32 s27, s38, s25
	s_wait_alu 0xfffe
	s_delay_alu instid0(SALU_CYCLE_2) | instskip(SKIP_2) | instid1(SALU_CYCLE_1)
	s_sub_f32 s31, s27, s38
	s_mul_f32 s33, s27, s27
	s_wait_alu 0xfffe
	s_sub_f32 s25, s25, s31
	s_delay_alu instid0(SALU_CYCLE_1) | instskip(SKIP_4) | instid1(SALU_CYCLE_2)
	s_xor_b32 s31, s33, 0x80000000
	s_wait_alu 0xfffe
	s_fmac_f32 s31, s27, s27
	s_add_f32 s38, s25, s25
	s_wait_alu 0xfffe
	s_fmac_f32 s31, s27, s38
	s_wait_alu 0xfffe
	s_delay_alu instid0(SALU_CYCLE_2) | instskip(NEXT) | instid1(SALU_CYCLE_3)
	s_add_f32 s38, s33, s31
	s_fmaak_f32 s42, s38, s42, 0x3e91f4c4
	s_sub_f32 s33, s38, s33
	s_delay_alu instid0(SALU_CYCLE_2) | instskip(NEXT) | instid1(SALU_CYCLE_2)
	s_fmaak_f32 s42, s38, s42, 0x3ecccdef
	s_sub_f32 s31, s31, s33
	s_mul_f32 s33, s27, s38
	s_delay_alu instid0(SALU_CYCLE_1) | instskip(NEXT) | instid1(SALU_CYCLE_2)
	s_mul_f32 s43, s38, s42
	s_xor_b32 s45, s33, 0x80000000
	s_delay_alu instid0(SALU_CYCLE_2) | instskip(SKIP_2) | instid1(SALU_CYCLE_2)
	s_xor_b32 s44, s43, 0x80000000
	s_fmac_f32 s45, s38, s27
	s_fmac_f32 s44, s38, s42
	;; [unrolled: 1-line block ×3, first 2 shown]
	s_wait_alu 0xfffe
	s_delay_alu instid0(SALU_CYCLE_1) | instskip(NEXT) | instid1(SALU_CYCLE_1)
	s_fmac_f32 s44, s31, s42
	s_fmac_f32 s45, s31, s27
	s_delay_alu instid0(SALU_CYCLE_2) | instskip(NEXT) | instid1(SALU_CYCLE_3)
	s_add_f32 s42, s43, s44
	s_sub_f32 s43, s42, s43
	s_add_f32 s46, s42, 0x3f2aaaaa
	s_delay_alu instid0(SALU_CYCLE_2) | instskip(NEXT) | instid1(SALU_CYCLE_2)
	s_sub_f32 s43, s44, s43
	s_add_f32 s44, s46, 0xbf2aaaaa
	s_delay_alu instid0(SALU_CYCLE_2) | instskip(NEXT) | instid1(SALU_CYCLE_2)
	s_add_f32 s38, s43, 0x31739010
	s_sub_f32 s42, s42, s44
	s_delay_alu instid0(SALU_CYCLE_3) | instskip(SKIP_2) | instid1(SALU_CYCLE_1)
	s_add_f32 s31, s38, s42
	s_add_f32 s38, s33, s45
	s_wait_alu 0xfffe
	s_add_f32 s42, s46, s31
	s_delay_alu instid0(SALU_CYCLE_1) | instskip(NEXT) | instid1(SALU_CYCLE_2)
	s_sub_f32 s33, s38, s33
	s_mul_f32 s43, s38, s42
	s_sub_f32 s44, s46, s42
	s_delay_alu instid0(SALU_CYCLE_1) | instskip(NEXT) | instid1(SALU_CYCLE_1)
	s_sub_f32 s33, s45, s33
	s_xor_b32 s46, s43, 0x80000000
	s_delay_alu instid0(SALU_CYCLE_1)
	s_add_f32 s31, s31, s44
	s_fmac_f32 s46, s38, s42
	v_readfirstlane_b32 s44, v1
	v_ldexp_f32 v1, s27, 1
	s_cmp_lg_u32 s26, 0
	s_wait_alu 0xfffe
	s_fmac_f32 s46, s38, s31
	s_sub_co_ci_u32 s26, s44, 0
	v_readfirstlane_b32 s27, v1
	s_delay_alu instid0(SALU_CYCLE_1)
	s_fmac_f32 s46, s33, s42
	s_wait_alu 0xfffe
	s_cvt_f32_i32 s26, s26
	v_ldexp_f32 v1, s25, 1
	s_add_f32 s31, s43, s46
	s_wait_alu 0xfffe
	s_mul_f32 s25, s26, 0x3f317218
	s_delay_alu instid0(VALU_DEP_1)
	v_readfirstlane_b32 s42, v1
	s_add_f32 s33, s27, s31
	s_sub_f32 s38, s31, s43
	s_wait_alu 0xfffe
	s_xor_b32 s43, s25, 0x80000000
	s_sub_f32 s27, s33, s27
	s_sub_f32 s38, s46, s38
	s_fmamk_f32 s43, s26, 0x3f317218, s43
	s_wait_alu 0xfffe
	s_sub_f32 s27, s31, s27
	s_add_f32 s31, s42, s38
	s_fmamk_f32 s26, s26, 0xb102e308, s43
	s_wait_alu 0xfffe
	s_delay_alu instid0(SALU_CYCLE_1) | instskip(NEXT) | instid1(SALU_CYCLE_1)
	s_add_f32 s27, s31, s27
	s_add_f32 s31, s25, s26
	s_wait_alu 0xfffe
	s_delay_alu instid0(SALU_CYCLE_1) | instskip(NEXT) | instid1(SALU_CYCLE_1)
	s_add_f32 s38, s33, s27
	s_sub_f32 s25, s31, s25
	s_delay_alu instid0(SALU_CYCLE_2)
	s_add_f32 s42, s31, s38
	s_sub_f32 s33, s38, s33
	s_wait_alu 0xfffe
	s_sub_f32 s25, s26, s25
	s_sub_f32 s43, s42, s31
	;; [unrolled: 1-line block ×3, first 2 shown]
	s_delay_alu instid0(SALU_CYCLE_2)
	s_sub_f32 s44, s42, s43
	s_sub_f32 s27, s38, s43
	s_wait_alu 0xfffe
	s_add_f32 s33, s25, s26
	s_sub_f32 s31, s31, s44
	s_wait_alu 0xfffe
	s_delay_alu instid0(SALU_CYCLE_2) | instskip(SKIP_2) | instid1(SALU_CYCLE_1)
	s_add_f32 s27, s27, s31
	s_sub_f32 s31, s33, s25
	s_wait_alu 0xfffe
	s_add_f32 s27, s33, s27
	s_delay_alu instid0(SALU_CYCLE_1) | instskip(SKIP_4) | instid1(SALU_CYCLE_2)
	s_sub_f32 s33, s33, s31
	s_sub_f32 s26, s26, s31
	s_wait_alu 0xfffe
	s_add_f32 s38, s42, s27
	s_sub_f32 s25, s25, s33
	s_sub_f32 s31, s38, s42
	s_wait_alu 0xfffe
	s_delay_alu instid0(SALU_CYCLE_1) | instskip(NEXT) | instid1(SALU_CYCLE_1)
	s_add_f32 s25, s26, s25
	s_sub_f32 s26, s27, s31
	s_wait_alu 0xfffe
	s_delay_alu instid0(SALU_CYCLE_2) | instskip(SKIP_1) | instid1(SALU_CYCLE_2)
	s_add_f32 s25, s25, s26
	s_wait_alu 0xfffe
	s_add_f32 s26, s38, s25
	s_wait_alu 0xfffe
	s_delay_alu instid0(SALU_CYCLE_2) | instskip(SKIP_2) | instid1(SALU_CYCLE_1)
	s_mul_f32 s27, s11, s26
	s_sub_f32 s31, s26, s38
	s_wait_alu 0xfffe
	s_xor_b32 s33, s27, 0x80000000
	s_delay_alu instid0(SALU_CYCLE_1) | instskip(SKIP_2) | instid1(SALU_CYCLE_2)
	s_sub_f32 s25, s25, s31
	s_fmac_f32 s33, s11, s26
	s_wait_alu 0xfffe
	s_fmac_f32 s33, s11, s25
	v_cmp_class_f32_e64 s25, s27, 0x204
	s_delay_alu instid0(SALU_CYCLE_2) | instskip(SKIP_2) | instid1(SALU_CYCLE_1)
	s_add_f32 s26, s27, s33
	s_and_b32 s25, s25, exec_lo
	s_wait_alu 0xfffe
	s_sub_f32 s25, s26, s27
	s_cselect_b32 s26, s27, s26
	s_wait_alu 0xfffe
	s_and_b32 s27, s26, 0x7fffffff
	s_sub_f32 s25, s33, s25
	s_wait_alu 0xfffe
	s_cmp_neq_f32 s27, 0x7f800000
	s_delay_alu instid0(SALU_CYCLE_1)
	s_cselect_b32 s25, s25, 0
	s_cmp_eq_f32 s26, 0x42b17218
	s_cselect_b32 s27, 0x37000000, 0
	s_wait_alu 0xfffe
	s_sub_f32 s26, s26, s27
	s_add_f32 s25, s27, s25
	s_wait_alu 0xfffe
	s_delay_alu instid0(SALU_CYCLE_1) | instskip(SKIP_1) | instid1(SALU_CYCLE_2)
	s_mul_f32 s31, s26, 0x3fb8aa3b
	s_wait_alu 0xfffe
	s_xor_b32 s33, s31, 0x80000000
	s_rndne_f32 s38, s31
	s_fmamk_f32 s33, s26, 0x3fb8aa3b, s33
	s_cmp_nlt_f32 s26, 0xc2ce8ed0
	s_delay_alu instid0(SALU_CYCLE_1) | instskip(NEXT) | instid1(SALU_CYCLE_1)
	s_sub_f32 s31, s31, s38
	s_fmamk_f32 s33, s26, 0x32a5705f, s33
	s_cselect_b32 vcc_lo, -1, 0
	s_cmp_ngt_f32 s26, 0x42b17218
	s_trunc_f32 s26, s11
	s_wait_alu 0xfffe
	s_add_f32 s31, s31, s33
	s_cvt_i32_f32 s33, s38
	s_wait_alu 0xfffe
	s_delay_alu instid0(SALU_CYCLE_1) | instskip(SKIP_1) | instid1(TRANS32_DEP_1)
	v_s_exp_f32 s31, s31
	s_wait_alu 0xf1ff
	v_ldexp_f32 v1, s31, s33
	s_mul_f32 s31, s11, 0.5
	s_delay_alu instid0(VALU_DEP_1)
	v_cndmask_b32_e32 v1, 0, v1, vcc_lo
	s_cselect_b32 vcc_lo, -1, 0
	s_cmp_eq_f32 s26, s11
	s_wait_alu 0xfffe
	s_trunc_f32 s33, s31
	v_cndmask_b32_e32 v1, 0x7f800000, v1, vcc_lo
	s_cselect_b32 s38, -1, 0
	s_wait_alu 0xfffe
	s_cmp_neq_f32 s33, s31
	s_delay_alu instid0(VALU_DEP_1)
	v_fma_f32 v2, s25, v1, v1
	v_cmp_class_f32_e64 vcc_lo, v1, 0x204
	s_cselect_b32 s27, -1, 0
	s_wait_alu 0xfffe
	s_and_b32 s25, s38, s27
	s_wait_alu 0xfffd
	v_cndmask_b32_e32 v1, v2, v1, vcc_lo
	s_wait_alu 0xfffe
	s_and_b32 s27, s25, exec_lo
	s_cselect_b32 s27, s10, 1.0
	s_cmp_eq_f32 s26, s11
	v_cmp_class_f32_e64 s26, s10, 0x204
	s_wait_alu 0xfffe
	v_bfi_b32 v1, 0x7fffffff, v1, s27
	s_cselect_b32 vcc_lo, -1, 0
	s_cmp_lt_f32 s10, 0
	s_wait_alu 0xfffe
	s_delay_alu instid0(VALU_DEP_1) | instskip(SKIP_3) | instid1(VALU_DEP_1)
	v_cndmask_b32_e32 v2, 0x7fc00000, v1, vcc_lo
	s_cselect_b32 vcc_lo, -1, 0
	s_cmp_eq_f32 s10, 0
	s_wait_alu 0xfffe
	v_cndmask_b32_e32 v1, v1, v2, vcc_lo
	s_cselect_b32 s27, -1, 0
	s_wait_alu 0xfffe
	s_or_b32 vcc_lo, s27, s26
	s_cmp_lt_f32 s11, 0
	s_cselect_b32 s11, -1, 0
	s_wait_alu 0xfffe
	s_xor_b32 s11, s11, s27
	s_wait_alu 0xfffe
	s_and_b32 s11, s11, exec_lo
	s_cselect_b32 s11, 0, 0x7f800000
	s_and_b32 s25, s25, exec_lo
	s_cselect_b32 s25, s10, 0
	s_cmp_o_f32 s10, s10
	s_wait_alu 0xfffe
	v_mov_b32_e32 v2, s25
	s_delay_alu instid0(VALU_DEP_1) | instskip(NEXT) | instid1(VALU_DEP_1)
	v_bfi_b32 v2, 0x7fffffff, s11, v2
	v_cndmask_b32_e32 v1, v1, v2, vcc_lo
	s_cselect_b32 vcc_lo, -1, 0
	s_wait_alu 0xfffe
	s_delay_alu instid0(VALU_DEP_1)
	v_cndmask_b32_e32 v56, 0x7fc00000, v1, vcc_lo
.LBB55_4:
	v_bfe_u32 v74, v0, 10, 10
	s_load_b96 s[44:46], s[0:1], 0x70
	v_and_b32_e32 v80, 0x3ff, v0
	s_ashr_i32 s31, s30, 31
	v_mov_b32_e32 v96, 0
	v_lshl_add_u32 v79, ttmp9, 1, v74
	v_lshlrev_b32_e32 v55, 9, v74
	v_lshlrev_b32_e32 v90, 3, v80
	;; [unrolled: 1-line block ×3, first 2 shown]
	s_delay_alu instid0(VALU_DEP_4) | instskip(NEXT) | instid1(VALU_DEP_4)
	v_mul_hi_u32 v1, s20, v79
	v_add_nc_u32_e32 v58, 0x1200, v55
	s_delay_alu instid0(VALU_DEP_2) | instskip(SKIP_3) | instid1(VALU_DEP_1)
	v_add_nc_u32_e32 v1, v79, v1
	s_wait_kmcnt 0x0
	s_mul_i32 s10, s30, s45
	s_ashr_i32 s45, s44, 31
	v_lshrrev_b32_e32 v1, s21, v1
	s_lshr_b64 s[20:21], s[44:45], 2
	s_lshr_b32 s11, s45, 2
	s_delay_alu instid0(VALU_DEP_1) | instskip(NEXT) | instid1(VALU_DEP_1)
	v_mul_lo_u32 v1, v1, s22
	v_sub_nc_u32_e32 v57, v79, v1
	s_wait_alu 0xfffe
	s_delay_alu instid0(VALU_DEP_1)
	v_mad_co_u64_u32 v[1:2], null, s20, v57, 0
	s_mul_i32 s20, s28, s46
	s_wait_alu 0xfffe
	s_ashr_i32 s21, s20, 31
	s_wait_alu 0xfffe
	s_add_nc_u64 s[4:5], s[4:5], s[20:21]
	v_mad_co_u64_u32 v[2:3], null, s11, v57, v[2:3]
	s_ashr_i32 s11, s10, 31
	s_wait_alu 0xfffe
	s_add_nc_u64 s[4:5], s[4:5], s[10:11]
	s_ashr_i32 s10, s29, 31
	s_mov_b32 s29, 0
	s_cmp_eq_u64 s[14:15], 0
	v_lshlrev_b64_e32 v[0:1], 2, v[1:2]
	v_lshlrev_b32_e32 v2, 4, v80
	s_wait_alu 0xfffe
	s_delay_alu instid0(VALU_DEP_2) | instskip(SKIP_1) | instid1(VALU_DEP_3)
	v_add_co_u32 v0, vcc_lo, s4, v0
	s_wait_alu 0xfffd
	v_add_co_ci_u32_e64 v1, null, s5, v1, vcc_lo
	s_mul_u64 s[4:5], s[36:37], s[40:41]
	v_add_co_u32 v4, vcc_lo, v0, v2
	s_wait_alu 0xfffd
	v_add_co_ci_u32_e64 v5, null, 0, v1, vcc_lo
	s_clause 0x1
	global_load_b128 v[0:3], v[4:5], off
	global_load_b128 v[4:7], v[4:5], off offset:512
	s_wait_loadcnt 0x1
	v_fma_mixlo_f16 v0, s24, v0, 0
	v_fma_mixlo_f16 v1, s24, v1, 0
	s_wait_loadcnt 0x0
	v_fma_mixlo_f16 v4, s24, v4, 0
	v_fma_mixlo_f16 v5, s24, v5, 0
	;; [unrolled: 1-line block ×6, first 2 shown]
	v_lshlrev_b32_e32 v1, 16, v1
	v_and_b32_e32 v0, 0xffff, v0
	v_lshlrev_b32_e32 v5, 16, v5
	v_and_b32_e32 v4, 0xffff, v4
	;; [unrolled: 2-line block ×4, first 2 shown]
	v_or_b32_e32 v0, v1, v0
	v_or_b32_e32 v4, v5, v4
	v_add_nc_u32_e32 v5, v58, v90
	v_or3_b32 v1, v3, v2, 0
	v_or3_b32 v3, v7, v6, 0
	;; [unrolled: 1-line block ×4, first 2 shown]
	ds_store_2addr_b64 v5, v[0:1], v[2:3] offset1:32
	s_wait_dscnt 0x0
	s_barrier_signal -1
	s_barrier_wait -1
	global_inv scope:SCOPE_SE
	s_cbranch_scc1 .LBB55_6
; %bb.5:
	s_load_b32 s2, s[0:1], 0xd0
	s_mov_b32 s21, s29
	s_wait_kmcnt 0x0
	s_mul_i32 s2, s2, s28
	s_delay_alu instid0(SALU_CYCLE_1)
	s_add_co_i32 s20, s2, ttmp9
	s_wait_alu 0xfffe
	s_lshl_b64 s[20:21], s[20:21], 2
	s_wait_alu 0xfffe
	s_add_nc_u64 s[14:15], s[14:15], s[20:21]
	s_load_b32 s2, s[14:15], 0x0
.LBB55_6:
	s_clause 0x2
	s_load_b64 s[14:15], s[0:1], 0x8c
	s_load_b128 s[24:27], s[0:1], 0x98
	s_load_b64 s[20:21], s[0:1], 0xa8
	s_mul_i32 s4, s5, s3
	s_ashr_i32 s33, s39, 1
	s_wait_alu 0xfffe
	s_sub_co_i32 s36, s36, s4
	s_xor_b32 s11, s31, s10
	s_add_co_i32 s37, s5, 1
	s_sub_co_i32 s38, s36, s3
	v_lshrrev_b32_e32 v61, 3, v80
	v_and_b32_e32 v60, 28, v88
	v_mul_u32_u24_e32 v59, 0x90, v80
	v_lshlrev_b32_e32 v91, 2, v88
	v_mbcnt_lo_u32_b32 v89, -1, 0
	s_wait_kmcnt 0x0
	s_ashr_i32 s4, s14, 2
	s_ashr_i32 s10, s26, 2
	s_cmp_ge_u32 s36, s3
	s_mul_u64 s[24:25], s[24:25], s[28:29]
	s_mul_u64 s[20:21], s[20:21], s[28:29]
	s_cselect_b32 s5, s37, s5
	s_wait_alu 0xfffe
	s_add_nc_u64 s[6:7], s[6:7], s[24:25]
	s_add_nc_u64 s[24:25], s[8:9], s[20:21]
	s_cselect_b32 s8, s38, s36
	s_add_co_i32 s9, s5, 1
	s_cmp_ge_u32 s8, s3
	v_mul_lo_u32 v36, s10, v74
	s_cselect_b32 s3, s9, s5
	s_and_b32 s8, ttmp7, 0xffff
	s_xor_b32 s5, s3, s11
	s_sub_co_i32 s3, s2, 32
	s_wait_alu 0xfffe
	s_sub_co_i32 s5, s5, s11
	s_lshl_b32 s20, s8, 5
	s_wait_alu 0xfffe
	s_mul_i32 s14, s5, s15
	s_mul_i32 s26, s5, s27
	s_ashr_i32 s15, s14, 31
	s_wait_alu 0xfffe
	s_ashr_i32 s27, s26, 31
	s_cmp_ge_i32 s20, s3
	s_add_nc_u64 s[6:7], s[6:7], s[14:15]
	s_wait_alu 0xfffe
	s_add_nc_u64 s[14:15], s[24:25], s[26:27]
	s_cbranch_scc1 .LBB55_12
; %bb.7:
	v_lshl_add_u32 v1, v74, 2, v61
	s_ashr_i32 s5, s4, 31
	s_lshl_b32 s11, s4, 3
	s_cmp_lg_u64 s[34:35], 0
	v_dual_mov_b32 v92, 0 :: v_dual_lshlrev_b32 v3, 2, v60
	v_mul_lo_u32 v0, s4, v1
	s_cselect_b32 s9, -1, 0
	s_lshl_b32 s21, s10, 1
	s_wait_alu 0xfffe
	v_dual_mov_b32 v93, 0 :: v_dual_add_nc_u32 v6, s21, v36
	v_lshl_add_u32 v13, v74, 9, v91
	v_ashrrev_i32_e32 v37, 31, v36
	s_delay_alu instid0(VALU_DEP_4) | instskip(NEXT) | instid1(VALU_DEP_4)
	v_dual_mov_b32 v75, 0xfeffffff :: v_dual_add_nc_u32 v2, s11, v0
	v_add_nc_u32_e32 v10, s21, v6
	v_mad_u32_u24 v64, 0x90, v1, v3
	v_ashrrev_i32_e32 v1, 31, v0
	s_delay_alu instid0(VALU_DEP_4) | instskip(NEXT) | instid1(VALU_DEP_4)
	v_dual_mov_b32 v95, 0 :: v_dual_add_nc_u32 v4, s11, v2
	v_add_nc_u32_e32 v12, s21, v10
	v_ashrrev_i32_e32 v3, 31, v2
	v_add_nc_u32_e32 v69, 0x400, v13
	v_ashrrev_i32_e32 v7, 31, v6
	;; [unrolled: 2-line block ×5, first 2 shown]
	v_ashrrev_i32_e32 v13, 31, v12
	v_lshl_add_u32 v62, v74, 6, 0x1600
	v_mad_co_u64_u32 v[38:39], null, v57, s33, v[80:81]
	v_lshlrev_b64_e32 v[39:40], 2, v[0:1]
	v_lshlrev_b64_e32 v[41:42], 2, v[2:3]
	;; [unrolled: 1-line block ×8, first 2 shown]
	v_dual_mov_b32 v94, 0 :: v_dual_add_nc_u32 v63, v55, v91
	v_lshl_add_u32 v65, v80, 1, v62
	v_dual_mov_b32 v73, 0 :: v_dual_add_nc_u32 v66, 0x480, v64
	v_add_nc_u32_e32 v67, 0x900, v64
	v_add_nc_u32_e32 v68, 0xd80, v64
	v_lshlrev_b32_e32 v72, 2, v60
	v_mbcnt_lo_u32_b32 v37, -1, 0
	s_ashr_i32 s11, s10, 31
	s_add_nc_u64 s[24:25], s[0:1], 0xd0
.LBB55_8:                               ; =>This Inner Loop Header: Depth=1
	s_ashr_i32 s21, s20, 31
	s_wait_alu 0xfffe
	s_mul_u64 s[26:27], s[20:21], s[4:5]
	s_wait_alu 0xfffe
	s_lshl_b64 s[26:27], s[26:27], 2
	s_wait_alu 0xfffe
	s_add_nc_u64 s[26:27], s[6:7], s[26:27]
	s_wait_alu 0xfffe
	v_add_co_u32 v0, vcc_lo, s26, v39
	s_wait_alu 0xfffd
	v_add_co_ci_u32_e64 v1, null, s27, v40, vcc_lo
	v_add_co_u32 v2, vcc_lo, s26, v41
	s_wait_alu 0xfffd
	v_add_co_ci_u32_e64 v3, null, s27, v42, vcc_lo
	;; [unrolled: 3-line block ×8, first 2 shown]
	s_clause 0x3
	global_load_b128 v[8:11], v[0:1], off
	global_load_b128 v[12:15], v[2:3], off
	;; [unrolled: 1-line block ×4, first 2 shown]
	s_and_not1_b32 vcc_lo, exec_lo, s9
	s_wait_loadcnt 0x3
	ds_store_b128 v64, v[8:11]
	s_wait_loadcnt 0x2
	ds_store_b128 v66, v[12:15]
	;; [unrolled: 2-line block ×4, first 2 shown]
	s_wait_dscnt 0x0
	s_barrier_signal -1
	s_barrier_wait -1
	global_inv scope:SCOPE_SE
	ds_load_b128 v[9:12], v59
	ds_load_b128 v[13:16], v58
	v_mov_b32_e32 v8, 0
	s_wait_dscnt 0x0
	;;#ASMSTART
	v_dot2_f32_f16 v8, v9, v13, v8
	;;#ASMEND
	;;#ASMSTART
	v_dot2_f32_f16 v8, v10, v14, v8
	;;#ASMEND
	;;#ASMSTART
	v_dot2_f32_f16 v8, v11, v15, v8
	;;#ASMEND
	;;#ASMSTART
	v_dot2_f32_f16 v8, v12, v16, v8
	;;#ASMEND
	ds_load_b128 v[9:12], v59 offset:16
	ds_load_b128 v[13:16], v58 offset:16
	s_wait_dscnt 0x0
	;;#ASMSTART
	v_dot2_f32_f16 v8, v9, v13, v8
	;;#ASMEND
	;;#ASMSTART
	v_dot2_f32_f16 v8, v10, v14, v8
	;;#ASMEND
	;;#ASMSTART
	v_dot2_f32_f16 v8, v11, v15, v8
	;;#ASMEND
	;;#ASMSTART
	v_dot2_f32_f16 v8, v12, v16, v8
	;;#ASMEND
	ds_load_b128 v[9:12], v59 offset:32
	ds_load_b128 v[13:16], v58 offset:32
	s_wait_dscnt 0x0
	;;#ASMSTART
	v_dot2_f32_f16 v8, v9, v13, v8
	;;#ASMEND
	;;#ASMSTART
	v_dot2_f32_f16 v8, v10, v14, v8
	;;#ASMEND
	;;#ASMSTART
	v_dot2_f32_f16 v8, v11, v15, v8
	;;#ASMEND
	;;#ASMSTART
	v_dot2_f32_f16 v8, v12, v16, v8
	;;#ASMEND
	ds_load_b128 v[9:12], v59 offset:48
	ds_load_b128 v[13:16], v58 offset:48
	s_wait_dscnt 0x0
	;;#ASMSTART
	v_dot2_f32_f16 v8, v9, v13, v8
	;;#ASMEND
	;;#ASMSTART
	v_dot2_f32_f16 v8, v10, v14, v8
	;;#ASMEND
	;;#ASMSTART
	v_dot2_f32_f16 v8, v11, v15, v8
	;;#ASMEND
	;;#ASMSTART
	v_dot2_f32_f16 v8, v12, v16, v8
	;;#ASMEND
	ds_load_b128 v[9:12], v59 offset:64
	ds_load_b128 v[13:16], v58 offset:64
	s_wait_dscnt 0x0
	;;#ASMSTART
	v_dot2_f32_f16 v8, v9, v13, v8
	;;#ASMEND
	;;#ASMSTART
	v_dot2_f32_f16 v8, v10, v14, v8
	;;#ASMEND
	;;#ASMSTART
	v_dot2_f32_f16 v8, v11, v15, v8
	;;#ASMEND
	;;#ASMSTART
	v_dot2_f32_f16 v8, v12, v16, v8
	;;#ASMEND
	ds_load_b128 v[9:12], v59 offset:80
	ds_load_b128 v[13:16], v58 offset:80
	s_wait_dscnt 0x0
	;;#ASMSTART
	v_dot2_f32_f16 v8, v9, v13, v8
	;;#ASMEND
	;;#ASMSTART
	v_dot2_f32_f16 v8, v10, v14, v8
	;;#ASMEND
	;;#ASMSTART
	v_dot2_f32_f16 v8, v11, v15, v8
	;;#ASMEND
	;;#ASMSTART
	v_dot2_f32_f16 v8, v12, v16, v8
	;;#ASMEND
	ds_load_b128 v[9:12], v59 offset:96
	ds_load_b128 v[13:16], v58 offset:96
	s_wait_dscnt 0x0
	;;#ASMSTART
	v_dot2_f32_f16 v8, v9, v13, v8
	;;#ASMEND
	;;#ASMSTART
	v_dot2_f32_f16 v8, v10, v14, v8
	;;#ASMEND
	;;#ASMSTART
	v_dot2_f32_f16 v8, v11, v15, v8
	;;#ASMEND
	;;#ASMSTART
	v_dot2_f32_f16 v8, v12, v16, v8
	;;#ASMEND
	ds_load_b128 v[9:12], v59 offset:112
	ds_load_b128 v[13:16], v58 offset:112
	s_wait_dscnt 0x0
	;;#ASMSTART
	v_dot2_f32_f16 v8, v9, v13, v8
	;;#ASMEND
	;;#ASMSTART
	v_dot2_f32_f16 v8, v10, v14, v8
	;;#ASMEND
	;; [unrolled: 3-line block ×4, first 2 shown]
	s_wait_loadcnt 0x0
	s_barrier_signal -1
	s_barrier_wait -1
	global_inv scope:SCOPE_SE
	s_clause 0x3
	global_load_b128 v[9:12], v[0:1], off offset:128
	global_load_b128 v[13:16], v[2:3], off offset:128
	;; [unrolled: 1-line block ×4, first 2 shown]
	s_wait_loadcnt 0x3
	ds_store_b128 v64, v[9:12]
	s_wait_loadcnt 0x2
	ds_store_b128 v66, v[13:16]
	;; [unrolled: 2-line block ×4, first 2 shown]
	s_wait_dscnt 0x0
	s_barrier_signal -1
	s_barrier_wait -1
	global_inv scope:SCOPE_SE
	ds_load_b128 v[9:12], v59
	ds_load_b128 v[13:16], v58 offset:128
	s_wait_dscnt 0x0
	;;#ASMSTART
	v_dot2_f32_f16 v8, v9, v13, v8
	;;#ASMEND
	;;#ASMSTART
	v_dot2_f32_f16 v8, v10, v14, v8
	;;#ASMEND
	;;#ASMSTART
	v_dot2_f32_f16 v8, v11, v15, v8
	;;#ASMEND
	;;#ASMSTART
	v_dot2_f32_f16 v8, v12, v16, v8
	;;#ASMEND
	ds_load_b128 v[9:12], v59 offset:16
	ds_load_b128 v[13:16], v58 offset:144
	s_wait_dscnt 0x0
	;;#ASMSTART
	v_dot2_f32_f16 v8, v9, v13, v8
	;;#ASMEND
	;;#ASMSTART
	v_dot2_f32_f16 v8, v10, v14, v8
	;;#ASMEND
	;;#ASMSTART
	v_dot2_f32_f16 v8, v11, v15, v8
	;;#ASMEND
	;;#ASMSTART
	v_dot2_f32_f16 v8, v12, v16, v8
	;;#ASMEND
	ds_load_b128 v[9:12], v59 offset:32
	ds_load_b128 v[13:16], v58 offset:160
	s_wait_dscnt 0x0
	;;#ASMSTART
	v_dot2_f32_f16 v8, v9, v13, v8
	;;#ASMEND
	;;#ASMSTART
	v_dot2_f32_f16 v8, v10, v14, v8
	;;#ASMEND
	;;#ASMSTART
	v_dot2_f32_f16 v8, v11, v15, v8
	;;#ASMEND
	;;#ASMSTART
	v_dot2_f32_f16 v8, v12, v16, v8
	;;#ASMEND
	ds_load_b128 v[9:12], v59 offset:48
	ds_load_b128 v[13:16], v58 offset:176
	s_wait_dscnt 0x0
	;;#ASMSTART
	v_dot2_f32_f16 v8, v9, v13, v8
	;;#ASMEND
	;;#ASMSTART
	v_dot2_f32_f16 v8, v10, v14, v8
	;;#ASMEND
	;;#ASMSTART
	v_dot2_f32_f16 v8, v11, v15, v8
	;;#ASMEND
	;;#ASMSTART
	v_dot2_f32_f16 v8, v12, v16, v8
	;;#ASMEND
	ds_load_b128 v[9:12], v59 offset:64
	ds_load_b128 v[13:16], v58 offset:192
	s_wait_dscnt 0x0
	;;#ASMSTART
	v_dot2_f32_f16 v8, v9, v13, v8
	;;#ASMEND
	;;#ASMSTART
	v_dot2_f32_f16 v8, v10, v14, v8
	;;#ASMEND
	;;#ASMSTART
	v_dot2_f32_f16 v8, v11, v15, v8
	;;#ASMEND
	;;#ASMSTART
	v_dot2_f32_f16 v8, v12, v16, v8
	;;#ASMEND
	ds_load_b128 v[9:12], v59 offset:80
	ds_load_b128 v[13:16], v58 offset:208
	s_wait_dscnt 0x0
	;;#ASMSTART
	v_dot2_f32_f16 v8, v9, v13, v8
	;;#ASMEND
	;;#ASMSTART
	v_dot2_f32_f16 v8, v10, v14, v8
	;;#ASMEND
	;;#ASMSTART
	v_dot2_f32_f16 v8, v11, v15, v8
	;;#ASMEND
	;;#ASMSTART
	v_dot2_f32_f16 v8, v12, v16, v8
	;;#ASMEND
	ds_load_b128 v[9:12], v59 offset:96
	ds_load_b128 v[13:16], v58 offset:224
	s_wait_dscnt 0x0
	;;#ASMSTART
	v_dot2_f32_f16 v8, v9, v13, v8
	;;#ASMEND
	;;#ASMSTART
	v_dot2_f32_f16 v8, v10, v14, v8
	;;#ASMEND
	;;#ASMSTART
	v_dot2_f32_f16 v8, v11, v15, v8
	;;#ASMEND
	;;#ASMSTART
	v_dot2_f32_f16 v8, v12, v16, v8
	;;#ASMEND
	ds_load_b128 v[9:12], v59 offset:112
	ds_load_b128 v[13:16], v58 offset:240
	s_wait_dscnt 0x0
	;;#ASMSTART
	v_dot2_f32_f16 v8, v9, v13, v8
	;;#ASMEND
	;;#ASMSTART
	v_dot2_f32_f16 v8, v10, v14, v8
	;;#ASMEND
	;;#ASMSTART
	v_dot2_f32_f16 v8, v11, v15, v8
	;;#ASMEND
	;;#ASMSTART
	v_dot2_f32_f16 v8, v12, v16, v8
	;;#ASMEND
	s_wait_loadcnt 0x0
	s_barrier_signal -1
	s_barrier_wait -1
	global_inv scope:SCOPE_SE
	s_clause 0x3
	global_load_b128 v[9:12], v[0:1], off offset:256
	global_load_b128 v[13:16], v[2:3], off offset:256
	global_load_b128 v[17:20], v[4:5], off offset:256
	global_load_b128 v[21:24], v[6:7], off offset:256
	s_wait_loadcnt 0x3
	ds_store_b128 v64, v[9:12]
	s_wait_loadcnt 0x2
	ds_store_b128 v66, v[13:16]
	;; [unrolled: 2-line block ×4, first 2 shown]
	s_wait_dscnt 0x0
	s_barrier_signal -1
	s_barrier_wait -1
	global_inv scope:SCOPE_SE
	ds_load_b128 v[9:12], v59
	ds_load_b128 v[13:16], v58 offset:256
	s_wait_dscnt 0x0
	;;#ASMSTART
	v_dot2_f32_f16 v8, v9, v13, v8
	;;#ASMEND
	;;#ASMSTART
	v_dot2_f32_f16 v8, v10, v14, v8
	;;#ASMEND
	;;#ASMSTART
	v_dot2_f32_f16 v8, v11, v15, v8
	;;#ASMEND
	;;#ASMSTART
	v_dot2_f32_f16 v8, v12, v16, v8
	;;#ASMEND
	ds_load_b128 v[9:12], v59 offset:16
	ds_load_b128 v[13:16], v58 offset:272
	s_wait_dscnt 0x0
	;;#ASMSTART
	v_dot2_f32_f16 v8, v9, v13, v8
	;;#ASMEND
	;;#ASMSTART
	v_dot2_f32_f16 v8, v10, v14, v8
	;;#ASMEND
	;;#ASMSTART
	v_dot2_f32_f16 v8, v11, v15, v8
	;;#ASMEND
	;;#ASMSTART
	v_dot2_f32_f16 v8, v12, v16, v8
	;;#ASMEND
	ds_load_b128 v[9:12], v59 offset:32
	;; [unrolled: 15-line block ×7, first 2 shown]
	ds_load_b128 v[13:16], v58 offset:368
	s_wait_dscnt 0x0
	;;#ASMSTART
	v_dot2_f32_f16 v8, v9, v13, v8
	;;#ASMEND
	;;#ASMSTART
	v_dot2_f32_f16 v8, v10, v14, v8
	;;#ASMEND
	;; [unrolled: 3-line block ×4, first 2 shown]
	s_wait_loadcnt 0x0
	s_barrier_signal -1
	s_barrier_wait -1
	global_inv scope:SCOPE_SE
	s_clause 0x3
	global_load_b128 v[9:12], v[0:1], off offset:384
	global_load_b128 v[0:3], v[2:3], off offset:384
	;; [unrolled: 1-line block ×4, first 2 shown]
	s_wait_loadcnt 0x3
	ds_store_b128 v64, v[9:12]
	s_wait_loadcnt 0x2
	ds_store_b128 v66, v[0:3]
	;; [unrolled: 2-line block ×4, first 2 shown]
	s_wait_dscnt 0x0
	s_barrier_signal -1
	s_barrier_wait -1
	global_inv scope:SCOPE_SE
	ds_load_b128 v[0:3], v59
	ds_load_b128 v[4:7], v58 offset:384
	s_wait_dscnt 0x0
	;;#ASMSTART
	v_dot2_f32_f16 v8, v0, v4, v8
	;;#ASMEND
	;;#ASMSTART
	v_dot2_f32_f16 v8, v1, v5, v8
	;;#ASMEND
	;;#ASMSTART
	v_dot2_f32_f16 v8, v2, v6, v8
	;;#ASMEND
	;;#ASMSTART
	v_dot2_f32_f16 v8, v3, v7, v8
	;;#ASMEND
	ds_load_b128 v[0:3], v59 offset:16
	ds_load_b128 v[4:7], v58 offset:400
	s_wait_dscnt 0x0
	;;#ASMSTART
	v_dot2_f32_f16 v8, v0, v4, v8
	;;#ASMEND
	;;#ASMSTART
	v_dot2_f32_f16 v8, v1, v5, v8
	;;#ASMEND
	;;#ASMSTART
	v_dot2_f32_f16 v8, v2, v6, v8
	;;#ASMEND
	;;#ASMSTART
	v_dot2_f32_f16 v8, v3, v7, v8
	;;#ASMEND
	ds_load_b128 v[0:3], v59 offset:32
	;; [unrolled: 15-line block ×7, first 2 shown]
	ds_load_b128 v[9:12], v58 offset:496
	v_mov_b32_e32 v0, 0
	s_wait_dscnt 0x0
	;;#ASMSTART
	v_dot2_f32_f16 v8, v1, v9, v8
	;;#ASMEND
	;;#ASMSTART
	v_dot2_f32_f16 v8, v2, v10, v8
	;;#ASMEND
	;; [unrolled: 3-line block ×4, first 2 shown]
	s_wait_alu 0xfffe
	s_cbranch_vccnz .LBB55_10
; %bb.9:                                ;   in Loop: Header=BB55_8 Depth=1
	v_add_nc_u32_e32 v0, s20, v38
	s_delay_alu instid0(VALU_DEP_1) | instskip(NEXT) | instid1(VALU_DEP_1)
	v_ashrrev_i32_e32 v1, 31, v0
	v_lshlrev_b64_e32 v[0:1], 1, v[0:1]
	s_delay_alu instid0(VALU_DEP_1) | instskip(SKIP_1) | instid1(VALU_DEP_2)
	v_add_co_u32 v0, vcc_lo, s34, v0
	s_wait_alu 0xfffd
	v_add_co_ci_u32_e64 v1, null, s35, v1, vcc_lo
	global_load_u16 v0, v[0:1], off
	s_wait_loadcnt 0x0
	v_cvt_f32_f16_e32 v0, v0
	s_delay_alu instid0(VALU_DEP_1)
	v_mul_f32_e32 v0, v56, v0
.LBB55_10:                              ;   in Loop: Header=BB55_8 Depth=1
	s_mul_u64 s[26:27], s[20:21], s[10:11]
	s_wait_loadcnt 0x0
	s_wait_alu 0xfffe
	s_lshl_b64 s[26:27], s[26:27], 2
	s_barrier_signal -1
	s_wait_alu 0xfffe
	s_add_nc_u64 s[26:27], s[14:15], s[26:27]
	s_barrier_wait -1
	s_wait_alu 0xfffe
	v_add_co_u32 v1, vcc_lo, s26, v47
	s_wait_alu 0xfffd
	v_add_co_ci_u32_e64 v2, null, s27, v48, vcc_lo
	v_add_co_u32 v3, vcc_lo, s26, v49
	s_wait_alu 0xfffd
	v_add_co_ci_u32_e64 v4, null, s27, v50, vcc_lo
	;; [unrolled: 3-line block ×8, first 2 shown]
	global_inv scope:SCOPE_SE
	s_clause 0x3
	global_load_b128 v[1:4], v[1:2], off
	global_load_b128 v[9:12], v[5:6], off
	;; [unrolled: 1-line block ×4, first 2 shown]
	v_xor_b32_e32 v5, 16, v37
	s_or_b32 s26, s20, 8
	v_add_nc_u32_e32 v76, 0x800, v90
	s_wait_alu 0xfffe
	s_ashr_i32 s27, s26, 31
	v_cmp_gt_i32_e32 vcc_lo, 32, v5
	v_add_f32_e32 v0, v8, v0
	s_wait_alu 0xfffe
	s_mul_u64 s[26:27], s[26:27], s[10:11]
	s_wait_alu 0xfffe
	s_lshl_b64 s[26:27], s[26:27], 2
	s_wait_alu 0xfffd
	v_dual_cndmask_b32 v5, v37, v5 :: v_dual_max_num_f32 v6, v75, v75
	v_add_f32_e32 v7, 0x40051340, v0
	s_wait_alu 0xfffe
	s_add_nc_u64 s[26:27], s[14:15], s[26:27]
	s_delay_alu instid0(VALU_DEP_1)
	v_dual_max_num_f32 v6, v6, v7 :: v_dual_lshlrev_b32 v5, 2, v5
	v_xor_b32_e32 v7, 8, v37
	ds_bpermute_b32 v5, v5, v6
	v_cmp_gt_i32_e32 vcc_lo, 32, v7
	s_wait_alu 0xfffd
	v_cndmask_b32_e32 v7, v37, v7, vcc_lo
	s_delay_alu instid0(VALU_DEP_1) | instskip(SKIP_2) | instid1(VALU_DEP_1)
	v_lshlrev_b32_e32 v7, 2, v7
	s_wait_dscnt 0x0
	v_max_num_f32_e32 v5, v5, v5
	v_max_num_f32_e32 v5, v6, v5
	ds_bpermute_b32 v6, v7, v5
	v_xor_b32_e32 v7, 4, v37
	s_delay_alu instid0(VALU_DEP_1) | instskip(SKIP_3) | instid1(VALU_DEP_1)
	v_cmp_gt_i32_e32 vcc_lo, 32, v7
	s_wait_alu 0xfffd
	v_cndmask_b32_e32 v7, v37, v7, vcc_lo
	s_wait_dscnt 0x0
	v_dual_max_num_f32 v6, v6, v6 :: v_dual_lshlrev_b32 v7, 2, v7
	s_delay_alu instid0(VALU_DEP_1) | instskip(SKIP_2) | instid1(VALU_DEP_1)
	v_max_num_f32_e32 v5, v5, v6
	ds_bpermute_b32 v6, v7, v5
	v_xor_b32_e32 v7, 2, v37
	v_cmp_gt_i32_e32 vcc_lo, 32, v7
	s_wait_alu 0xfffd
	v_cndmask_b32_e32 v7, v37, v7, vcc_lo
	s_wait_dscnt 0x0
	s_delay_alu instid0(VALU_DEP_1) | instskip(NEXT) | instid1(VALU_DEP_1)
	v_dual_max_num_f32 v6, v6, v6 :: v_dual_lshlrev_b32 v7, 2, v7
	v_max_num_f32_e32 v5, v5, v6
	ds_bpermute_b32 v6, v7, v5
	v_xor_b32_e32 v7, 1, v37
	s_delay_alu instid0(VALU_DEP_1)
	v_cmp_gt_i32_e32 vcc_lo, 32, v7
	s_wait_alu 0xfffd
	v_cndmask_b32_e32 v7, v37, v7, vcc_lo
	s_wait_alu 0xfffe
	v_add_co_u32 v8, vcc_lo, s26, v47
	s_wait_alu 0xfffd
	v_add_co_ci_u32_e64 v21, null, s27, v48, vcc_lo
	s_wait_dscnt 0x0
	v_dual_max_num_f32 v6, v6, v6 :: v_dual_lshlrev_b32 v7, 2, v7
	s_delay_alu instid0(VALU_DEP_1) | instskip(SKIP_3) | instid1(VALU_DEP_1)
	v_max_num_f32_e32 v5, v5, v6
	ds_bpermute_b32 v6, v7, v5
	s_wait_dscnt 0x0
	v_max_num_f32_e32 v6, v6, v6
	v_max_num_f32_e32 v81, v5, v6
	s_delay_alu instid0(VALU_DEP_1) | instskip(SKIP_1) | instid1(VALU_DEP_2)
	v_sub_f32_e32 v0, v0, v81
	v_sub_f32_e32 v75, v75, v81
	v_mul_f32_e32 v5, 0x3fb8aa3b, v0
	s_delay_alu instid0(VALU_DEP_1) | instskip(SKIP_1) | instid1(VALU_DEP_1)
	v_fma_f32 v6, 0x3fb8aa3b, v0, -v5
	v_rndne_f32_e32 v7, v5
	v_dual_fmac_f32 v6, 0x32a5705f, v0 :: v_dual_sub_f32 v5, v5, v7
	v_cvt_i32_f32_e32 v7, v7
	s_delay_alu instid0(VALU_DEP_2) | instskip(SKIP_3) | instid1(VALU_DEP_3)
	v_add_f32_e32 v5, v5, v6
	v_add_co_u32 v6, vcc_lo, s26, v49
	s_wait_alu 0xfffd
	v_add_co_ci_u32_e64 v22, null, s27, v50, vcc_lo
	v_exp_f32_e32 v5, v5
	v_add_co_u32 v23, vcc_lo, s26, v51
	s_wait_alu 0xfffd
	v_add_co_ci_u32_e64 v24, null, s27, v52, vcc_lo
	v_add_co_u32 v25, vcc_lo, s26, v53
	s_wait_alu 0xfffd
	v_add_co_ci_u32_e64 v26, null, s27, v54, vcc_lo
	v_add_co_u32 v77, vcc_lo, v8, v91
	s_delay_alu instid0(TRANS32_DEP_1)
	v_ldexp_f32 v5, v5, v7
	s_wait_alu 0xfffd
	v_add_co_ci_u32_e64 v78, null, 0, v21, vcc_lo
	v_cmp_ngt_f32_e32 vcc_lo, 0xc2ce8ed0, v0
	s_or_b32 s26, s20, 16
	s_wait_alu 0xfffe
	s_ashr_i32 s27, s26, 31
	s_wait_alu 0xfffd
	v_cndmask_b32_e32 v5, 0, v5, vcc_lo
	v_add_co_u32 v86, vcc_lo, v6, v91
	s_wait_alu 0xfffd
	v_add_co_ci_u32_e64 v87, null, 0, v22, vcc_lo
	v_cmp_nlt_f32_e32 vcc_lo, 0x42b17218, v0
	s_wait_alu 0xfffe
	s_mul_u64 s[26:27], s[26:27], s[10:11]
	s_wait_alu 0xfffe
	s_lshl_b64 s[26:27], s[26:27], 2
	s_wait_alu 0xfffd
	v_cndmask_b32_e32 v96, 0x7f800000, v5, vcc_lo
	v_add_co_u32 v101, vcc_lo, v23, v91
	s_wait_alu 0xfffd
	v_add_co_ci_u32_e64 v102, null, 0, v24, vcc_lo
	s_delay_alu instid0(VALU_DEP_3)
	v_cvt_f16_f32_e32 v0, v96
	v_add_co_u32 v105, vcc_lo, v25, v91
	s_wait_alu 0xfffd
	v_add_co_ci_u32_e64 v106, null, 0, v26, vcc_lo
	s_wait_alu 0xfffe
	s_add_nc_u64 s[26:27], s[14:15], s[26:27]
	ds_store_b16 v65, v0
	s_wait_loadcnt 0x3
	ds_store_b128 v63, v[1:4]
	s_wait_loadcnt 0x2
	ds_store_b128 v69, v[9:12]
	;; [unrolled: 2-line block ×4, first 2 shown]
	s_wait_dscnt 0x0
	s_barrier_signal -1
	s_barrier_wait -1
	global_inv scope:SCOPE_SE
	ds_load_2addr_b64 v[28:31], v90 offset1:32
	ds_load_b128 v[32:35], v62
	ds_load_2addr_b64 v[24:27], v90 offset0:64 offset1:96
	ds_load_2addr_b64 v[20:23], v90 offset0:128 offset1:160
	;; [unrolled: 1-line block ×3, first 2 shown]
	ds_load_2addr_b64 v[12:15], v76 offset1:32
	ds_load_2addr_b64 v[8:11], v76 offset0:64 offset1:96
	ds_load_2addr_b64 v[4:7], v76 offset0:128 offset1:160
	;; [unrolled: 1-line block ×3, first 2 shown]
	s_wait_loadcnt_dscnt 0x0
	s_barrier_signal -1
	s_barrier_wait -1
	global_inv scope:SCOPE_SE
	s_clause 0x3
	global_load_b128 v[82:85], v[77:78], off
	global_load_b128 v[97:100], v[86:87], off
	global_load_b128 v[101:104], v[101:102], off
	global_load_b128 v[105:108], v[105:106], off
	s_wait_alu 0xfffe
	v_add_co_u32 v77, vcc_lo, s26, v47
	s_wait_alu 0xfffd
	v_add_co_ci_u32_e64 v78, null, s27, v48, vcc_lo
	v_add_co_u32 v86, vcc_lo, s26, v49
	s_wait_alu 0xfffd
	v_add_co_ci_u32_e64 v87, null, s27, v50, vcc_lo
	;; [unrolled: 3-line block ×8, first 2 shown]
	s_or_b32 s26, s20, 24
	v_lshrrev_b32_e32 v181, 16, v35
	s_wait_alu 0xfffe
	s_ashr_i32 s27, s26, 31
	v_and_b32_e32 v35, 0xffff, v35
	s_wait_alu 0xfffe
	s_mul_u64 s[26:27], s[26:27], s[10:11]
	s_wait_loadcnt 0x3
	ds_store_b128 v63, v[82:85]
	s_wait_loadcnt 0x2
	ds_store_b128 v69, v[97:100]
	;; [unrolled: 2-line block ×4, first 2 shown]
	s_wait_dscnt 0x0
	s_barrier_signal -1
	s_barrier_wait -1
	global_inv scope:SCOPE_SE
	ds_load_2addr_b64 v[82:85], v90 offset1:32
	ds_load_b128 v[97:100], v62 offset:16
	ds_load_2addr_b64 v[101:104], v90 offset0:64 offset1:96
	ds_load_2addr_b64 v[105:108], v90 offset0:128 offset1:160
	;; [unrolled: 1-line block ×3, first 2 shown]
	ds_load_2addr_b64 v[113:116], v76 offset1:32
	ds_load_2addr_b64 v[117:120], v76 offset0:64 offset1:96
	ds_load_2addr_b64 v[121:124], v76 offset0:128 offset1:160
	;; [unrolled: 1-line block ×3, first 2 shown]
	s_wait_loadcnt_dscnt 0x0
	s_barrier_signal -1
	s_barrier_wait -1
	global_inv scope:SCOPE_SE
	s_clause 0x3
	global_load_b128 v[129:132], v[77:78], off
	global_load_b128 v[133:136], v[86:87], off
	;; [unrolled: 1-line block ×4, first 2 shown]
	s_wait_alu 0xfffe
	s_lshl_b64 s[26:27], s[26:27], 2
	s_wait_loadcnt 0x3
	ds_store_b128 v63, v[129:132]
	s_wait_loadcnt 0x2
	ds_store_b128 v69, v[133:136]
	;; [unrolled: 2-line block ×4, first 2 shown]
	s_wait_alu 0xfffe
	s_add_nc_u64 s[26:27], s[14:15], s[26:27]
	s_wait_dscnt 0x0
	s_wait_alu 0xfffe
	v_add_co_u32 v77, vcc_lo, s26, v47
	s_wait_alu 0xfffd
	v_add_co_ci_u32_e64 v78, null, s27, v48, vcc_lo
	v_add_co_u32 v86, vcc_lo, s26, v49
	s_wait_alu 0xfffd
	v_add_co_ci_u32_e64 v87, null, s27, v50, vcc_lo
	;; [unrolled: 3-line block ×8, first 2 shown]
	s_barrier_signal -1
	s_barrier_wait -1
	global_inv scope:SCOPE_SE
	ds_load_2addr_b64 v[129:132], v90 offset1:32
	ds_load_b128 v[133:136], v62 offset:32
	ds_load_2addr_b64 v[137:140], v90 offset0:64 offset1:96
	ds_load_2addr_b64 v[141:144], v90 offset0:128 offset1:160
	;; [unrolled: 1-line block ×3, first 2 shown]
	ds_load_2addr_b64 v[149:152], v76 offset1:32
	ds_load_2addr_b64 v[153:156], v76 offset0:64 offset1:96
	ds_load_2addr_b64 v[157:160], v76 offset0:128 offset1:160
	;; [unrolled: 1-line block ×3, first 2 shown]
	s_wait_loadcnt_dscnt 0x0
	s_barrier_signal -1
	s_barrier_wait -1
	global_inv scope:SCOPE_SE
	s_clause 0x3
	global_load_b128 v[165:168], v[77:78], off
	global_load_b128 v[169:172], v[86:87], off
	;; [unrolled: 1-line block ×4, first 2 shown]
	v_mul_f32_e32 v77, 0x3fb8aa3b, v75
	v_cmp_ngt_f32_e32 vcc_lo, 0xc2ce8ed0, v75
	s_wait_loadcnt 0x3
	ds_store_b128 v63, v[165:168]
	s_wait_loadcnt 0x2
	ds_store_b128 v69, v[169:172]
	;; [unrolled: 2-line block ×4, first 2 shown]
	v_fma_f32 v78, 0x3fb8aa3b, v75, -v77
	v_rndne_f32_e32 v86, v77
	s_wait_dscnt 0x0
	s_barrier_signal -1
	s_barrier_wait -1
	s_delay_alu instid0(VALU_DEP_1)
	v_dual_fmac_f32 v78, 0x32a5705f, v75 :: v_dual_sub_f32 v77, v77, v86
	global_inv scope:SCOPE_SE
	v_add_f32_e32 v77, v77, v78
	v_cvt_i32_f32_e32 v78, v86
	v_and_b32_e32 v86, 0xffff, v32
	v_lshrrev_b32_e32 v32, 16, v32
	s_delay_alu instid0(VALU_DEP_4) | instskip(NEXT) | instid1(VALU_DEP_2)
	v_exp_f32_e32 v77, v77
	v_mul_u32_u24_e32 v86, 0x10001, v86
	s_delay_alu instid0(VALU_DEP_2) | instskip(NEXT) | instid1(VALU_DEP_2)
	v_mul_u32_u24_e32 v32, 0x10001, v32
	v_pk_mul_f16 v28, v28, v86
	v_pk_mul_f16 v29, v29, v86
	s_delay_alu instid0(TRANS32_DEP_1) | instskip(SKIP_1) | instid1(VALU_DEP_1)
	v_ldexp_f32 v77, v77, v78
	s_wait_alu 0xfffd
	v_cndmask_b32_e32 v77, 0, v77, vcc_lo
	v_cmp_nlt_f32_e32 vcc_lo, 0x42b17218, v75
	s_wait_alu 0xfffd
	s_delay_alu instid0(VALU_DEP_2) | instskip(NEXT) | instid1(VALU_DEP_1)
	v_cndmask_b32_e32 v75, 0x7f800000, v77, vcc_lo
	v_cvt_f16_f32_e32 v77, v75
	s_delay_alu instid0(VALU_DEP_1) | instskip(NEXT) | instid1(VALU_DEP_1)
	v_dual_fmac_f32 v96, v73, v75 :: v_dual_and_b32 v77, 0xffff, v77
	v_mul_u32_u24_e32 v77, 0x10001, v77
	s_delay_alu instid0(VALU_DEP_1)
	v_pk_mul_f16 v78, v95, v77
	v_pk_mul_f16 v87, v92, v77
	v_and_b32_e32 v92, 0xffff, v33
	v_pk_fma_f16 v28, v93, v77, v28
	v_lshrrev_b32_e32 v33, 16, v33
	v_pk_fma_f16 v30, v30, v86, v78
	v_pk_fma_f16 v31, v31, v86, v87
	;; [unrolled: 1-line block ×3, first 2 shown]
	v_mul_u32_u24_e32 v77, 0x10001, v92
	v_pk_fma_f16 v24, v24, v32, v28
	v_and_b32_e32 v95, 0xffff, v34
	v_pk_fma_f16 v26, v26, v32, v30
	v_pk_fma_f16 v27, v27, v32, v31
	;; [unrolled: 1-line block ×3, first 2 shown]
	v_mul_u32_u24_e32 v28, 0x10001, v33
	v_pk_fma_f16 v20, v20, v77, v24
	v_lshrrev_b32_e32 v34, 16, v34
	v_pk_fma_f16 v22, v22, v77, v26
	v_pk_fma_f16 v23, v23, v77, v27
	v_pk_fma_f16 v21, v21, v77, v25
	v_mul_u32_u24_e32 v24, 0x10001, v95
	v_pk_fma_f16 v16, v16, v28, v20
	v_pk_fma_f16 v18, v18, v28, v22
	v_pk_fma_f16 v19, v19, v28, v23
	v_pk_fma_f16 v17, v17, v28, v21
	v_mul_u32_u24_e32 v20, 0x10001, v34
	v_pk_fma_f16 v12, v12, v24, v16
	;; [unrolled: 5-line block ×4, first 2 shown]
	v_pk_fma_f16 v6, v6, v16, v10
	v_pk_fma_f16 v7, v7, v16, v11
	;; [unrolled: 1-line block ×3, first 2 shown]
	v_and_b32_e32 v9, 0xffff, v98
	v_pk_fma_f16 v0, v0, v12, v4
	v_and_b32_e32 v4, 0xffff, v97
	v_pk_fma_f16 v2, v2, v12, v6
	v_pk_fma_f16 v3, v3, v12, v7
	;; [unrolled: 1-line block ×3, first 2 shown]
	v_lshrrev_b32_e32 v5, 16, v97
	v_mul_u32_u24_e32 v4, 0x10001, v4
	v_lshrrev_b32_e32 v6, 16, v98
	v_and_b32_e32 v10, 0xffff, v99
	v_lshrrev_b32_e32 v7, 16, v99
	v_mul_u32_u24_e32 v5, 0x10001, v5
	v_pk_fma_f16 v0, v82, v4, v0
	v_pk_fma_f16 v1, v83, v4, v1
	v_pk_fma_f16 v2, v84, v4, v2
	v_pk_fma_f16 v3, v85, v4, v3
	v_mul_u32_u24_e32 v4, 0x10001, v9
	v_pk_fma_f16 v0, v101, v5, v0
	v_pk_fma_f16 v1, v102, v5, v1
	v_pk_fma_f16 v2, v103, v5, v2
	v_pk_fma_f16 v3, v104, v5, v3
	;; [unrolled: 5-line block ×4, first 2 shown]
	v_and_b32_e32 v11, 0xffff, v100
	v_mul_u32_u24_e32 v5, 0x10001, v7
	v_pk_fma_f16 v0, v113, v4, v0
	v_pk_fma_f16 v1, v114, v4, v1
	v_pk_fma_f16 v2, v115, v4, v2
	v_pk_fma_f16 v3, v116, v4, v3
	v_lshrrev_b32_e32 v8, 16, v100
	v_mul_u32_u24_e32 v4, 0x10001, v11
	v_pk_fma_f16 v0, v117, v5, v0
	v_pk_fma_f16 v1, v118, v5, v1
	;; [unrolled: 1-line block ×4, first 2 shown]
	v_mul_u32_u24_e32 v5, 0x10001, v8
	v_pk_fma_f16 v0, v121, v4, v0
	v_pk_fma_f16 v1, v122, v4, v1
	;; [unrolled: 1-line block ×4, first 2 shown]
	v_and_b32_e32 v4, 0xffff, v133
	v_pk_fma_f16 v0, v125, v5, v0
	v_pk_fma_f16 v1, v126, v5, v1
	;; [unrolled: 1-line block ×4, first 2 shown]
	v_lshrrev_b32_e32 v5, 16, v133
	v_mul_u32_u24_e32 v4, 0x10001, v4
	v_and_b32_e32 v9, 0xffff, v134
	v_lshrrev_b32_e32 v6, 16, v134
	v_and_b32_e32 v10, 0xffff, v135
	v_mul_u32_u24_e32 v5, 0x10001, v5
	v_pk_fma_f16 v0, v129, v4, v0
	v_pk_fma_f16 v1, v130, v4, v1
	;; [unrolled: 1-line block ×3, first 2 shown]
	v_mul_u32_u24_e32 v9, 0x10001, v9
	v_pk_fma_f16 v3, v132, v4, v3
	v_pk_fma_f16 v0, v137, v5, v0
	;; [unrolled: 1-line block ×4, first 2 shown]
	v_mul_u32_u24_e32 v4, 0x10001, v6
	v_pk_fma_f16 v3, v140, v5, v3
	v_pk_fma_f16 v0, v141, v9, v0
	;; [unrolled: 1-line block ×4, first 2 shown]
	v_lshrrev_b32_e32 v7, 16, v135
	v_mul_u32_u24_e32 v5, 0x10001, v10
	v_pk_fma_f16 v3, v144, v9, v3
	v_pk_fma_f16 v0, v145, v4, v0
	;; [unrolled: 1-line block ×4, first 2 shown]
	v_and_b32_e32 v11, 0xffff, v136
	v_mul_u32_u24_e32 v6, 0x10001, v7
	v_pk_fma_f16 v3, v148, v4, v3
	v_pk_fma_f16 v0, v149, v5, v0
	;; [unrolled: 1-line block ×4, first 2 shown]
	v_lshrrev_b32_e32 v8, 16, v136
	v_mul_u32_u24_e32 v4, 0x10001, v11
	v_pk_fma_f16 v3, v152, v5, v3
	v_pk_fma_f16 v0, v153, v6, v0
	;; [unrolled: 1-line block ×4, first 2 shown]
	v_mul_u32_u24_e32 v5, 0x10001, v8
	v_pk_fma_f16 v6, v156, v6, v3
	v_pk_fma_f16 v7, v157, v4, v0
	;; [unrolled: 1-line block ×4, first 2 shown]
	ds_load_b128 v[0:3], v62 offset:48
	v_pk_fma_f16 v4, v160, v4, v6
	v_pk_fma_f16 v73, v161, v5, v7
	v_pk_fma_f16 v75, v162, v5, v8
	v_pk_fma_f16 v77, v163, v5, v9
	s_delay_alu instid0(VALU_DEP_4)
	v_pk_fma_f16 v78, v164, v5, v4
	ds_load_2addr_b64 v[4:7], v90 offset1:32
	ds_load_2addr_b64 v[8:11], v90 offset0:64 offset1:96
	ds_load_2addr_b64 v[12:15], v90 offset0:128 offset1:160
	;; [unrolled: 1-line block ×3, first 2 shown]
	ds_load_2addr_b64 v[20:23], v76 offset1:32
	ds_load_2addr_b64 v[24:27], v76 offset0:64 offset1:96
	ds_load_2addr_b64 v[28:31], v76 offset0:128 offset1:160
	;; [unrolled: 1-line block ×3, first 2 shown]
	s_wait_loadcnt_dscnt 0x0
	s_barrier_signal -1
	s_barrier_wait -1
	global_inv scope:SCOPE_SE
	s_load_b32 s21, s[24:25], 0x4
	v_and_b32_e32 v76, 0xffff, v0
	v_lshrrev_b32_e32 v0, 16, v0
	v_lshrrev_b32_e32 v82, 16, v1
	v_and_b32_e32 v1, 0xffff, v1
	v_lshrrev_b32_e32 v83, 16, v2
	v_mul_u32_u24_e32 v76, 0x10001, v76
	v_mul_u32_u24_e32 v0, 0x10001, v0
	v_and_b32_e32 v2, 0xffff, v2
	v_mul_u32_u24_e32 v1, 0x10001, v1
	v_lshrrev_b32_e32 v84, 16, v3
	v_pk_fma_f16 v4, v4, v76, v73
	v_pk_fma_f16 v5, v5, v76, v75
	;; [unrolled: 1-line block ×4, first 2 shown]
	v_and_b32_e32 v3, 0xffff, v3
	v_pk_fma_f16 v4, v8, v0, v4
	v_pk_fma_f16 v5, v9, v0, v5
	v_pk_fma_f16 v6, v10, v0, v6
	v_pk_fma_f16 v0, v11, v0, v7
	v_mul_u32_u24_e32 v7, 0x10001, v82
	v_pk_fma_f16 v4, v12, v1, v4
	v_pk_fma_f16 v5, v13, v1, v5
	v_pk_fma_f16 v6, v14, v1, v6
	v_pk_fma_f16 v0, v15, v1, v0
	v_mul_u32_u24_e32 v1, 0x10001, v2
	;; [unrolled: 5-line block ×5, first 2 shown]
	v_pk_fma_f16 v2, v28, v1, v2
	v_pk_fma_f16 v3, v29, v1, v3
	;; [unrolled: 1-line block ×4, first 2 shown]
	s_wait_kmcnt 0x0
	s_lshl_b32 s21, s21, 5
	v_pk_fma_f16 v93, v32, v5, v2
	v_pk_fma_f16 v94, v33, v5, v3
	;; [unrolled: 1-line block ×4, first 2 shown]
	s_wait_alu 0xfffe
	s_add_co_i32 s20, s21, s20
	s_wait_alu 0xfffe
	s_cmp_lt_i32 s20, s3
	s_cbranch_scc0 .LBB55_13
; %bb.11:                               ;   in Loop: Header=BB55_8 Depth=1
	v_mov_b32_e32 v75, v81
	v_mov_b32_e32 v73, v96
	s_branch .LBB55_8
.LBB55_12:
	v_dual_mov_b32 v93, 0 :: v_dual_mov_b32 v94, 0
	v_dual_mov_b32 v81, 0xfeffffff :: v_dual_mov_b32 v92, 0
	v_mov_b32_e32 v95, 0
.LBB55_13:
	s_cmp_gt_i32 s2, s20
	s_cbranch_scc1 .LBB55_16
; %bb.14:
	v_mbcnt_lo_u32_b32 v1, -1, 0
	v_mov_b32_e32 v0, 32
	s_delay_alu instid0(VALU_DEP_2)
	v_xor_b32_e32 v99, 16, v1
	v_xor_b32_e32 v97, 8, v1
	;; [unrolled: 1-line block ×5, first 2 shown]
	s_cbranch_execz .LBB55_17
; %bb.15:
	v_mov_b32_e32 v89, v1
	s_branch .LBB55_22
.LBB55_16:
                                        ; implicit-def: $vgpr1
                                        ; implicit-def: $vgpr0
                                        ; implicit-def: $vgpr99
                                        ; implicit-def: $vgpr97
                                        ; implicit-def: $vgpr98
                                        ; implicit-def: $vgpr100
                                        ; implicit-def: $vgpr101
.LBB55_17:
	v_lshl_add_u32 v20, v74, 2, v61
	s_ashr_i32 s21, s20, 31
	s_ashr_i32 s5, s4, 31
	s_sub_co_i32 s9, s2, s20
	s_wait_alu 0xfffe
	s_mul_u64 s[26:27], s[20:21], s[4:5]
	v_mul_lo_u32 v3, s4, v20
	s_wait_alu 0xfffe
	s_lshl_b64 s[2:3], s[26:27], 2
	v_lshlrev_b32_e32 v21, 2, v60
	s_add_nc_u64 s[6:7], s[6:7], s[2:3]
	s_mov_b32 s36, 0
	s_mov_b64 s[24:25], src_private_base
	s_mov_b32 s37, s36
	s_mov_b32 s38, s36
	v_ashrrev_i32_e32 v4, 31, v3
	s_lshl_b32 s4, s4, 3
	v_add_nc_u32_e32 v14, 8, v20
	s_wait_alu 0xfffe
	v_add_nc_u32_e32 v16, s4, v3
	v_lshlrev_b64_e32 v[0:1], 2, v[3:4]
	v_mov_b32_e32 v4, 0
	s_delay_alu instid0(VALU_DEP_3) | instskip(SKIP_1) | instid1(VALU_DEP_4)
	v_ashrrev_i32_e32 v17, 31, v16
	v_add_nc_u32_e32 v18, s4, v16
	v_add_co_u32 v0, vcc_lo, s6, v0
	s_wait_alu 0xfffd
	v_add_co_ci_u32_e64 v1, null, s7, v1, vcc_lo
	s_delay_alu instid0(VALU_DEP_3) | instskip(NEXT) | instid1(VALU_DEP_3)
	v_ashrrev_i32_e32 v19, 31, v18
	v_add_co_u32 v6, vcc_lo, v0, v21
	s_wait_alu 0xfffd
	s_delay_alu instid0(VALU_DEP_3)
	v_add_co_ci_u32_e64 v7, null, 0, v1, vcc_lo
	v_cmp_gt_i32_e32 vcc_lo, s9, v20
	v_dual_mov_b32 v0, s36 :: v_dual_mov_b32 v1, s37
	v_mov_b32_e32 v2, s38
	s_clause 0x1
	scratch_store_b32 off, v4, off
	scratch_store_b96 off, v[0:2], off offset:4
	s_wait_alu 0xfffd
	v_cndmask_b32_e32 v9, s25, v7, vcc_lo
	v_cndmask_b32_e32 v8, 0, v6, vcc_lo
	v_add_co_u32 v22, s5, 0x80, v6
	s_wait_alu 0xf1ff
	v_add_co_ci_u32_e64 v23, null, 0, v7, s5
	flat_load_b128 v[10:13], v[8:9]
	v_lshlrev_b64_e32 v[8:9], 2, v[16:17]
	s_clause 0x1
	scratch_store_b32 off, v4, off
	scratch_store_b96 off, v[0:2], off offset:4
	v_dual_cndmask_b32 v23, s25, v23 :: v_dual_add_nc_u32 v16, 16, v20
	v_cndmask_b32_e32 v22, 0, v22, vcc_lo
	v_add_co_u32 v3, s2, s6, v8
	s_delay_alu instid0(VALU_DEP_1) | instskip(NEXT) | instid1(VALU_DEP_2)
	v_add_co_ci_u32_e64 v5, null, s7, v9, s2
	v_add_co_u32 v8, s2, v3, v21
	s_wait_alu 0xf1ff
	s_delay_alu instid0(VALU_DEP_2) | instskip(SKIP_3) | instid1(VALU_DEP_2)
	v_add_co_ci_u32_e64 v9, null, 0, v5, s2
	v_cmp_gt_i32_e64 s2, s9, v14
	v_mad_u32_u24 v5, 0x90, v20, v21
	s_wait_alu 0xf1ff
	v_cndmask_b32_e64 v15, s25, v9, s2
	v_cndmask_b32_e64 v14, 0, v8, s2
	s_wait_loadcnt_dscnt 0x0
	ds_store_b128 v5, v[10:13]
	flat_load_b128 v[12:15], v[14:15]
	v_lshlrev_b64_e32 v[10:11], 2, v[18:19]
	s_clause 0x1
	scratch_store_b32 off, v4, off
	scratch_store_b96 off, v[0:2], off offset:4
	v_add_co_u32 v3, s3, s6, v10
	s_wait_alu 0xf1ff
	v_add_co_ci_u32_e64 v11, null, s7, v11, s3
	s_delay_alu instid0(VALU_DEP_2) | instskip(SKIP_1) | instid1(VALU_DEP_2)
	v_add_co_u32 v10, s3, v3, v21
	s_wait_alu 0xf1ff
	v_add_co_ci_u32_e64 v11, null, 0, v11, s3
	v_cmp_gt_i32_e64 s3, s9, v16
	s_wait_alu 0xf1ff
	s_delay_alu instid0(VALU_DEP_1)
	v_cndmask_b32_e64 v17, s25, v11, s3
	v_cndmask_b32_e64 v16, 0, v10, s3
	s_wait_loadcnt_dscnt 0x0
	ds_store_b128 v5, v[12:15] offset:1152
	flat_load_b128 v[14:17], v[16:17]
	v_add_nc_u32_e32 v12, s4, v18
	v_add_nc_u32_e32 v18, 24, v20
	s_delay_alu instid0(VALU_DEP_2) | instskip(NEXT) | instid1(VALU_DEP_1)
	v_ashrrev_i32_e32 v13, 31, v12
	v_lshlrev_b64_e32 v[12:13], 2, v[12:13]
	s_delay_alu instid0(VALU_DEP_1) | instskip(SKIP_1) | instid1(VALU_DEP_2)
	v_add_co_u32 v3, s4, s6, v12
	s_wait_alu 0xf1ff
	v_add_co_ci_u32_e64 v13, null, s7, v13, s4
	s_delay_alu instid0(VALU_DEP_2) | instskip(SKIP_1) | instid1(VALU_DEP_2)
	v_add_co_u32 v12, s4, v3, v21
	s_wait_alu 0xf1ff
	v_add_co_ci_u32_e64 v13, null, 0, v13, s4
	v_cmp_gt_i32_e64 s4, s9, v18
	v_mov_b32_e32 v3, 0
	s_clause 0x1
	scratch_store_b32 off, v4, off
	scratch_store_b96 off, v[0:2], off offset:4
	s_wait_alu 0xf1ff
	v_cndmask_b32_e64 v19, s25, v13, s4
	v_cndmask_b32_e64 v18, 0, v12, s4
	s_wait_loadcnt_dscnt 0x0
	ds_store_b128 v5, v[14:17] offset:2304
	flat_load_b128 v[14:17], v[18:19]
	s_wait_loadcnt_dscnt 0x0
	ds_store_b128 v5, v[14:17] offset:3456
	s_wait_storecnt_dscnt 0x0
	s_barrier_signal -1
	s_barrier_wait -1
	global_inv scope:SCOPE_SE
	ds_load_b128 v[14:17], v59
	ds_load_b128 v[18:21], v58
	s_wait_dscnt 0x0
	;;#ASMSTART
	v_dot2_f32_f16 v3, v14, v18, v3
	;;#ASMEND
	;;#ASMSTART
	v_dot2_f32_f16 v3, v15, v19, v3
	;;#ASMEND
	;;#ASMSTART
	v_dot2_f32_f16 v3, v16, v20, v3
	;;#ASMEND
	;;#ASMSTART
	v_dot2_f32_f16 v3, v17, v21, v3
	;;#ASMEND
	ds_load_b128 v[14:17], v59 offset:16
	ds_load_b128 v[18:21], v58 offset:16
	s_wait_dscnt 0x0
	;;#ASMSTART
	v_dot2_f32_f16 v3, v14, v18, v3
	;;#ASMEND
	;;#ASMSTART
	v_dot2_f32_f16 v3, v15, v19, v3
	;;#ASMEND
	;;#ASMSTART
	v_dot2_f32_f16 v3, v16, v20, v3
	;;#ASMEND
	;;#ASMSTART
	v_dot2_f32_f16 v3, v17, v21, v3
	;;#ASMEND
	ds_load_b128 v[14:17], v59 offset:32
	ds_load_b128 v[18:21], v58 offset:32
	;; [unrolled: 15-line block ×7, first 2 shown]
	s_wait_dscnt 0x0
	;;#ASMSTART
	v_dot2_f32_f16 v3, v14, v18, v3
	;;#ASMEND
	;;#ASMSTART
	v_dot2_f32_f16 v3, v15, v19, v3
	;;#ASMEND
	;; [unrolled: 3-line block ×4, first 2 shown]
	s_wait_loadcnt 0x0
	s_barrier_signal -1
	s_barrier_wait -1
	global_inv scope:SCOPE_SE
	s_clause 0x1
	scratch_store_b32 off, v4, off
	scratch_store_b96 off, v[0:2], off offset:4
	flat_load_b128 v[14:17], v[22:23]
	v_add_co_u32 v18, s5, 0x80, v8
	s_wait_alu 0xf1ff
	v_add_co_ci_u32_e64 v19, null, 0, v9, s5
	s_clause 0x1
	scratch_store_b32 off, v4, off
	scratch_store_b96 off, v[0:2], off offset:4
	v_cndmask_b32_e64 v18, 0, v18, s2
	v_cndmask_b32_e64 v19, s25, v19, s2
	s_wait_loadcnt_dscnt 0x0
	ds_store_b128 v5, v[14:17]
	flat_load_b128 v[14:17], v[18:19]
	v_add_co_u32 v18, s5, 0x80, v10
	s_wait_alu 0xf1ff
	v_add_co_ci_u32_e64 v19, null, 0, v11, s5
	s_clause 0x1
	scratch_store_b32 off, v4, off
	scratch_store_b96 off, v[0:2], off offset:4
	v_cndmask_b32_e64 v18, 0, v18, s3
	v_cndmask_b32_e64 v19, s25, v19, s3
	s_wait_loadcnt_dscnt 0x0
	ds_store_b128 v5, v[14:17] offset:1152
	flat_load_b128 v[14:17], v[18:19]
	v_add_co_u32 v18, s5, 0x80, v12
	s_wait_alu 0xf1ff
	v_add_co_ci_u32_e64 v19, null, 0, v13, s5
	s_clause 0x1
	scratch_store_b32 off, v4, off
	scratch_store_b96 off, v[0:2], off offset:4
	v_cndmask_b32_e64 v18, 0, v18, s4
	v_add_co_u32 v22, s5, 0x100, v6
	v_cndmask_b32_e64 v19, s25, v19, s4
	s_wait_alu 0xf1ff
	v_add_co_ci_u32_e64 v23, null, 0, v7, s5
	s_delay_alu instid0(VALU_DEP_3) | instskip(NEXT) | instid1(VALU_DEP_2)
	v_cndmask_b32_e32 v22, 0, v22, vcc_lo
	v_cndmask_b32_e32 v23, s25, v23, vcc_lo
	s_wait_loadcnt_dscnt 0x0
	ds_store_b128 v5, v[14:17] offset:2304
	flat_load_b128 v[14:17], v[18:19]
	s_wait_loadcnt_dscnt 0x0
	ds_store_b128 v5, v[14:17] offset:3456
	s_wait_storecnt_dscnt 0x0
	s_barrier_signal -1
	s_barrier_wait -1
	global_inv scope:SCOPE_SE
	ds_load_b128 v[14:17], v59
	ds_load_b128 v[18:21], v58 offset:128
	s_wait_dscnt 0x0
	;;#ASMSTART
	v_dot2_f32_f16 v3, v14, v18, v3
	;;#ASMEND
	;;#ASMSTART
	v_dot2_f32_f16 v3, v15, v19, v3
	;;#ASMEND
	;;#ASMSTART
	v_dot2_f32_f16 v3, v16, v20, v3
	;;#ASMEND
	;;#ASMSTART
	v_dot2_f32_f16 v3, v17, v21, v3
	;;#ASMEND
	ds_load_b128 v[14:17], v59 offset:16
	ds_load_b128 v[18:21], v58 offset:144
	s_wait_dscnt 0x0
	;;#ASMSTART
	v_dot2_f32_f16 v3, v14, v18, v3
	;;#ASMEND
	;;#ASMSTART
	v_dot2_f32_f16 v3, v15, v19, v3
	;;#ASMEND
	;;#ASMSTART
	v_dot2_f32_f16 v3, v16, v20, v3
	;;#ASMEND
	;;#ASMSTART
	v_dot2_f32_f16 v3, v17, v21, v3
	;;#ASMEND
	ds_load_b128 v[14:17], v59 offset:32
	;; [unrolled: 15-line block ×7, first 2 shown]
	ds_load_b128 v[18:21], v58 offset:240
	s_wait_dscnt 0x0
	;;#ASMSTART
	v_dot2_f32_f16 v3, v14, v18, v3
	;;#ASMEND
	;;#ASMSTART
	v_dot2_f32_f16 v3, v15, v19, v3
	;;#ASMEND
	;; [unrolled: 3-line block ×4, first 2 shown]
	s_wait_loadcnt 0x0
	s_barrier_signal -1
	s_barrier_wait -1
	global_inv scope:SCOPE_SE
	s_clause 0x1
	scratch_store_b32 off, v4, off
	scratch_store_b96 off, v[0:2], off offset:4
	flat_load_b128 v[14:17], v[22:23]
	v_add_co_u32 v18, s5, 0x100, v8
	s_wait_alu 0xf1ff
	v_add_co_ci_u32_e64 v19, null, 0, v9, s5
	s_clause 0x1
	scratch_store_b32 off, v4, off
	scratch_store_b96 off, v[0:2], off offset:4
	v_cndmask_b32_e64 v18, 0, v18, s2
	v_cndmask_b32_e64 v19, s25, v19, s2
	s_wait_loadcnt_dscnt 0x0
	ds_store_b128 v5, v[14:17]
	flat_load_b128 v[14:17], v[18:19]
	v_add_co_u32 v18, s5, 0x100, v10
	s_wait_alu 0xf1ff
	v_add_co_ci_u32_e64 v19, null, 0, v11, s5
	s_clause 0x1
	scratch_store_b32 off, v4, off
	scratch_store_b96 off, v[0:2], off offset:4
	v_cndmask_b32_e64 v18, 0, v18, s3
	v_cndmask_b32_e64 v19, s25, v19, s3
	s_wait_loadcnt_dscnt 0x0
	ds_store_b128 v5, v[14:17] offset:1152
	flat_load_b128 v[14:17], v[18:19]
	v_add_co_u32 v18, s5, 0x100, v12
	s_wait_alu 0xf1ff
	v_add_co_ci_u32_e64 v19, null, 0, v13, s5
	s_clause 0x1
	scratch_store_b32 off, v4, off
	scratch_store_b96 off, v[0:2], off offset:4
	v_cndmask_b32_e64 v18, 0, v18, s4
	v_add_co_u32 v6, s5, 0x180, v6
	v_cndmask_b32_e64 v19, s25, v19, s4
	s_wait_alu 0xf1ff
	v_add_co_ci_u32_e64 v7, null, 0, v7, s5
	s_delay_alu instid0(VALU_DEP_3) | instskip(NEXT) | instid1(VALU_DEP_2)
	v_cndmask_b32_e32 v6, 0, v6, vcc_lo
	v_cndmask_b32_e32 v7, s25, v7, vcc_lo
	s_wait_loadcnt_dscnt 0x0
	ds_store_b128 v5, v[14:17] offset:2304
	flat_load_b128 v[14:17], v[18:19]
	s_wait_loadcnt_dscnt 0x0
	ds_store_b128 v5, v[14:17] offset:3456
	s_wait_storecnt_dscnt 0x0
	s_barrier_signal -1
	s_barrier_wait -1
	global_inv scope:SCOPE_SE
	ds_load_b128 v[14:17], v59
	ds_load_b128 v[18:21], v58 offset:256
	s_wait_dscnt 0x0
	;;#ASMSTART
	v_dot2_f32_f16 v3, v14, v18, v3
	;;#ASMEND
	;;#ASMSTART
	v_dot2_f32_f16 v3, v15, v19, v3
	;;#ASMEND
	;;#ASMSTART
	v_dot2_f32_f16 v3, v16, v20, v3
	;;#ASMEND
	;;#ASMSTART
	v_dot2_f32_f16 v3, v17, v21, v3
	;;#ASMEND
	ds_load_b128 v[14:17], v59 offset:16
	ds_load_b128 v[18:21], v58 offset:272
	s_wait_dscnt 0x0
	;;#ASMSTART
	v_dot2_f32_f16 v3, v14, v18, v3
	;;#ASMEND
	;;#ASMSTART
	v_dot2_f32_f16 v3, v15, v19, v3
	;;#ASMEND
	;;#ASMSTART
	v_dot2_f32_f16 v3, v16, v20, v3
	;;#ASMEND
	;;#ASMSTART
	v_dot2_f32_f16 v3, v17, v21, v3
	;;#ASMEND
	ds_load_b128 v[14:17], v59 offset:32
	;; [unrolled: 15-line block ×7, first 2 shown]
	ds_load_b128 v[18:21], v58 offset:368
	s_wait_dscnt 0x0
	;;#ASMSTART
	v_dot2_f32_f16 v3, v14, v18, v3
	;;#ASMEND
	;;#ASMSTART
	v_dot2_f32_f16 v3, v15, v19, v3
	;;#ASMEND
	;; [unrolled: 3-line block ×4, first 2 shown]
	s_wait_loadcnt 0x0
	s_barrier_signal -1
	s_barrier_wait -1
	global_inv scope:SCOPE_SE
	s_clause 0x1
	scratch_store_b32 off, v4, off
	scratch_store_b96 off, v[0:2], off offset:4
	flat_load_b128 v[14:17], v[6:7]
	v_add_co_u32 v6, vcc_lo, 0x180, v8
	s_wait_alu 0xfffd
	v_add_co_ci_u32_e64 v7, null, 0, v9, vcc_lo
	s_clause 0x1
	scratch_store_b32 off, v4, off
	scratch_store_b96 off, v[0:2], off offset:4
	v_cndmask_b32_e64 v6, 0, v6, s2
	v_add_co_u32 v10, vcc_lo, 0x180, v10
	v_cndmask_b32_e64 v7, s25, v7, s2
	s_wait_alu 0xfffd
	v_add_co_ci_u32_e64 v11, null, 0, v11, vcc_lo
	s_delay_alu instid0(VALU_DEP_3) | instskip(SKIP_1) | instid1(VALU_DEP_2)
	v_cndmask_b32_e64 v10, 0, v10, s3
	s_mov_b32 s2, exec_lo
	v_cndmask_b32_e64 v11, s25, v11, s3
	s_wait_loadcnt_dscnt 0x0
	ds_store_b128 v5, v[14:17]
	flat_load_b128 v[6:9], v[6:7]
	s_clause 0x1
	scratch_store_b32 off, v4, off
	scratch_store_b96 off, v[0:2], off offset:4
	s_wait_loadcnt_dscnt 0x0
	ds_store_b128 v5, v[6:9] offset:1152
	flat_load_b128 v[6:9], v[10:11]
	v_add_co_u32 v10, vcc_lo, 0x180, v12
	s_wait_alu 0xfffd
	v_add_co_ci_u32_e64 v11, null, 0, v13, vcc_lo
	s_clause 0x1
	scratch_store_b32 off, v4, off
	scratch_store_b96 off, v[0:2], off offset:4
	v_cndmask_b32_e64 v10, 0, v10, s4
	v_mov_b32_e32 v0, v81
	v_cndmask_b32_e64 v11, s25, v11, s4
	s_wait_loadcnt_dscnt 0x0
	ds_store_b128 v5, v[6:9] offset:2304
	flat_load_b128 v[6:9], v[10:11]
	s_wait_loadcnt_dscnt 0x0
	ds_store_b128 v5, v[6:9] offset:3456
	s_wait_storecnt_dscnt 0x0
	s_barrier_signal -1
	s_barrier_wait -1
	global_inv scope:SCOPE_SE
	ds_load_b128 v[5:8], v59
	ds_load_b128 v[9:12], v58 offset:384
	s_wait_dscnt 0x0
	;;#ASMSTART
	v_dot2_f32_f16 v3, v5, v9, v3
	;;#ASMEND
	;;#ASMSTART
	v_dot2_f32_f16 v3, v6, v10, v3
	;;#ASMEND
	;;#ASMSTART
	v_dot2_f32_f16 v3, v7, v11, v3
	;;#ASMEND
	;;#ASMSTART
	v_dot2_f32_f16 v3, v8, v12, v3
	;;#ASMEND
	ds_load_b128 v[5:8], v59 offset:16
	ds_load_b128 v[9:12], v58 offset:400
	s_wait_dscnt 0x0
	;;#ASMSTART
	v_dot2_f32_f16 v3, v5, v9, v3
	;;#ASMEND
	;;#ASMSTART
	v_dot2_f32_f16 v3, v6, v10, v3
	;;#ASMEND
	;;#ASMSTART
	v_dot2_f32_f16 v3, v7, v11, v3
	;;#ASMEND
	;;#ASMSTART
	v_dot2_f32_f16 v3, v8, v12, v3
	;;#ASMEND
	ds_load_b128 v[5:8], v59 offset:32
	;; [unrolled: 15-line block ×7, first 2 shown]
	ds_load_b128 v[9:12], v58 offset:496
	s_wait_dscnt 0x0
	;;#ASMSTART
	v_dot2_f32_f16 v3, v5, v9, v3
	;;#ASMEND
	;;#ASMSTART
	v_dot2_f32_f16 v3, v6, v10, v3
	;;#ASMEND
	;; [unrolled: 3-line block ×4, first 2 shown]
	v_cmpx_gt_i32_e64 s9, v80
	s_cbranch_execz .LBB55_21
; %bb.18:
	s_cmp_eq_u64 s[34:35], 0
	s_cbranch_scc1 .LBB55_20
; %bb.19:
	v_mul_lo_u32 v0, v57, s33
	s_delay_alu instid0(VALU_DEP_1) | instskip(NEXT) | instid1(VALU_DEP_1)
	v_add3_u32 v0, v0, v80, s20
	v_ashrrev_i32_e32 v1, 31, v0
	s_delay_alu instid0(VALU_DEP_1) | instskip(NEXT) | instid1(VALU_DEP_1)
	v_lshlrev_b64_e32 v[0:1], 1, v[0:1]
	v_add_co_u32 v0, vcc_lo, s34, v0
	s_wait_alu 0xfffd
	s_delay_alu instid0(VALU_DEP_2) | instskip(SKIP_3) | instid1(VALU_DEP_1)
	v_add_co_ci_u32_e64 v1, null, s35, v1, vcc_lo
	global_load_u16 v0, v[0:1], off
	s_wait_loadcnt 0x0
	v_cvt_f32_f16_e32 v0, v0
	v_mul_f32_e32 v4, v56, v0
.LBB55_20:
	s_delay_alu instid0(VALU_DEP_1) | instskip(NEXT) | instid1(VALU_DEP_1)
	v_add_f32_e32 v3, v3, v4
	v_dual_max_num_f32 v1, v81, v81 :: v_dual_add_f32 v0, 0x40051340, v3
	s_delay_alu instid0(VALU_DEP_1)
	v_max_num_f32_e32 v0, v1, v0
.LBB55_21:
	s_wait_alu 0xfffe
	s_or_b32 exec_lo, exec_lo, s2
	v_xor_b32_e32 v99, 16, v89
	v_xor_b32_e32 v97, 8, v89
	;; [unrolled: 1-line block ×4, first 2 shown]
	s_ashr_i32 s11, s10, 31
	v_cmp_gt_i32_e32 vcc_lo, 32, v99
	s_mov_b32 s4, 0
	s_wait_alu 0xfffe
	s_mul_u64 s[6:7], s[20:21], s[10:11]
	s_mov_b32 s5, s4
	s_wait_alu 0xfffe
	s_lshl_b64 s[24:25], s[6:7], 2
	s_wait_alu 0xfffd
	v_cndmask_b32_e32 v1, v89, v99, vcc_lo
	v_cmp_gt_i32_e32 vcc_lo, 32, v97
	s_mov_b32 s6, s4
	v_xor_b32_e32 v101, 1, v89
	s_wait_alu 0xfffe
	v_dual_mov_b32 v78, s6 :: v_dual_add_nc_u32 v105, 0x800, v90
	s_wait_alu 0xfffd
	v_cndmask_b32_e32 v2, v89, v97, vcc_lo
	v_cmp_gt_i32_e32 vcc_lo, 32, v98
	v_lshlrev_b32_e32 v1, 2, v1
	s_mov_b64 s[2:3], src_private_base
	v_ashrrev_i32_e32 v37, 31, v36
	s_add_nc_u64 s[24:25], s[14:15], s[24:25]
	v_lshlrev_b32_e32 v104, 6, v74
	ds_bpermute_b32 v1, v1, v0
	v_max_num_f32_e32 v0, v0, v0
	v_lshlrev_b64_e32 v[72:73], 2, v[36:37]
	v_dual_mov_b32 v106, 0 :: v_dual_add_nc_u32 v111, 4, v74
	v_mov_b32_e32 v76, s4
	s_wait_loadcnt_dscnt 0x0
	s_barrier_signal -1
	s_barrier_wait -1
	global_inv scope:SCOPE_SE
	s_lshl_b32 s2, s10, 1
	v_add_nc_u32_e32 v112, 2, v74
	v_add_nc_u32_e32 v108, 6, v74
	v_lshl_add_u32 v109, v111, 9, v91
	v_dual_mov_b32 v77, s5 :: v_dual_lshlrev_b32 v2, 2, v2
	s_delay_alu instid0(VALU_DEP_4)
	v_lshl_add_u32 v110, v112, 9, v91
	s_or_b32 s4, s20, 8
	s_clause 0x1
	scratch_store_b32 off, v106, off
	scratch_store_b96 off, v[76:78], off offset:4
	v_max_num_f32_e32 v1, v1, v1
	s_wait_alu 0xfffe
	s_ashr_i32 s5, s4, 31
	v_add_nc_u32_e32 v113, v55, v91
	s_wait_alu 0xfffe
	s_mul_u64 s[4:5], s[4:5], s[10:11]
	v_max_num_f32_e32 v0, v0, v1
	s_wait_alu 0xfffe
	s_lshl_b64 s[4:5], s[4:5], 2
	s_wait_alu 0xfffe
	s_add_nc_u64 s[4:5], s[14:15], s[4:5]
	ds_bpermute_b32 v1, v2, v0
	s_wait_alu 0xfffd
	v_cndmask_b32_e32 v2, v89, v98, vcc_lo
	v_cmp_gt_i32_e32 vcc_lo, 32, v100
	s_wait_dscnt 0x0
	s_delay_alu instid0(VALU_DEP_2) | instskip(NEXT) | instid1(VALU_DEP_1)
	v_dual_max_num_f32 v1, v1, v1 :: v_dual_lshlrev_b32 v2, 2, v2
	v_max_num_f32_e32 v0, v0, v1
	ds_bpermute_b32 v1, v2, v0
	s_wait_alu 0xfffd
	v_cndmask_b32_e32 v2, v89, v100, vcc_lo
	v_cmp_gt_i32_e32 vcc_lo, 32, v101
	s_wait_dscnt 0x0
	s_delay_alu instid0(VALU_DEP_2) | instskip(NEXT) | instid1(VALU_DEP_1)
	v_dual_max_num_f32 v1, v1, v1 :: v_dual_lshlrev_b32 v2, 2, v2
	v_max_num_f32_e32 v0, v0, v1
	ds_bpermute_b32 v1, v2, v0
	s_wait_alu 0xfffd
	v_cndmask_b32_e32 v2, v89, v101, vcc_lo
	s_wait_dscnt 0x0
	s_delay_alu instid0(VALU_DEP_1) | instskip(NEXT) | instid1(VALU_DEP_1)
	v_dual_max_num_f32 v1, v1, v1 :: v_dual_lshlrev_b32 v2, 2, v2
	v_max_num_f32_e32 v0, v0, v1
	ds_bpermute_b32 v1, v2, v0
	s_wait_dscnt 0x0
	v_max_num_f32_e32 v1, v1, v1
	s_delay_alu instid0(VALU_DEP_1) | instskip(NEXT) | instid1(VALU_DEP_1)
	v_max_num_f32_e32 v102, v0, v1
	v_sub_f32_e32 v0, v3, v102
	s_delay_alu instid0(VALU_DEP_1) | instskip(SKIP_1) | instid1(VALU_DEP_2)
	v_mul_f32_e32 v1, 0x3fb8aa3b, v0
	v_cmp_ngt_f32_e32 vcc_lo, 0xc2ce8ed0, v0
	v_fma_f32 v2, 0x3fb8aa3b, v0, -v1
	v_rndne_f32_e32 v3, v1
	s_delay_alu instid0(VALU_DEP_1) | instskip(SKIP_1) | instid1(VALU_DEP_2)
	v_dual_fmac_f32 v2, 0x32a5705f, v0 :: v_dual_sub_f32 v1, v1, v3
	v_cvt_i32_f32_e32 v3, v3
	v_dual_add_f32 v1, v1, v2 :: v_dual_lshlrev_b32 v2, 1, v80
	s_delay_alu instid0(VALU_DEP_1) | instskip(NEXT) | instid1(VALU_DEP_1)
	v_exp_f32_e32 v1, v1
	v_add3_u32 v2, 0x1600, v104, v2
	s_delay_alu instid0(TRANS32_DEP_1) | instskip(SKIP_1) | instid1(VALU_DEP_1)
	v_ldexp_f32 v1, v1, v3
	s_wait_alu 0xfffd
	v_cndmask_b32_e32 v1, 0, v1, vcc_lo
	v_add_co_u32 v3, vcc_lo, s24, v72
	s_wait_alu 0xfffd
	v_add_co_ci_u32_e64 v4, null, s25, v73, vcc_lo
	v_cmp_nlt_f32_e32 vcc_lo, 0x42b17218, v0
	s_wait_alu 0xfffd
	v_cndmask_b32_e32 v0, 0x7f800000, v1, vcc_lo
	v_add_co_u32 v1, vcc_lo, v3, v91
	s_wait_alu 0xfffd
	v_add_co_ci_u32_e64 v3, null, 0, v4, vcc_lo
	v_cmp_gt_u32_e32 vcc_lo, s9, v80
	s_wait_alu 0xfffd
	v_cndmask_b32_e32 v103, 0, v0, vcc_lo
	v_cmp_gt_i32_e32 vcc_lo, s9, v74
	s_delay_alu instid0(VALU_DEP_2)
	v_cvt_f16_f32_e32 v4, v103
	s_wait_alu 0xfffd
	v_cndmask_b32_e32 v0, 0, v1, vcc_lo
	v_cndmask_b32_e32 v1, s3, v3, vcc_lo
	ds_store_b16 v2, v4
	v_add_nc_u32_e32 v4, s2, v36
	flat_load_b128 v[0:3], v[0:1]
	s_clause 0x1
	scratch_store_b32 off, v106, off
	scratch_store_b96 off, v[76:78], off offset:4
	v_ashrrev_i32_e32 v5, 31, v4
	s_delay_alu instid0(VALU_DEP_1) | instskip(SKIP_1) | instid1(VALU_DEP_2)
	v_lshlrev_b64_e32 v[84:85], 2, v[4:5]
	v_add_nc_u32_e32 v4, s2, v4
	v_add_co_u32 v5, vcc_lo, s24, v84
	s_wait_alu 0xfffd
	s_delay_alu instid0(VALU_DEP_3) | instskip(NEXT) | instid1(VALU_DEP_2)
	v_add_co_ci_u32_e64 v6, null, s25, v85, vcc_lo
	v_add_co_u32 v5, vcc_lo, v5, v91
	s_wait_alu 0xfffd
	s_delay_alu instid0(VALU_DEP_2) | instskip(SKIP_3) | instid1(VALU_DEP_3)
	v_add_co_ci_u32_e64 v6, null, 0, v6, vcc_lo
	v_cmp_gt_i32_e32 vcc_lo, s9, v112
	s_wait_alu 0xfffd
	v_cndmask_b32_e32 v5, 0, v5, vcc_lo
	v_cndmask_b32_e32 v6, s3, v6, vcc_lo
	s_wait_loadcnt_dscnt 0x0
	ds_store_b128 v113, v[0:3]
	flat_load_b128 v[0:3], v[5:6]
	v_ashrrev_i32_e32 v5, 31, v4
	s_clause 0x1
	scratch_store_b32 off, v106, off
	scratch_store_b96 off, v[76:78], off offset:4
	v_lshlrev_b64_e32 v[86:87], 2, v[4:5]
	v_add_nc_u32_e32 v4, s2, v4
	s_add_co_i32 s2, s9, -8
	s_delay_alu instid0(VALU_DEP_2) | instskip(SKIP_1) | instid1(VALU_DEP_3)
	v_add_co_u32 v5, vcc_lo, s24, v86
	s_wait_alu 0xfffd
	v_add_co_ci_u32_e64 v6, null, s25, v87, vcc_lo
	s_delay_alu instid0(VALU_DEP_2) | instskip(SKIP_1) | instid1(VALU_DEP_2)
	v_add_co_u32 v5, vcc_lo, v5, v91
	s_wait_alu 0xfffd
	v_add_co_ci_u32_e64 v6, null, 0, v6, vcc_lo
	v_cmp_gt_i32_e32 vcc_lo, s9, v111
	s_wait_alu 0xfffd
	v_cndmask_b32_e32 v5, 0, v5, vcc_lo
	s_delay_alu instid0(VALU_DEP_3)
	v_cndmask_b32_e32 v6, s3, v6, vcc_lo
	s_wait_loadcnt_dscnt 0x0
	ds_store_b128 v110, v[0:3]
	flat_load_b128 v[0:3], v[5:6]
	v_ashrrev_i32_e32 v5, 31, v4
	s_clause 0x1
	scratch_store_b32 off, v106, off
	scratch_store_b96 off, v[76:78], off offset:4
	v_lshlrev_b64_e32 v[82:83], 2, v[4:5]
	s_delay_alu instid0(VALU_DEP_1) | instskip(SKIP_1) | instid1(VALU_DEP_2)
	v_add_co_u32 v4, vcc_lo, s24, v82
	s_wait_alu 0xfffd
	v_add_co_ci_u32_e64 v5, null, s25, v83, vcc_lo
	s_delay_alu instid0(VALU_DEP_2) | instskip(SKIP_1) | instid1(VALU_DEP_2)
	v_add_co_u32 v4, vcc_lo, v4, v91
	s_wait_alu 0xfffd
	v_add_co_ci_u32_e64 v5, null, 0, v5, vcc_lo
	v_cmp_gt_i32_e32 vcc_lo, s9, v108
	s_wait_alu 0xfffd
	v_cndmask_b32_e32 v4, 0, v4, vcc_lo
	s_delay_alu instid0(VALU_DEP_3)
	v_cndmask_b32_e32 v5, s3, v5, vcc_lo
	s_wait_loadcnt_dscnt 0x0
	ds_store_b128 v109, v[0:3]
	flat_load_b128 v[0:3], v[4:5]
	s_wait_alu 0xfffe
	v_add_co_u32 v4, vcc_lo, s4, v72
	s_wait_alu 0xfffd
	v_add_co_ci_u32_e64 v5, null, s5, v73, vcc_lo
	s_delay_alu instid0(VALU_DEP_2) | instskip(SKIP_1) | instid1(VALU_DEP_2)
	v_add_co_u32 v4, vcc_lo, v4, v91
	s_wait_alu 0xfffd
	v_add_co_ci_u32_e64 v5, null, 0, v5, vcc_lo
	v_cmp_gt_i32_e32 vcc_lo, s2, v74
	s_wait_alu 0xfffd
	v_cndmask_b32_e32 v36, 0, v4, vcc_lo
	s_delay_alu instid0(VALU_DEP_3) | instskip(SKIP_3) | instid1(VALU_DEP_2)
	v_cndmask_b32_e32 v37, s3, v5, vcc_lo
	v_add_co_u32 v40, vcc_lo, s4, v84
	s_wait_alu 0xfffd
	v_add_co_ci_u32_e64 v41, null, s5, v85, vcc_lo
	v_add_co_u32 v40, vcc_lo, v40, v91
	s_wait_alu 0xfffd
	s_delay_alu instid0(VALU_DEP_2) | instskip(SKIP_2) | instid1(VALU_DEP_2)
	v_add_co_ci_u32_e64 v41, null, 0, v41, vcc_lo
	v_cmp_gt_i32_e32 vcc_lo, s2, v112
	s_wait_alu 0xfffd
	v_cndmask_b32_e32 v41, s3, v41, vcc_lo
	v_lshl_add_u32 v107, v108, 9, v91
	s_wait_loadcnt_dscnt 0x0
	ds_store_b128 v107, v[0:3]
	s_wait_storecnt_dscnt 0x0
	s_barrier_signal -1
	s_barrier_wait -1
	global_inv scope:SCOPE_SE
	ds_load_2addr_b64 v[28:31], v90 offset1:32
	ds_load_b128 v[32:35], v104 offset:5632
	ds_load_2addr_b64 v[24:27], v90 offset0:64 offset1:96
	ds_load_2addr_b64 v[20:23], v90 offset0:128 offset1:160
	;; [unrolled: 1-line block ×3, first 2 shown]
	ds_load_2addr_b64 v[12:15], v105 offset1:32
	ds_load_2addr_b64 v[8:11], v105 offset0:64 offset1:96
	ds_load_2addr_b64 v[4:7], v105 offset0:128 offset1:160
	;; [unrolled: 1-line block ×3, first 2 shown]
	s_wait_loadcnt_dscnt 0x0
	s_barrier_signal -1
	s_barrier_wait -1
	global_inv scope:SCOPE_SE
	s_clause 0x1
	scratch_store_b32 off, v106, off
	scratch_store_b96 off, v[76:78], off offset:4
	flat_load_b128 v[36:39], v[36:37]
	v_cndmask_b32_e32 v40, 0, v40, vcc_lo
	s_clause 0x1
	scratch_store_b32 off, v106, off
	scratch_store_b96 off, v[76:78], off offset:4
	s_wait_loadcnt_dscnt 0x0
	ds_store_b128 v113, v[36:39]
	flat_load_b128 v[36:39], v[40:41]
	v_add_co_u32 v40, vcc_lo, s4, v86
	s_wait_alu 0xfffd
	v_add_co_ci_u32_e64 v41, null, s5, v87, vcc_lo
	s_clause 0x1
	scratch_store_b32 off, v106, off
	scratch_store_b96 off, v[76:78], off offset:4
	v_add_co_u32 v40, vcc_lo, v40, v91
	s_wait_alu 0xfffd
	v_add_co_ci_u32_e64 v41, null, 0, v41, vcc_lo
	v_cmp_gt_i32_e32 vcc_lo, s2, v111
	s_wait_alu 0xfffd
	v_cndmask_b32_e32 v40, 0, v40, vcc_lo
	s_delay_alu instid0(VALU_DEP_3)
	v_cndmask_b32_e32 v41, s3, v41, vcc_lo
	s_wait_loadcnt_dscnt 0x0
	ds_store_b128 v110, v[36:39]
	flat_load_b128 v[36:39], v[40:41]
	v_add_co_u32 v40, vcc_lo, s4, v82
	s_wait_alu 0xfffd
	v_add_co_ci_u32_e64 v41, null, s5, v83, vcc_lo
	s_clause 0x1
	scratch_store_b32 off, v106, off
	scratch_store_b96 off, v[76:78], off offset:4
	v_add_co_u32 v40, vcc_lo, v40, v91
	s_wait_alu 0xfffd
	v_add_co_ci_u32_e64 v41, null, 0, v41, vcc_lo
	v_cmp_gt_i32_e32 vcc_lo, s2, v108
	s_or_b32 s4, s20, 16
	s_add_co_i32 s2, s9, -16
	s_wait_alu 0xfffe
	s_ashr_i32 s5, s4, 31
	s_wait_alu 0xfffd
	v_cndmask_b32_e32 v40, 0, v40, vcc_lo
	v_cndmask_b32_e32 v41, s3, v41, vcc_lo
	s_wait_alu 0xfffe
	s_mul_u64 s[4:5], s[4:5], s[10:11]
	s_wait_alu 0xfffe
	s_lshl_b64 s[4:5], s[4:5], 2
	s_wait_alu 0xfffe
	s_add_nc_u64 s[4:5], s[14:15], s[4:5]
	s_wait_loadcnt_dscnt 0x0
	ds_store_b128 v109, v[36:39]
	flat_load_b128 v[36:39], v[40:41]
	s_wait_alu 0xfffe
	v_add_co_u32 v40, vcc_lo, s4, v72
	s_wait_alu 0xfffd
	v_add_co_ci_u32_e64 v41, null, s5, v73, vcc_lo
	s_delay_alu instid0(VALU_DEP_2) | instskip(SKIP_1) | instid1(VALU_DEP_2)
	v_add_co_u32 v40, vcc_lo, v40, v91
	s_wait_alu 0xfffd
	v_add_co_ci_u32_e64 v41, null, 0, v41, vcc_lo
	v_cmp_gt_i32_e32 vcc_lo, s2, v74
	s_wait_alu 0xfffd
	v_cndmask_b32_e32 v114, 0, v40, vcc_lo
	s_delay_alu instid0(VALU_DEP_3) | instskip(SKIP_3) | instid1(VALU_DEP_2)
	v_cndmask_b32_e32 v115, s3, v41, vcc_lo
	v_add_co_u32 v75, vcc_lo, s4, v84
	s_wait_alu 0xfffd
	v_add_co_ci_u32_e64 v118, null, s5, v85, vcc_lo
	v_add_co_u32 v75, vcc_lo, v75, v91
	s_wait_alu 0xfffd
	s_delay_alu instid0(VALU_DEP_2) | instskip(SKIP_3) | instid1(VALU_DEP_3)
	v_add_co_ci_u32_e64 v119, null, 0, v118, vcc_lo
	v_cmp_gt_i32_e32 vcc_lo, s2, v112
	s_wait_alu 0xfffd
	v_cndmask_b32_e32 v118, 0, v75, vcc_lo
	v_cndmask_b32_e32 v119, s3, v119, vcc_lo
	v_add_co_u32 v75, vcc_lo, s4, v86
	s_wait_loadcnt_dscnt 0x0
	ds_store_b128 v107, v[36:39]
	s_wait_storecnt_dscnt 0x0
	s_barrier_signal -1
	s_barrier_wait -1
	global_inv scope:SCOPE_SE
	ds_load_2addr_b64 v[64:67], v90 offset1:32
	ds_load_b128 v[68:71], v104 offset:5648
	ds_load_2addr_b64 v[60:63], v90 offset0:64 offset1:96
	ds_load_2addr_b64 v[56:59], v90 offset0:128 offset1:160
	ds_load_2addr_b64 v[52:55], v90 offset0:192 offset1:224
	ds_load_2addr_b64 v[48:51], v105 offset1:32
	ds_load_2addr_b64 v[44:47], v105 offset0:64 offset1:96
	ds_load_2addr_b64 v[40:43], v105 offset0:128 offset1:160
	;; [unrolled: 1-line block ×3, first 2 shown]
	s_wait_loadcnt_dscnt 0x0
	s_barrier_signal -1
	s_barrier_wait -1
	global_inv scope:SCOPE_SE
	s_clause 0x1
	scratch_store_b32 off, v106, off
	scratch_store_b96 off, v[76:78], off offset:4
	flat_load_b128 v[114:117], v[114:115]
	s_clause 0x1
	scratch_store_b32 off, v106, off
	scratch_store_b96 off, v[76:78], off offset:4
	s_wait_loadcnt_dscnt 0x0
	ds_store_b128 v113, v[114:117]
	flat_load_b128 v[114:117], v[118:119]
	s_wait_alu 0xfffd
	v_add_co_ci_u32_e64 v118, null, s5, v87, vcc_lo
	v_add_co_u32 v75, vcc_lo, v75, v91
	s_clause 0x1
	scratch_store_b32 off, v106, off
	scratch_store_b96 off, v[76:78], off offset:4
	s_wait_alu 0xfffd
	v_add_co_ci_u32_e64 v119, null, 0, v118, vcc_lo
	v_cmp_gt_i32_e32 vcc_lo, s2, v111
	s_wait_alu 0xfffd
	v_cndmask_b32_e32 v118, 0, v75, vcc_lo
	s_delay_alu instid0(VALU_DEP_3)
	v_cndmask_b32_e32 v119, s3, v119, vcc_lo
	v_add_co_u32 v75, vcc_lo, s4, v82
	s_or_b32 s4, s20, 24
	s_wait_loadcnt_dscnt 0x0
	ds_store_b128 v110, v[114:117]
	flat_load_b128 v[114:117], v[118:119]
	s_wait_alu 0xfffd
	v_add_co_ci_u32_e64 v118, null, s5, v83, vcc_lo
	v_add_co_u32 v75, vcc_lo, v75, v91
	s_clause 0x1
	scratch_store_b32 off, v106, off
	scratch_store_b96 off, v[76:78], off offset:4
	s_wait_alu 0xfffd
	v_add_co_ci_u32_e64 v119, null, 0, v118, vcc_lo
	v_cmp_gt_i32_e32 vcc_lo, s2, v108
	s_wait_alu 0xfffe
	s_ashr_i32 s5, s4, 31
	s_sub_co_i32 s2, s9, 24
	s_wait_alu 0xfffe
	s_mul_u64 s[4:5], s[4:5], s[10:11]
	s_wait_alu 0xfffd
	v_cndmask_b32_e32 v118, 0, v75, vcc_lo
	v_cndmask_b32_e32 v119, s3, v119, vcc_lo
	s_wait_alu 0xfffe
	s_lshl_b64 s[4:5], s[4:5], 2
	s_wait_alu 0xfffe
	s_add_nc_u64 s[4:5], s[14:15], s[4:5]
	s_wait_alu 0xfffe
	v_add_co_u32 v72, vcc_lo, s4, v72
	s_wait_alu 0xfffd
	v_add_co_ci_u32_e64 v73, null, s5, v73, vcc_lo
	s_delay_alu instid0(VALU_DEP_2) | instskip(SKIP_1) | instid1(VALU_DEP_2)
	v_add_co_u32 v72, vcc_lo, v72, v91
	s_wait_alu 0xfffd
	v_add_co_ci_u32_e64 v73, null, 0, v73, vcc_lo
	v_cmp_gt_i32_e32 vcc_lo, s2, v74
	s_wait_alu 0xfffd
	v_cndmask_b32_e32 v146, 0, v72, vcc_lo
	s_delay_alu instid0(VALU_DEP_3) | instskip(SKIP_3) | instid1(VALU_DEP_2)
	v_cndmask_b32_e32 v147, s3, v73, vcc_lo
	v_add_co_u32 v84, vcc_lo, s4, v84
	s_wait_alu 0xfffd
	v_add_co_ci_u32_e64 v85, null, s5, v85, vcc_lo
	v_add_co_u32 v84, vcc_lo, v84, v91
	s_wait_alu 0xfffd
	s_delay_alu instid0(VALU_DEP_2) | instskip(SKIP_3) | instid1(VALU_DEP_3)
	v_add_co_ci_u32_e64 v85, null, 0, v85, vcc_lo
	v_cmp_gt_i32_e32 vcc_lo, s2, v112
	s_wait_alu 0xfffd
	v_cndmask_b32_e32 v84, 0, v84, vcc_lo
	v_cndmask_b32_e32 v85, s3, v85, vcc_lo
	s_wait_loadcnt_dscnt 0x0
	ds_store_b128 v109, v[114:117]
	flat_load_b128 v[114:117], v[118:119]
	s_wait_loadcnt_dscnt 0x0
	ds_store_b128 v107, v[114:117]
	s_wait_storecnt_dscnt 0x0
	s_barrier_signal -1
	s_barrier_wait -1
	global_inv scope:SCOPE_SE
	ds_load_2addr_b64 v[114:117], v90 offset1:32
	ds_load_b128 v[118:121], v104 offset:5664
	ds_load_2addr_b64 v[122:125], v90 offset0:64 offset1:96
	ds_load_2addr_b64 v[126:129], v90 offset0:128 offset1:160
	;; [unrolled: 1-line block ×3, first 2 shown]
	ds_load_2addr_b64 v[134:137], v105 offset1:32
	ds_load_2addr_b64 v[138:141], v105 offset0:64 offset1:96
	ds_load_2addr_b64 v[142:145], v105 offset0:128 offset1:160
	;; [unrolled: 1-line block ×3, first 2 shown]
	s_wait_loadcnt_dscnt 0x0
	s_barrier_signal -1
	s_barrier_wait -1
	global_inv scope:SCOPE_SE
	s_clause 0x1
	scratch_store_b32 off, v106, off
	scratch_store_b96 off, v[76:78], off offset:4
	flat_load_b128 v[146:149], v[146:147]
	s_clause 0x1
	scratch_store_b32 off, v106, off
	scratch_store_b96 off, v[76:78], off offset:4
	s_wait_loadcnt_dscnt 0x0
	ds_store_b128 v113, v[146:149]
	flat_load_b128 v[146:149], v[84:85]
	v_add_co_u32 v84, vcc_lo, s4, v86
	s_wait_alu 0xfffd
	v_add_co_ci_u32_e64 v85, null, s5, v87, vcc_lo
	s_clause 0x1
	scratch_store_b32 off, v106, off
	scratch_store_b96 off, v[76:78], off offset:4
	v_add_co_u32 v84, vcc_lo, v84, v91
	s_wait_alu 0xfffd
	v_add_co_ci_u32_e64 v85, null, 0, v85, vcc_lo
	v_cmp_gt_i32_e32 vcc_lo, s2, v111
	s_wait_alu 0xfffd
	v_cndmask_b32_e32 v84, 0, v84, vcc_lo
	s_delay_alu instid0(VALU_DEP_3) | instskip(SKIP_3) | instid1(VALU_DEP_2)
	v_cndmask_b32_e32 v85, s3, v85, vcc_lo
	v_add_co_u32 v82, vcc_lo, s4, v82
	s_wait_alu 0xfffd
	v_add_co_ci_u32_e64 v83, null, s5, v83, vcc_lo
	v_add_co_u32 v82, vcc_lo, v82, v91
	s_wait_alu 0xfffd
	s_delay_alu instid0(VALU_DEP_2)
	v_add_co_ci_u32_e64 v83, null, 0, v83, vcc_lo
	v_cmp_gt_i32_e32 vcc_lo, s2, v108
	v_lshrrev_b32_e32 v91, 16, v34
	v_and_b32_e32 v34, 0xffff, v34
	s_wait_alu 0xfffd
	v_cndmask_b32_e32 v82, 0, v82, vcc_lo
	v_cndmask_b32_e32 v83, s3, v83, vcc_lo
	s_wait_loadcnt_dscnt 0x0
	ds_store_b128 v110, v[146:149]
	flat_load_b128 v[84:87], v[84:85]
	s_clause 0x1
	scratch_store_b96 off, v[76:78], off offset:4
	scratch_store_b32 off, v106, off
	v_sub_f32_e32 v76, v81, v102
	s_delay_alu instid0(VALU_DEP_1) | instskip(SKIP_1) | instid1(VALU_DEP_2)
	v_mul_f32_e32 v77, 0x3fb8aa3b, v76
	v_cmp_ngt_f32_e32 vcc_lo, 0xc2ce8ed0, v76
	v_fma_f32 v78, 0x3fb8aa3b, v76, -v77
	v_rndne_f32_e32 v81, v77
	s_delay_alu instid0(VALU_DEP_1) | instskip(NEXT) | instid1(VALU_DEP_1)
	v_dual_fmac_f32 v78, 0x32a5705f, v76 :: v_dual_sub_f32 v77, v77, v81
	v_add_f32_e32 v77, v77, v78
	v_cvt_i32_f32_e32 v78, v81
	v_and_b32_e32 v81, 0xffff, v32
	v_lshrrev_b32_e32 v32, 16, v32
	s_delay_alu instid0(VALU_DEP_4) | instskip(NEXT) | instid1(VALU_DEP_2)
	v_exp_f32_e32 v77, v77
	v_mul_u32_u24_e32 v81, 0x10001, v81
	s_delay_alu instid0(VALU_DEP_2) | instskip(NEXT) | instid1(VALU_DEP_2)
	v_mul_u32_u24_e32 v32, 0x10001, v32
	v_pk_mul_f16 v28, v28, v81
	v_pk_mul_f16 v29, v29, v81
	s_delay_alu instid0(TRANS32_DEP_1) | instskip(SKIP_1) | instid1(VALU_DEP_1)
	v_ldexp_f32 v77, v77, v78
	s_wait_alu 0xfffd
	v_cndmask_b32_e32 v77, 0, v77, vcc_lo
	v_cmp_nlt_f32_e32 vcc_lo, 0x42b17218, v76
	s_wait_alu 0xfffd
	s_delay_alu instid0(VALU_DEP_2) | instskip(NEXT) | instid1(VALU_DEP_1)
	v_cndmask_b32_e32 v76, 0x7f800000, v77, vcc_lo
	v_cvt_f16_f32_e32 v77, v76
	v_fmac_f32_e32 v103, v96, v76
	s_delay_alu instid0(VALU_DEP_1) | instskip(NEXT) | instid1(VALU_DEP_1)
	v_dual_mov_b32 v96, v103 :: v_dual_and_b32 v77, 0xffff, v77
	v_mul_u32_u24_e32 v77, 0x10001, v77
	s_delay_alu instid0(VALU_DEP_1) | instskip(SKIP_2) | instid1(VALU_DEP_3)
	v_pk_fma_f16 v28, v93, v77, v28
	v_pk_mul_f16 v78, v95, v77
	v_pk_fma_f16 v29, v94, v77, v29
	v_pk_fma_f16 v24, v24, v32, v28
	s_delay_alu instid0(VALU_DEP_3) | instskip(NEXT) | instid1(VALU_DEP_3)
	v_pk_fma_f16 v30, v30, v81, v78
	v_pk_fma_f16 v25, v25, v32, v29
	s_delay_alu instid0(VALU_DEP_2)
	v_pk_fma_f16 v26, v26, v32, v30
	s_wait_loadcnt_dscnt 0x0
	ds_store_b128 v109, v[84:87]
	flat_load_b128 v[82:85], v[82:83]
	v_lshrrev_b32_e32 v87, 16, v33
	v_and_b32_e32 v33, 0xffff, v33
	v_pk_mul_f16 v86, v92, v77
	v_lshrrev_b32_e32 v92, 16, v35
	v_and_b32_e32 v35, 0xffff, v35
	v_mul_u32_u24_e32 v28, 0x10001, v87
	v_mul_u32_u24_e32 v33, 0x10001, v33
	v_pk_fma_f16 v31, v31, v81, v86
	v_mov_b32_e32 v81, v102
	s_delay_alu instid0(VALU_DEP_3) | instskip(NEXT) | instid1(VALU_DEP_3)
	v_pk_fma_f16 v20, v20, v33, v24
	v_pk_fma_f16 v27, v27, v32, v31
	v_pk_fma_f16 v21, v21, v33, v25
	v_mul_u32_u24_e32 v24, 0x10001, v34
	v_pk_fma_f16 v22, v22, v33, v26
	v_pk_fma_f16 v16, v16, v28, v20
	v_pk_fma_f16 v23, v23, v33, v27
	v_pk_fma_f16 v17, v17, v28, v21
	v_mul_u32_u24_e32 v20, 0x10001, v91
	v_pk_fma_f16 v18, v18, v28, v22
	;; [unrolled: 5-line block ×4, first 2 shown]
	v_pk_fma_f16 v4, v4, v16, v8
	v_pk_fma_f16 v11, v11, v20, v15
	;; [unrolled: 1-line block ×3, first 2 shown]
	v_and_b32_e32 v9, 0xffff, v69
	v_pk_fma_f16 v6, v6, v16, v10
	v_pk_fma_f16 v0, v0, v12, v4
	v_and_b32_e32 v4, 0xffff, v68
	v_pk_fma_f16 v7, v7, v16, v11
	v_pk_fma_f16 v1, v1, v12, v5
	v_lshrrev_b32_e32 v5, 16, v68
	v_pk_fma_f16 v2, v2, v12, v6
	v_mul_u32_u24_e32 v4, 0x10001, v4
	v_pk_fma_f16 v3, v3, v12, v7
	v_lshrrev_b32_e32 v6, 16, v69
	v_mul_u32_u24_e32 v5, 0x10001, v5
	v_and_b32_e32 v10, 0xffff, v70
	v_pk_fma_f16 v0, v64, v4, v0
	v_pk_fma_f16 v1, v65, v4, v1
	;; [unrolled: 1-line block ×4, first 2 shown]
	v_mul_u32_u24_e32 v4, 0x10001, v9
	v_pk_fma_f16 v0, v60, v5, v0
	v_pk_fma_f16 v1, v61, v5, v1
	;; [unrolled: 1-line block ×4, first 2 shown]
	v_mul_u32_u24_e32 v5, 0x10001, v6
	v_pk_fma_f16 v0, v56, v4, v0
	v_lshrrev_b32_e32 v7, 16, v70
	v_pk_fma_f16 v1, v57, v4, v1
	v_pk_fma_f16 v2, v58, v4, v2
	;; [unrolled: 1-line block ×3, first 2 shown]
	v_mul_u32_u24_e32 v4, 0x10001, v10
	v_pk_fma_f16 v0, v52, v5, v0
	v_and_b32_e32 v11, 0xffff, v71
	v_pk_fma_f16 v1, v53, v5, v1
	v_pk_fma_f16 v2, v54, v5, v2
	;; [unrolled: 1-line block ×3, first 2 shown]
	v_mul_u32_u24_e32 v5, 0x10001, v7
	v_pk_fma_f16 v0, v48, v4, v0
	v_lshrrev_b32_e32 v8, 16, v71
	v_pk_fma_f16 v1, v49, v4, v1
	v_pk_fma_f16 v2, v50, v4, v2
	v_pk_fma_f16 v3, v51, v4, v3
	v_mul_u32_u24_e32 v4, 0x10001, v11
	v_pk_fma_f16 v0, v44, v5, v0
	v_pk_fma_f16 v1, v45, v5, v1
	;; [unrolled: 1-line block ×4, first 2 shown]
	v_mul_u32_u24_e32 v5, 0x10001, v8
	v_pk_fma_f16 v6, v40, v4, v0
	v_pk_fma_f16 v1, v41, v4, v1
	;; [unrolled: 1-line block ×4, first 2 shown]
	v_and_b32_e32 v10, 0xffff, v119
	v_pk_fma_f16 v4, v36, v5, v6
	v_and_b32_e32 v6, 0xffff, v118
	v_pk_fma_f16 v1, v37, v5, v1
	v_pk_fma_f16 v2, v38, v5, v2
	;; [unrolled: 1-line block ×3, first 2 shown]
	v_lshrrev_b32_e32 v5, 16, v118
	v_mul_u32_u24_e32 v6, 0x10001, v6
	v_lshrrev_b32_e32 v7, 16, v119
	v_mul_u32_u24_e32 v10, 0x10001, v10
	v_and_b32_e32 v11, 0xffff, v120
	v_mul_u32_u24_e32 v5, 0x10001, v5
	v_pk_fma_f16 v4, v114, v6, v4
	v_pk_fma_f16 v1, v115, v6, v1
	v_pk_fma_f16 v2, v116, v6, v2
	v_pk_fma_f16 v3, v117, v6, v3
	v_mul_u32_u24_e32 v7, 0x10001, v7
	v_pk_fma_f16 v4, v122, v5, v4
	v_pk_fma_f16 v1, v123, v5, v1
	;; [unrolled: 1-line block ×4, first 2 shown]
	v_lshrrev_b32_e32 v8, 16, v120
	v_pk_fma_f16 v4, v126, v10, v4
	v_pk_fma_f16 v1, v127, v10, v1
	v_mul_u32_u24_e32 v6, 0x10001, v11
	v_pk_fma_f16 v2, v128, v10, v2
	v_pk_fma_f16 v3, v129, v10, v3
	;; [unrolled: 1-line block ×4, first 2 shown]
	v_and_b32_e32 v12, 0xffff, v121
	v_mul_u32_u24_e32 v5, 0x10001, v8
	v_pk_fma_f16 v2, v132, v7, v2
	v_pk_fma_f16 v3, v133, v7, v3
	;; [unrolled: 1-line block ×4, first 2 shown]
	v_lshrrev_b32_e32 v9, 16, v121
	v_mul_u32_u24_e32 v8, 0x10001, v12
	v_pk_fma_f16 v7, v136, v6, v2
	v_pk_fma_f16 v6, v137, v6, v3
	;; [unrolled: 1-line block ×4, first 2 shown]
	v_mul_u32_u24_e32 v9, 0x10001, v9
	v_pk_fma_f16 v7, v140, v5, v7
	v_pk_fma_f16 v5, v141, v5, v6
	;; [unrolled: 1-line block ×4, first 2 shown]
	v_mov_b32_e32 v0, 32
	v_pk_fma_f16 v11, v144, v8, v7
	v_pk_fma_f16 v12, v145, v8, v5
	;; [unrolled: 1-line block ×4, first 2 shown]
	s_delay_alu instid0(VALU_DEP_4) | instskip(NEXT) | instid1(VALU_DEP_4)
	v_pk_fma_f16 v39, v74, v9, v11
	v_pk_fma_f16 v40, v75, v9, v12
	s_wait_loadcnt_dscnt 0x0
	ds_store_b128 v107, v[82:85]
	s_wait_storecnt_dscnt 0x0
	s_barrier_signal -1
	s_barrier_wait -1
	global_inv scope:SCOPE_SE
	ds_load_b128 v[1:4], v104 offset:5680
	ds_load_2addr_b64 v[5:8], v90 offset1:32
	ds_load_2addr_b64 v[9:12], v90 offset0:64 offset1:96
	ds_load_2addr_b64 v[13:16], v90 offset0:128 offset1:160
	;; [unrolled: 1-line block ×3, first 2 shown]
	ds_load_2addr_b64 v[21:24], v105 offset1:32
	ds_load_2addr_b64 v[25:28], v105 offset0:64 offset1:96
	ds_load_2addr_b64 v[29:32], v105 offset0:128 offset1:160
	;; [unrolled: 1-line block ×3, first 2 shown]
	s_wait_loadcnt_dscnt 0x0
	s_barrier_signal -1
	s_barrier_wait -1
	global_inv scope:SCOPE_SE
	v_and_b32_e32 v41, 0xffff, v1
	v_lshrrev_b32_e32 v1, 16, v1
	v_lshrrev_b32_e32 v42, 16, v2
	v_and_b32_e32 v2, 0xffff, v2
	v_lshrrev_b32_e32 v43, 16, v3
	v_mul_u32_u24_e32 v41, 0x10001, v41
	v_mul_u32_u24_e32 v1, 0x10001, v1
	v_and_b32_e32 v3, 0xffff, v3
	v_mul_u32_u24_e32 v2, 0x10001, v2
	v_lshrrev_b32_e32 v44, 16, v4
	v_pk_fma_f16 v5, v5, v41, v37
	v_pk_fma_f16 v6, v6, v41, v38
	;; [unrolled: 1-line block ×4, first 2 shown]
	v_and_b32_e32 v4, 0xffff, v4
	v_pk_fma_f16 v5, v9, v1, v5
	v_pk_fma_f16 v6, v10, v1, v6
	v_pk_fma_f16 v7, v11, v1, v7
	v_pk_fma_f16 v1, v12, v1, v8
	v_mul_u32_u24_e32 v8, 0x10001, v42
	v_pk_fma_f16 v5, v13, v2, v5
	v_pk_fma_f16 v6, v14, v2, v6
	v_pk_fma_f16 v7, v15, v2, v7
	v_pk_fma_f16 v1, v16, v2, v1
	v_mul_u32_u24_e32 v2, 0x10001, v3
	;; [unrolled: 5-line block ×5, first 2 shown]
	v_pk_fma_f16 v3, v29, v2, v3
	v_pk_fma_f16 v4, v30, v2, v4
	;; [unrolled: 1-line block ×4, first 2 shown]
	s_delay_alu instid0(VALU_DEP_4) | instskip(NEXT) | instid1(VALU_DEP_4)
	v_pk_fma_f16 v93, v33, v6, v3
	v_pk_fma_f16 v94, v34, v6, v4
	s_delay_alu instid0(VALU_DEP_4) | instskip(NEXT) | instid1(VALU_DEP_4)
	v_pk_fma_f16 v95, v35, v6, v5
	v_pk_fma_f16 v92, v36, v6, v1
.LBB55_22:
	v_cmp_lt_i32_e32 vcc_lo, v99, v0
	s_cmp_eq_u64 s[12:13], 0
	s_cselect_b32 s2, -1, 0
	s_cmp_lg_u32 s8, 0
	s_wait_alu 0xfffd
	v_cndmask_b32_e32 v1, v89, v99, vcc_lo
	v_cmp_lt_i32_e32 vcc_lo, v97, v0
	s_cselect_b32 s3, -1, 0
	s_wait_alu 0xfffe
	s_or_b32 s2, s3, s2
	s_wait_alu 0xfffd
	v_cndmask_b32_e32 v2, v89, v97, vcc_lo
	v_cmp_lt_i32_e32 vcc_lo, v98, v0
	s_wait_alu 0xfffd
	v_cndmask_b32_e32 v3, v89, v98, vcc_lo
	v_cmp_lt_i32_e32 vcc_lo, v100, v0
	s_delay_alu instid0(VALU_DEP_2)
	v_lshlrev_b32_e32 v3, 2, v3
	v_lshlrev_b32_e32 v2, 2, v2
	v_lshlrev_b32_e32 v1, 2, v1
	ds_bpermute_b32 v1, v1, v96
	s_wait_dscnt 0x0
	v_add_f32_e32 v1, v96, v1
	ds_bpermute_b32 v2, v2, v1
	s_wait_dscnt 0x0
	v_add_f32_e32 v1, v1, v2
	ds_bpermute_b32 v2, v3, v1
	s_wait_alu 0xfffd
	v_cndmask_b32_e32 v3, v89, v100, vcc_lo
	v_cmp_lt_i32_e32 vcc_lo, v101, v0
	s_wait_alu 0xfffd
	s_delay_alu instid0(VALU_DEP_2) | instskip(SKIP_3) | instid1(VALU_DEP_1)
	v_dual_cndmask_b32 v0, v89, v101 :: v_dual_lshlrev_b32 v3, 2, v3
	s_wait_alu 0xfffe
	s_and_b32 vcc_lo, exec_lo, s2
	s_wait_dscnt 0x0
	v_dual_add_f32 v1, v1, v2 :: v_dual_lshlrev_b32 v0, 2, v0
	ds_bpermute_b32 v2, v3, v1
	s_wait_dscnt 0x0
	v_add_f32_e32 v1, v1, v2
	ds_bpermute_b32 v0, v0, v1
	s_wait_dscnt 0x0
	v_add_f32_e32 v82, v1, v0
	s_wait_alu 0xfffe
	s_cbranch_vccnz .LBB55_24
; %bb.23:
	v_dual_mov_b32 v0, 0 :: v_dual_max_num_f32 v1, v81, v81
	s_lshl_b64 s[2:3], s[30:31], 2
	s_wait_alu 0xfffe
	s_add_nc_u64 s[2:3], s[12:13], s[2:3]
	global_load_b32 v0, v0, s[2:3]
	s_wait_loadcnt 0x0
	v_max_num_f32_e32 v2, v0, v0
	s_delay_alu instid0(VALU_DEP_1) | instskip(NEXT) | instid1(VALU_DEP_1)
	v_max_num_f32_e32 v1, v1, v2
	v_sub_f32_e32 v0, v0, v1
	s_delay_alu instid0(VALU_DEP_1) | instskip(SKIP_2) | instid1(VALU_DEP_3)
	v_mul_f32_e32 v6, 0x3fb8aa3b, v0
	v_sub_f32_e32 v2, v81, v1
	v_mov_b32_e32 v81, v1
	v_rndne_f32_e32 v8, v6
	s_delay_alu instid0(VALU_DEP_3) | instskip(NEXT) | instid1(VALU_DEP_1)
	v_mul_f32_e32 v3, 0x3fb8aa3b, v2
	v_fma_f32 v4, 0x3fb8aa3b, v2, -v3
	v_rndne_f32_e32 v5, v3
	s_delay_alu instid0(VALU_DEP_1) | instskip(SKIP_1) | instid1(VALU_DEP_2)
	v_dual_fmac_f32 v4, 0x32a5705f, v2 :: v_dual_sub_f32 v3, v3, v5
	v_cvt_i32_f32_e32 v5, v5
	v_add_f32_e32 v3, v3, v4
	v_cmp_ngt_f32_e32 vcc_lo, 0xc2ce8ed0, v2
	v_sub_f32_e32 v4, v6, v8
	s_delay_alu instid0(VALU_DEP_3) | instskip(NEXT) | instid1(TRANS32_DEP_1)
	v_exp_f32_e32 v3, v3
	v_ldexp_f32 v3, v3, v5
	v_cvt_i32_f32_e32 v5, v8
	s_wait_alu 0xfffd
	s_delay_alu instid0(VALU_DEP_2) | instskip(SKIP_2) | instid1(VALU_DEP_2)
	v_cndmask_b32_e32 v3, 0, v3, vcc_lo
	v_fma_f32 v7, 0x3fb8aa3b, v0, -v6
	v_cmp_nlt_f32_e32 vcc_lo, 0x42b17218, v2
	v_fmac_f32_e32 v7, 0x32a5705f, v0
	s_wait_alu 0xfffd
	v_cndmask_b32_e32 v2, 0x7f800000, v3, vcc_lo
	v_cmp_ngt_f32_e32 vcc_lo, 0xc2ce8ed0, v0
	s_delay_alu instid0(VALU_DEP_3) | instskip(NEXT) | instid1(VALU_DEP_1)
	v_add_f32_e32 v4, v4, v7
	v_exp_f32_e32 v4, v4
	s_delay_alu instid0(TRANS32_DEP_1) | instskip(SKIP_1) | instid1(VALU_DEP_1)
	v_ldexp_f32 v4, v4, v5
	s_wait_alu 0xfffd
	v_cndmask_b32_e32 v3, 0, v4, vcc_lo
	v_cmp_nlt_f32_e32 vcc_lo, 0x42b17218, v0
	v_cvt_f16_f32_e32 v4, v2
	s_wait_alu 0xfffd
	s_delay_alu instid0(VALU_DEP_3) | instskip(NEXT) | instid1(VALU_DEP_1)
	v_cndmask_b32_e32 v0, 0x7f800000, v3, vcc_lo
	v_dual_fmac_f32 v0, v82, v2 :: v_dual_and_b32 v3, 0xffff, v4
	s_delay_alu instid0(VALU_DEP_1) | instskip(NEXT) | instid1(VALU_DEP_2)
	v_mov_b32_e32 v82, v0
	v_mul_u32_u24_e32 v2, 0x10001, v3
	s_delay_alu instid0(VALU_DEP_1)
	v_pk_mul_f16 v93, v93, v2
	v_pk_mul_f16 v94, v94, v2
	v_pk_mul_f16 v95, v95, v2
	v_pk_mul_f16 v92, v92, v2
.LBB55_24:
	s_mov_b32 s2, exec_lo
	v_cmpx_gt_i32_e64 s22, v79
	s_cbranch_execz .LBB55_27
; %bb.25:
	v_div_scale_f32 v3, null, v82, v82, 1.0
	s_load_b32 s1, s[0:1], 0xd4
	v_mad_co_u64_u32 v[0:1], null, s28, s22, v[79:80]
	v_rcp_f32_e32 v5, v3
	v_div_scale_f32 v4, vcc_lo, 1.0, v82, 1.0
	v_cvt_f32_f16_e32 v7, v94
	v_lshrrev_b32_e32 v9, 16, v93
	v_lshrrev_b32_e32 v6, 16, v94
	v_mad_co_u64_u32 v[0:1], null, v0, s23, s[30:31]
	v_lshrrev_b32_e32 v10, 16, v92
	s_delay_alu instid0(VALU_DEP_4) | instskip(NEXT) | instid1(TRANS32_DEP_1)
	v_cvt_f32_f16_e32 v16, v9
	v_fma_f32 v2, -v3, v5, 1.0
	v_cvt_f32_f16_e32 v6, v6
	v_lshrrev_b32_e32 v11, 16, v95
	v_cvt_f32_f16_e32 v13, v93
	v_cvt_f32_f16_e32 v14, v92
	v_dual_fmac_f32 v5, v2, v5 :: v_dual_mov_b32 v2, 0
	s_wait_kmcnt 0x0
	v_mad_co_u64_u32 v[0:1], null, s1, v0, s[8:9]
	s_cmp_lg_u32 s1, 1
	v_mul_f32_e32 v8, v4, v5
	s_cselect_b32 s1, -1, 0
	v_cvt_f32_f16_e32 v15, v95
	v_cvt_f32_f16_e32 v17, v11
	v_cmp_eq_u32_e64 s0, 0, v80
	v_fma_f32 v1, -v3, v8, v4
	s_wait_alu 0xfffe
	s_and_b32 s0, s0, s1
	s_delay_alu instid0(VALU_DEP_1) | instskip(SKIP_1) | instid1(VALU_DEP_2)
	v_fmac_f32_e32 v8, v1, v5
	v_lshl_add_u32 v1, v0, 8, v88
	v_fma_f32 v9, -v3, v8, v4
	s_delay_alu instid0(VALU_DEP_2) | instskip(SKIP_1) | instid1(VALU_DEP_2)
	v_lshlrev_b64_e32 v[3:4], 2, v[1:2]
	s_wait_alu 0xfffd
	v_div_fmas_f32 v5, v9, v5, v8
	v_cvt_f32_f16_e32 v8, v10
	s_delay_alu instid0(VALU_DEP_3) | instskip(SKIP_3) | instid1(VALU_DEP_1)
	v_add_co_u32 v9, vcc_lo, s16, v3
	s_wait_alu 0xfffd
	v_add_co_ci_u32_e64 v10, null, s17, v4, vcc_lo
	v_div_fixup_f32 v5, v5, v82, 1.0
	v_cndmask_b32_e64 v5, v5, 1.0, s1
	s_delay_alu instid0(VALU_DEP_1) | instskip(NEXT) | instid1(VALU_DEP_1)
	v_dual_mul_f32 v4, v5, v6 :: v_dual_add_nc_u32 v1, 0x80, v1
	v_lshlrev_b64_e32 v[1:2], 2, v[1:2]
	v_mul_f32_e32 v3, v5, v7
	v_mul_f32_e32 v8, v5, v8
	;; [unrolled: 1-line block ×4, first 2 shown]
	v_add_co_u32 v11, vcc_lo, s16, v1
	s_wait_alu 0xfffd
	v_add_co_ci_u32_e64 v12, null, s17, v2, vcc_lo
	v_mul_f32_e32 v2, v5, v16
	v_mul_f32_e32 v1, v5, v13
	;; [unrolled: 1-line block ×3, first 2 shown]
	s_clause 0x1
	global_store_b128 v[9:10], v[1:4], off
	global_store_b128 v[11:12], v[5:8], off
	s_wait_alu 0xfffe
	s_and_b32 exec_lo, exec_lo, s0
	s_cbranch_execz .LBB55_27
; %bb.26:
	v_ashrrev_i32_e32 v1, 31, v0
	s_delay_alu instid0(VALU_DEP_1) | instskip(NEXT) | instid1(VALU_DEP_1)
	v_lshlrev_b64_e32 v[0:1], 3, v[0:1]
	v_add_co_u32 v0, vcc_lo, s18, v0
	s_wait_alu 0xfffd
	s_delay_alu instid0(VALU_DEP_2)
	v_add_co_ci_u32_e64 v1, null, s19, v1, vcc_lo
	global_store_b64 v[0:1], v[81:82], off
.LBB55_27:
	s_nop 0
	s_sendmsg sendmsg(MSG_DEALLOC_VGPRS)
	s_endpgm
	.section	.rodata,"a",@progbits
	.p2align	6, 0x0
	.amdhsa_kernel _ZL15flash_attn_tileILi256ELi256ELi2ELi1ELb0EEvPKcS1_S1_S1_S1_PKiPfP15HIP_vector_typeIfLj2EEffffjfiS5_IjLj3EEiiiiiiiiiiiliiliiiiil
		.amdhsa_group_segment_fixed_size 5760
		.amdhsa_private_segment_fixed_size 32
		.amdhsa_kernarg_size 464
		.amdhsa_user_sgpr_count 2
		.amdhsa_user_sgpr_dispatch_ptr 0
		.amdhsa_user_sgpr_queue_ptr 0
		.amdhsa_user_sgpr_kernarg_segment_ptr 1
		.amdhsa_user_sgpr_dispatch_id 0
		.amdhsa_user_sgpr_private_segment_size 0
		.amdhsa_wavefront_size32 1
		.amdhsa_uses_dynamic_stack 0
		.amdhsa_enable_private_segment 1
		.amdhsa_system_sgpr_workgroup_id_x 1
		.amdhsa_system_sgpr_workgroup_id_y 1
		.amdhsa_system_sgpr_workgroup_id_z 1
		.amdhsa_system_sgpr_workgroup_info 0
		.amdhsa_system_vgpr_workitem_id 1
		.amdhsa_next_free_vgpr 182
		.amdhsa_next_free_sgpr 47
		.amdhsa_reserve_vcc 1
		.amdhsa_float_round_mode_32 0
		.amdhsa_float_round_mode_16_64 0
		.amdhsa_float_denorm_mode_32 3
		.amdhsa_float_denorm_mode_16_64 3
		.amdhsa_fp16_overflow 0
		.amdhsa_workgroup_processor_mode 1
		.amdhsa_memory_ordered 1
		.amdhsa_forward_progress 1
		.amdhsa_inst_pref_size 132
		.amdhsa_round_robin_scheduling 0
		.amdhsa_exception_fp_ieee_invalid_op 0
		.amdhsa_exception_fp_denorm_src 0
		.amdhsa_exception_fp_ieee_div_zero 0
		.amdhsa_exception_fp_ieee_overflow 0
		.amdhsa_exception_fp_ieee_underflow 0
		.amdhsa_exception_fp_ieee_inexact 0
		.amdhsa_exception_int_div_zero 0
	.end_amdhsa_kernel
	.section	.text._ZL15flash_attn_tileILi256ELi256ELi2ELi1ELb0EEvPKcS1_S1_S1_S1_PKiPfP15HIP_vector_typeIfLj2EEffffjfiS5_IjLj3EEiiiiiiiiiiiliiliiiiil,"axG",@progbits,_ZL15flash_attn_tileILi256ELi256ELi2ELi1ELb0EEvPKcS1_S1_S1_S1_PKiPfP15HIP_vector_typeIfLj2EEffffjfiS5_IjLj3EEiiiiiiiiiiiliiliiiiil,comdat
.Lfunc_end55:
	.size	_ZL15flash_attn_tileILi256ELi256ELi2ELi1ELb0EEvPKcS1_S1_S1_S1_PKiPfP15HIP_vector_typeIfLj2EEffffjfiS5_IjLj3EEiiiiiiiiiiiliiliiiiil, .Lfunc_end55-_ZL15flash_attn_tileILi256ELi256ELi2ELi1ELb0EEvPKcS1_S1_S1_S1_PKiPfP15HIP_vector_typeIfLj2EEffffjfiS5_IjLj3EEiiiiiiiiiiiliiliiiiil
                                        ; -- End function
	.set _ZL15flash_attn_tileILi256ELi256ELi2ELi1ELb0EEvPKcS1_S1_S1_S1_PKiPfP15HIP_vector_typeIfLj2EEffffjfiS5_IjLj3EEiiiiiiiiiiiliiliiiiil.num_vgpr, 182
	.set _ZL15flash_attn_tileILi256ELi256ELi2ELi1ELb0EEvPKcS1_S1_S1_S1_PKiPfP15HIP_vector_typeIfLj2EEffffjfiS5_IjLj3EEiiiiiiiiiiiliiliiiiil.num_agpr, 0
	.set _ZL15flash_attn_tileILi256ELi256ELi2ELi1ELb0EEvPKcS1_S1_S1_S1_PKiPfP15HIP_vector_typeIfLj2EEffffjfiS5_IjLj3EEiiiiiiiiiiiliiliiiiil.numbered_sgpr, 47
	.set _ZL15flash_attn_tileILi256ELi256ELi2ELi1ELb0EEvPKcS1_S1_S1_S1_PKiPfP15HIP_vector_typeIfLj2EEffffjfiS5_IjLj3EEiiiiiiiiiiiliiliiiiil.num_named_barrier, 0
	.set _ZL15flash_attn_tileILi256ELi256ELi2ELi1ELb0EEvPKcS1_S1_S1_S1_PKiPfP15HIP_vector_typeIfLj2EEffffjfiS5_IjLj3EEiiiiiiiiiiiliiliiiiil.private_seg_size, 32
	.set _ZL15flash_attn_tileILi256ELi256ELi2ELi1ELb0EEvPKcS1_S1_S1_S1_PKiPfP15HIP_vector_typeIfLj2EEffffjfiS5_IjLj3EEiiiiiiiiiiiliiliiiiil.uses_vcc, 1
	.set _ZL15flash_attn_tileILi256ELi256ELi2ELi1ELb0EEvPKcS1_S1_S1_S1_PKiPfP15HIP_vector_typeIfLj2EEffffjfiS5_IjLj3EEiiiiiiiiiiiliiliiiiil.uses_flat_scratch, 1
	.set _ZL15flash_attn_tileILi256ELi256ELi2ELi1ELb0EEvPKcS1_S1_S1_S1_PKiPfP15HIP_vector_typeIfLj2EEffffjfiS5_IjLj3EEiiiiiiiiiiiliiliiiiil.has_dyn_sized_stack, 0
	.set _ZL15flash_attn_tileILi256ELi256ELi2ELi1ELb0EEvPKcS1_S1_S1_S1_PKiPfP15HIP_vector_typeIfLj2EEffffjfiS5_IjLj3EEiiiiiiiiiiiliiliiiiil.has_recursion, 0
	.set _ZL15flash_attn_tileILi256ELi256ELi2ELi1ELb0EEvPKcS1_S1_S1_S1_PKiPfP15HIP_vector_typeIfLj2EEffffjfiS5_IjLj3EEiiiiiiiiiiiliiliiiiil.has_indirect_call, 0
	.section	.AMDGPU.csdata,"",@progbits
; Kernel info:
; codeLenInByte = 16800
; TotalNumSgprs: 49
; NumVgprs: 182
; ScratchSize: 32
; MemoryBound: 0
; FloatMode: 240
; IeeeMode: 1
; LDSByteSize: 5760 bytes/workgroup (compile time only)
; SGPRBlocks: 0
; VGPRBlocks: 22
; NumSGPRsForWavesPerEU: 49
; NumVGPRsForWavesPerEU: 182
; Occupancy: 8
; WaveLimiterHint : 1
; COMPUTE_PGM_RSRC2:SCRATCH_EN: 1
; COMPUTE_PGM_RSRC2:USER_SGPR: 2
; COMPUTE_PGM_RSRC2:TRAP_HANDLER: 0
; COMPUTE_PGM_RSRC2:TGID_X_EN: 1
; COMPUTE_PGM_RSRC2:TGID_Y_EN: 1
; COMPUTE_PGM_RSRC2:TGID_Z_EN: 1
; COMPUTE_PGM_RSRC2:TIDIG_COMP_CNT: 1
	.section	.text._ZL33flash_attn_stream_k_fixup_uniformILi256ELi2ELi1EEvPfPK15HIP_vector_typeIfLj2EEiiiiiiS1_IjLj3EES5_S5_,"axG",@progbits,_ZL33flash_attn_stream_k_fixup_uniformILi256ELi2ELi1EEvPfPK15HIP_vector_typeIfLj2EEiiiiiiS1_IjLj3EES5_S5_,comdat
	.globl	_ZL33flash_attn_stream_k_fixup_uniformILi256ELi2ELi1EEvPfPK15HIP_vector_typeIfLj2EEiiiiiiS1_IjLj3EES5_S5_ ; -- Begin function _ZL33flash_attn_stream_k_fixup_uniformILi256ELi2ELi1EEvPfPK15HIP_vector_typeIfLj2EEiiiiiiS1_IjLj3EES5_S5_
	.p2align	8
	.type	_ZL33flash_attn_stream_k_fixup_uniformILi256ELi2ELi1EEvPfPK15HIP_vector_typeIfLj2EEiiiiiiS1_IjLj3EES5_S5_,@function
_ZL33flash_attn_stream_k_fixup_uniformILi256ELi2ELi1EEvPfPK15HIP_vector_typeIfLj2EEiiiiiiS1_IjLj3EES5_S5_: ; @_ZL33flash_attn_stream_k_fixup_uniformILi256ELi2ELi1EEvPfPK15HIP_vector_typeIfLj2EEiiiiiiS1_IjLj3EES5_S5_
; %bb.0:
	s_clause 0x1
	s_load_b256 s[4:11], s[0:1], 0x1c
	s_load_b128 s[12:15], s[0:1], 0x3c
	s_wait_kmcnt 0x0
	s_mul_hi_u32 s2, s7, ttmp9
	s_delay_alu instid0(SALU_CYCLE_1) | instskip(NEXT) | instid1(SALU_CYCLE_1)
	s_add_co_i32 s2, ttmp9, s2
	s_lshr_b32 s2, s2, s8
	s_delay_alu instid0(SALU_CYCLE_1) | instskip(SKIP_2) | instid1(SALU_CYCLE_1)
	s_mul_i32 s3, s2, s9
	s_load_b64 s[8:9], s[0:1], 0x10
	s_sub_co_i32 s7, ttmp9, s3
	s_mul_hi_u32 s3, s7, s10
	s_delay_alu instid0(SALU_CYCLE_1) | instskip(NEXT) | instid1(SALU_CYCLE_1)
	s_add_co_i32 s3, s7, s3
	s_lshr_b32 s3, s3, s11
	s_delay_alu instid0(SALU_CYCLE_1) | instskip(NEXT) | instid1(SALU_CYCLE_1)
	s_mul_i32 s10, s3, s12
	s_sub_co_i32 s7, s7, s10
	s_delay_alu instid0(SALU_CYCLE_1) | instskip(NEXT) | instid1(SALU_CYCLE_1)
	s_mul_hi_u32 s10, s7, s13
	s_add_co_i32 s10, s7, s10
	s_delay_alu instid0(SALU_CYCLE_1) | instskip(NEXT) | instid1(SALU_CYCLE_1)
	s_lshr_b32 s11, s10, s14
	s_mul_i32 s10, s11, s15
	s_delay_alu instid0(SALU_CYCLE_1) | instskip(SKIP_2) | instid1(SALU_CYCLE_1)
	s_sub_co_i32 s12, s7, s10
	s_and_b32 s7, ttmp7, 0xffff
	s_lshl_b32 s10, s12, 1
	s_add_co_i32 s13, s10, s7
	s_lshr_b32 s10, ttmp7, 16
	s_wait_kmcnt 0x0
	s_cmp_lt_i32 s13, s8
	s_cselect_b32 s13, -1, 0
	s_add_co_i32 s14, s11, s10
	s_delay_alu instid0(SALU_CYCLE_1) | instskip(SKIP_1) | instid1(SALU_CYCLE_1)
	s_cmp_lt_i32 s14, s5
	s_cselect_b32 s14, -1, 0
	s_and_b32 s13, s13, s14
	s_delay_alu instid0(SALU_CYCLE_1)
	s_and_not1_b32 vcc_lo, exec_lo, s13
	s_cbranch_vccnz .LBB56_6
; %bb.1:
	s_mul_i32 s2, s2, s8
	s_mul_i32 s5, s3, s5
	s_add_co_i32 s2, s2, s7
	s_delay_alu instid0(SALU_CYCLE_1) | instskip(NEXT) | instid1(SALU_CYCLE_1)
	s_mul_i32 s2, s2, s9
	s_add_co_i32 s8, s2, s10
	s_load_b128 s[0:3], s[0:1], 0x0
	s_add_co_i32 s5, s8, s5
	s_mul_i32 s8, s9, s12
	s_add_co_i32 s5, s5, s11
	s_lshl_b32 s8, s8, 9
	s_lshl_b32 s5, s5, 8
	s_add_co_i32 s9, s7, s10
	s_add_co_i32 s8, s8, s5
	s_delay_alu instid0(SALU_CYCLE_1) | instskip(SKIP_3) | instid1(SALU_CYCLE_1)
	v_or_b32_e32 v1, s8, v0
	s_mul_i32 s8, s6, ttmp9
	s_wait_alu 0xfffe
	s_add_co_i32 s5, s8, s6
	s_add_co_i32 s7, s5, -2
	v_ashrrev_i32_e32 v2, 31, v1
	s_delay_alu instid0(VALU_DEP_1) | instskip(SKIP_1) | instid1(VALU_DEP_1)
	v_lshlrev_b64_e32 v[1:2], 2, v[1:2]
	s_wait_kmcnt 0x0
	v_add_co_u32 v1, vcc_lo, s0, v1
	s_delay_alu instid0(VALU_DEP_1)
	v_add_co_ci_u32_e64 v2, null, s1, v2, vcc_lo
	s_lshl_b32 s0, s5, 1
	s_wait_alu 0xfffe
	s_add_co_i32 s0, s9, s0
	global_load_b32 v5, v[1:2], off
	s_wait_alu 0xfffe
	s_add_co_i32 s0, s0, -2
	s_wait_alu 0xfffe
	s_ashr_i32 s1, s0, 31
	s_wait_alu 0xfffe
	s_lshl_b64 s[0:1], s[0:1], 3
	s_cmp_lt_i32 s7, s8
	s_wait_alu 0xfffe
	s_add_nc_u64 s[0:1], s[2:3], s[0:1]
	s_load_b32 s10, s[0:1], 0x4
	s_cbranch_scc1 .LBB56_4
; %bb.2:
	s_load_b32 s0, s[0:1], 0x0
	s_add_co_i32 s7, ttmp9, 1
	s_wait_kmcnt 0x0
	v_mov_b32_e32 v6, s10
	s_mul_i32 s1, s6, s7
	s_lshl_b32 s7, s9, 8
	s_wait_alu 0xfffe
	s_lshl_b32 s11, s1, 9
	s_lshl_b32 s6, s4, 3
	s_wait_alu 0xfffe
	s_add_co_i32 s11, s7, s11
	s_lshl_b32 s1, s1, 1
	s_wait_alu 0xfffe
	v_or_b32_e32 v0, s11, v0
	s_ashr_i32 s7, s6, 31
	s_add_co_i32 s1, s9, s1
	s_lshl_b32 s4, s4, 1
	s_lshl_b64 s[6:7], s[6:7], 2
	v_add_nc_u32_e32 v3, 0xfffffc00, v0
	s_wait_alu 0xfffe
	s_add_co_i32 s4, s1, s4
	s_add_nc_u64 s[6:7], s[2:3], s[6:7]
	s_add_co_i32 s1, s5, -1
	s_add_co_i32 s4, s4, -4
.LBB56_3:                               ; =>This Inner Loop Header: Depth=1
	v_ashrrev_i32_e32 v4, 31, v3
	s_ashr_i32 s5, s4, 31
	v_mov_b32_e32 v10, v6
	s_lshl_b64 s[10:11], s[4:5], 3
	s_wait_loadcnt 0x0
	v_mov_b32_e32 v9, v5
	v_lshlrev_b64_e32 v[7:8], 2, v[3:4]
	s_wait_alu 0xfffe
	s_add_nc_u64 s[10:11], s[2:3], s[10:11]
	v_max_num_f32_e64 v4, s0, s0
	s_load_b64 s[10:11], s[10:11], 0x0
	v_add_nc_u32_e32 v3, 0xfffffe00, v3
	v_add_co_u32 v7, vcc_lo, s6, v7
	s_wait_alu 0xfffd
	v_add_co_ci_u32_e64 v8, null, s7, v8, vcc_lo
	v_readfirstlane_b32 s5, v4
	global_load_b32 v0, v[7:8], off
	s_wait_kmcnt 0x0
	v_max_num_f32_e64 v4, s10, s10
	s_delay_alu instid0(VALU_DEP_1) | instskip(SKIP_1) | instid1(SALU_CYCLE_3)
	v_readfirstlane_b32 s9, v4
	s_max_num_f32 s5, s5, s9
	s_sub_f32 s0, s0, s5
	s_sub_f32 s9, s10, s5
	s_wait_alu 0xfffe
	s_delay_alu instid0(SALU_CYCLE_1) | instskip(NEXT) | instid1(SALU_CYCLE_1)
	s_mul_f32 s10, s0, 0x3fb8aa3b
	s_mul_f32 s12, s9, 0x3fb8aa3b
	s_wait_alu 0xfffe
	s_delay_alu instid0(SALU_CYCLE_1)
	s_xor_b32 s13, s10, 0x80000000
	s_rndne_f32 s14, s10
	s_fmamk_f32 s13, s0, 0x3fb8aa3b, s13
	s_cmp_nlt_f32 s0, 0xc2ce8ed0
	s_rndne_f32 s15, s12
	s_wait_alu 0xfffe
	s_sub_f32 s10, s10, s14
	s_fmamk_f32 s13, s0, 0x32a5705f, s13
	s_cvt_i32_f32 s14, s14
	s_cselect_b32 vcc_lo, -1, 0
	s_cmp_ngt_f32 s0, 0x42b17218
	s_wait_alu 0xfffe
	s_add_f32 s10, s10, s13
	s_sub_f32 s13, s12, s15
	s_wait_alu 0xfffe
	s_delay_alu instid0(SALU_CYCLE_1) | instskip(SKIP_1) | instid1(TRANS32_DEP_1)
	v_s_exp_f32 s10, s10
	s_wait_alu 0xf1ff
	v_ldexp_f32 v4, s10, s14
	s_cvt_i32_f32 s10, s15
	s_delay_alu instid0(VALU_DEP_1) | instskip(SKIP_3) | instid1(VALU_DEP_1)
	v_cndmask_b32_e32 v4, 0, v4, vcc_lo
	s_cselect_b32 vcc_lo, -1, 0
	s_cmp_ge_f32 s0, 0xc1a00000
	s_wait_alu 0xfffe
	v_cndmask_b32_e32 v4, 0x7f800000, v4, vcc_lo
	s_cselect_b32 vcc_lo, -1, 0
	s_xor_b32 s0, s12, 0x80000000
	s_cmp_nlt_f32 s9, 0xc2ce8ed0
	s_wait_alu 0xfffe
	s_fmamk_f32 s0, s9, 0x3fb8aa3b, s0
	s_wait_alu 0xfffe
	s_delay_alu instid0(SALU_CYCLE_2) | instskip(SKIP_1) | instid1(SALU_CYCLE_2)
	s_fmamk_f32 s0, s9, 0x32a5705f, s0
	s_wait_alu 0xfffe
	s_add_f32 s0, s13, s0
	s_wait_alu 0xfffe
	s_delay_alu instid0(SALU_CYCLE_2) | instskip(SKIP_1) | instid1(TRANS32_DEP_1)
	v_s_exp_f32 s0, s0
	s_wait_alu 0xf1ff
	v_ldexp_f32 v7, s0, s10
	s_cselect_b32 s0, -1, 0
	s_cmp_ngt_f32 s9, 0x42b17218
	s_wait_alu 0xfffe
	s_delay_alu instid0(VALU_DEP_1) | instskip(SKIP_3) | instid1(VALU_DEP_1)
	v_cndmask_b32_e64 v7, 0, v7, s0
	s_cselect_b32 s0, -1, 0
	s_cmp_ge_f32 s9, 0xc1a00000
	s_wait_alu 0xfffe
	v_cndmask_b32_e64 v7, 0x7f800000, v7, s0
	s_cselect_b32 s0, -1, 0
	s_add_co_i32 s1, s1, -1
	s_add_co_i32 s4, s4, -2
	s_wait_alu 0xfffe
	s_cmp_le_i32 s1, s8
	v_cndmask_b32_e64 v7, 0, v7, s0
	s_mov_b32 s0, s5
	s_wait_loadcnt 0x0
	s_delay_alu instid0(VALU_DEP_1) | instskip(NEXT) | instid1(VALU_DEP_1)
	v_dual_mul_f32 v5, v0, v7 :: v_dual_cndmask_b32 v4, 0, v4
	v_dual_mul_f32 v8, s11, v7 :: v_dual_fmac_f32 v5, v9, v4
	s_delay_alu instid0(VALU_DEP_1) | instskip(NEXT) | instid1(VALU_DEP_1)
	v_mov_b32_e32 v6, v8
	v_fmac_f32_e32 v6, v10, v4
	s_cbranch_scc0 .LBB56_3
	s_branch .LBB56_5
.LBB56_4:
	s_wait_kmcnt 0x0
	v_mov_b32_e32 v6, s10
.LBB56_5:
	s_wait_loadcnt 0x0
	s_delay_alu instid0(VALU_DEP_1) | instskip(NEXT) | instid1(VALU_DEP_1)
	v_div_scale_f32 v0, null, v6, v6, v5
	v_rcp_f32_e32 v3, v0
	s_delay_alu instid0(TRANS32_DEP_1) | instskip(NEXT) | instid1(VALU_DEP_1)
	v_fma_f32 v4, -v0, v3, 1.0
	v_fmac_f32_e32 v3, v4, v3
	v_div_scale_f32 v4, vcc_lo, v5, v6, v5
	s_delay_alu instid0(VALU_DEP_1) | instskip(NEXT) | instid1(VALU_DEP_1)
	v_mul_f32_e32 v7, v4, v3
	v_fma_f32 v8, -v0, v7, v4
	s_delay_alu instid0(VALU_DEP_1) | instskip(NEXT) | instid1(VALU_DEP_1)
	v_fmac_f32_e32 v7, v8, v3
	v_fma_f32 v0, -v0, v7, v4
	s_wait_alu 0xfffd
	s_delay_alu instid0(VALU_DEP_1) | instskip(NEXT) | instid1(VALU_DEP_1)
	v_div_fmas_f32 v0, v0, v3, v7
	v_div_fixup_f32 v0, v0, v6, v5
	global_store_b32 v[1:2], v0, off
.LBB56_6:
	s_endpgm
	.section	.rodata,"a",@progbits
	.p2align	6, 0x0
	.amdhsa_kernel _ZL33flash_attn_stream_k_fixup_uniformILi256ELi2ELi1EEvPfPK15HIP_vector_typeIfLj2EEiiiiiiS1_IjLj3EES5_S5_
		.amdhsa_group_segment_fixed_size 0
		.amdhsa_private_segment_fixed_size 0
		.amdhsa_kernarg_size 76
		.amdhsa_user_sgpr_count 2
		.amdhsa_user_sgpr_dispatch_ptr 0
		.amdhsa_user_sgpr_queue_ptr 0
		.amdhsa_user_sgpr_kernarg_segment_ptr 1
		.amdhsa_user_sgpr_dispatch_id 0
		.amdhsa_user_sgpr_private_segment_size 0
		.amdhsa_wavefront_size32 1
		.amdhsa_uses_dynamic_stack 0
		.amdhsa_enable_private_segment 0
		.amdhsa_system_sgpr_workgroup_id_x 1
		.amdhsa_system_sgpr_workgroup_id_y 1
		.amdhsa_system_sgpr_workgroup_id_z 1
		.amdhsa_system_sgpr_workgroup_info 0
		.amdhsa_system_vgpr_workitem_id 0
		.amdhsa_next_free_vgpr 11
		.amdhsa_next_free_sgpr 16
		.amdhsa_reserve_vcc 1
		.amdhsa_float_round_mode_32 0
		.amdhsa_float_round_mode_16_64 0
		.amdhsa_float_denorm_mode_32 3
		.amdhsa_float_denorm_mode_16_64 3
		.amdhsa_fp16_overflow 0
		.amdhsa_workgroup_processor_mode 1
		.amdhsa_memory_ordered 1
		.amdhsa_forward_progress 1
		.amdhsa_inst_pref_size 9
		.amdhsa_round_robin_scheduling 0
		.amdhsa_exception_fp_ieee_invalid_op 0
		.amdhsa_exception_fp_denorm_src 0
		.amdhsa_exception_fp_ieee_div_zero 0
		.amdhsa_exception_fp_ieee_overflow 0
		.amdhsa_exception_fp_ieee_underflow 0
		.amdhsa_exception_fp_ieee_inexact 0
		.amdhsa_exception_int_div_zero 0
	.end_amdhsa_kernel
	.section	.text._ZL33flash_attn_stream_k_fixup_uniformILi256ELi2ELi1EEvPfPK15HIP_vector_typeIfLj2EEiiiiiiS1_IjLj3EES5_S5_,"axG",@progbits,_ZL33flash_attn_stream_k_fixup_uniformILi256ELi2ELi1EEvPfPK15HIP_vector_typeIfLj2EEiiiiiiS1_IjLj3EES5_S5_,comdat
.Lfunc_end56:
	.size	_ZL33flash_attn_stream_k_fixup_uniformILi256ELi2ELi1EEvPfPK15HIP_vector_typeIfLj2EEiiiiiiS1_IjLj3EES5_S5_, .Lfunc_end56-_ZL33flash_attn_stream_k_fixup_uniformILi256ELi2ELi1EEvPfPK15HIP_vector_typeIfLj2EEiiiiiiS1_IjLj3EES5_S5_
                                        ; -- End function
	.set _ZL33flash_attn_stream_k_fixup_uniformILi256ELi2ELi1EEvPfPK15HIP_vector_typeIfLj2EEiiiiiiS1_IjLj3EES5_S5_.num_vgpr, 11
	.set _ZL33flash_attn_stream_k_fixup_uniformILi256ELi2ELi1EEvPfPK15HIP_vector_typeIfLj2EEiiiiiiS1_IjLj3EES5_S5_.num_agpr, 0
	.set _ZL33flash_attn_stream_k_fixup_uniformILi256ELi2ELi1EEvPfPK15HIP_vector_typeIfLj2EEiiiiiiS1_IjLj3EES5_S5_.numbered_sgpr, 16
	.set _ZL33flash_attn_stream_k_fixup_uniformILi256ELi2ELi1EEvPfPK15HIP_vector_typeIfLj2EEiiiiiiS1_IjLj3EES5_S5_.num_named_barrier, 0
	.set _ZL33flash_attn_stream_k_fixup_uniformILi256ELi2ELi1EEvPfPK15HIP_vector_typeIfLj2EEiiiiiiS1_IjLj3EES5_S5_.private_seg_size, 0
	.set _ZL33flash_attn_stream_k_fixup_uniformILi256ELi2ELi1EEvPfPK15HIP_vector_typeIfLj2EEiiiiiiS1_IjLj3EES5_S5_.uses_vcc, 1
	.set _ZL33flash_attn_stream_k_fixup_uniformILi256ELi2ELi1EEvPfPK15HIP_vector_typeIfLj2EEiiiiiiS1_IjLj3EES5_S5_.uses_flat_scratch, 0
	.set _ZL33flash_attn_stream_k_fixup_uniformILi256ELi2ELi1EEvPfPK15HIP_vector_typeIfLj2EEiiiiiiS1_IjLj3EES5_S5_.has_dyn_sized_stack, 0
	.set _ZL33flash_attn_stream_k_fixup_uniformILi256ELi2ELi1EEvPfPK15HIP_vector_typeIfLj2EEiiiiiiS1_IjLj3EES5_S5_.has_recursion, 0
	.set _ZL33flash_attn_stream_k_fixup_uniformILi256ELi2ELi1EEvPfPK15HIP_vector_typeIfLj2EEiiiiiiS1_IjLj3EES5_S5_.has_indirect_call, 0
	.section	.AMDGPU.csdata,"",@progbits
; Kernel info:
; codeLenInByte = 1120
; TotalNumSgprs: 18
; NumVgprs: 11
; ScratchSize: 0
; MemoryBound: 0
; FloatMode: 240
; IeeeMode: 1
; LDSByteSize: 0 bytes/workgroup (compile time only)
; SGPRBlocks: 0
; VGPRBlocks: 1
; NumSGPRsForWavesPerEU: 18
; NumVGPRsForWavesPerEU: 11
; Occupancy: 16
; WaveLimiterHint : 0
; COMPUTE_PGM_RSRC2:SCRATCH_EN: 0
; COMPUTE_PGM_RSRC2:USER_SGPR: 2
; COMPUTE_PGM_RSRC2:TRAP_HANDLER: 0
; COMPUTE_PGM_RSRC2:TGID_X_EN: 1
; COMPUTE_PGM_RSRC2:TGID_Y_EN: 1
; COMPUTE_PGM_RSRC2:TGID_Z_EN: 1
; COMPUTE_PGM_RSRC2:TIDIG_COMP_CNT: 0
	.section	.text._ZL33flash_attn_stream_k_fixup_generalILi256ELi2ELi1EEvPfPK15HIP_vector_typeIfLj2EEiiiiS1_IjLj3EES5_S5_S5_,"axG",@progbits,_ZL33flash_attn_stream_k_fixup_generalILi256ELi2ELi1EEvPfPK15HIP_vector_typeIfLj2EEiiiiS1_IjLj3EES5_S5_S5_,comdat
	.globl	_ZL33flash_attn_stream_k_fixup_generalILi256ELi2ELi1EEvPfPK15HIP_vector_typeIfLj2EEiiiiS1_IjLj3EES5_S5_S5_ ; -- Begin function _ZL33flash_attn_stream_k_fixup_generalILi256ELi2ELi1EEvPfPK15HIP_vector_typeIfLj2EEiiiiS1_IjLj3EES5_S5_S5_
	.p2align	8
	.type	_ZL33flash_attn_stream_k_fixup_generalILi256ELi2ELi1EEvPfPK15HIP_vector_typeIfLj2EEiiiiS1_IjLj3EES5_S5_S5_,@function
_ZL33flash_attn_stream_k_fixup_generalILi256ELi2ELi1EEvPfPK15HIP_vector_typeIfLj2EEiiiiS1_IjLj3EES5_S5_S5_: ; @_ZL33flash_attn_stream_k_fixup_generalILi256ELi2ELi1EEvPfPK15HIP_vector_typeIfLj2EEiiiiS1_IjLj3EES5_S5_S5_
; %bb.0:
	s_clause 0x1
	s_load_b128 s[4:7], s[0:1], 0x10
	s_load_b32 s16, s[0:1], 0x50
	s_mov_b32 s2, ttmp9
	s_ashr_i32 s3, ttmp9, 31
	s_mov_b32 s17, 0
	s_delay_alu instid0(SALU_CYCLE_1) | instskip(SKIP_3) | instid1(SALU_CYCLE_1)
	s_mov_b32 s8, s17
	s_wait_kmcnt 0x0
	s_ashr_i32 s19, s7, 31
	s_mov_b32 s18, s7
	s_mul_u64 s[2:3], s[18:19], s[2:3]
	s_delay_alu instid0(SALU_CYCLE_1) | instskip(NEXT) | instid1(SALU_CYCLE_1)
	s_mov_b32 s9, s3
	s_cmp_lg_u64 s[8:9], 0
	s_cbranch_scc0 .LBB57_21
; %bb.1:
	s_add_nc_u64 s[8:9], s[16:17], 0
	s_mov_b32 s15, s17
	s_xor_b64 s[8:9], s[8:9], 0
	s_mov_b32 s23, s17
	s_cvt_f32_u32 s7, s8
	s_cvt_f32_u32 s10, s9
	s_sub_nc_u64 s[12:13], 0, s[8:9]
	s_delay_alu instid0(SALU_CYCLE_2) | instskip(NEXT) | instid1(SALU_CYCLE_3)
	s_fmamk_f32 s7, s10, 0x4f800000, s7
	v_s_rcp_f32 s7, s7
	s_delay_alu instid0(TRANS32_DEP_1) | instskip(SKIP_1) | instid1(SALU_CYCLE_2)
	s_mul_f32 s7, s7, 0x5f7ffffc
	s_wait_alu 0xfffe
	s_mul_f32 s10, s7, 0x2f800000
	s_delay_alu instid0(SALU_CYCLE_3) | instskip(NEXT) | instid1(SALU_CYCLE_3)
	s_trunc_f32 s10, s10
	s_fmamk_f32 s7, s10, 0xcf800000, s7
	s_cvt_u32_f32 s11, s10
	s_wait_alu 0xfffe
	s_delay_alu instid0(SALU_CYCLE_1) | instskip(NEXT) | instid1(SALU_CYCLE_3)
	s_cvt_u32_f32 s10, s7
	s_mul_u64 s[20:21], s[12:13], s[10:11]
	s_delay_alu instid0(SALU_CYCLE_1)
	s_mul_hi_u32 s25, s10, s21
	s_mul_i32 s24, s10, s21
	s_mul_hi_u32 s14, s10, s20
	s_mul_i32 s22, s11, s20
	s_add_nc_u64 s[14:15], s[14:15], s[24:25]
	s_mul_hi_u32 s7, s11, s20
	s_mul_hi_u32 s26, s11, s21
	s_add_co_u32 s14, s14, s22
	s_wait_alu 0xfffe
	s_add_co_ci_u32 s22, s15, s7
	s_mul_i32 s20, s11, s21
	s_add_co_ci_u32 s21, s26, 0
	s_delay_alu instid0(SALU_CYCLE_1)
	s_add_nc_u64 s[14:15], s[22:23], s[20:21]
	s_mov_b32 s21, s17
	s_add_co_u32 s10, s10, s14
	s_cselect_b32 s7, -1, 0
	s_wait_alu 0xfffe
	s_cmp_lg_u32 s7, 0
	s_add_co_ci_u32 s11, s11, s15
	s_mov_b32 s15, s17
	s_mul_u64 s[12:13], s[12:13], s[10:11]
	s_delay_alu instid0(SALU_CYCLE_1)
	s_mul_hi_u32 s23, s10, s13
	s_mul_i32 s22, s10, s13
	s_mul_hi_u32 s14, s10, s12
	s_mul_i32 s20, s11, s12
	s_add_nc_u64 s[14:15], s[14:15], s[22:23]
	s_mul_hi_u32 s7, s11, s12
	s_mul_hi_u32 s24, s11, s13
	s_mul_i32 s12, s11, s13
	s_add_co_u32 s13, s14, s20
	s_wait_alu 0xfffe
	s_add_co_ci_u32 s20, s15, s7
	s_add_co_ci_u32 s13, s24, 0
	s_mov_b32 s15, s17
	s_add_nc_u64 s[12:13], s[20:21], s[12:13]
	s_delay_alu instid0(SALU_CYCLE_1) | instskip(SKIP_1) | instid1(SALU_CYCLE_1)
	s_add_co_u32 s7, s10, s12
	s_cselect_b32 s10, -1, 0
	s_cmp_lg_u32 s10, 0
	s_add_co_ci_u32 s20, s11, s13
	s_ashr_i32 s10, s3, 31
	s_delay_alu instid0(SALU_CYCLE_1) | instskip(NEXT) | instid1(SALU_CYCLE_1)
	s_mov_b32 s11, s10
	s_add_nc_u64 s[12:13], s[2:3], s[10:11]
	s_delay_alu instid0(SALU_CYCLE_1) | instskip(NEXT) | instid1(SALU_CYCLE_1)
	s_xor_b64 s[12:13], s[12:13], s[10:11]
	s_mul_hi_u32 s23, s12, s20
	s_mul_i32 s22, s12, s20
	s_wait_alu 0xfffe
	s_mul_hi_u32 s14, s12, s7
	s_mul_hi_u32 s24, s13, s7
	s_mul_i32 s7, s13, s7
	s_add_nc_u64 s[14:15], s[14:15], s[22:23]
	s_mul_hi_u32 s3, s13, s20
	s_wait_alu 0xfffe
	s_add_co_u32 s7, s14, s7
	s_mul_i32 s22, s13, s20
	s_add_co_ci_u32 s20, s15, s24
	s_add_co_ci_u32 s23, s3, 0
	s_delay_alu instid0(SALU_CYCLE_1) | instskip(NEXT) | instid1(SALU_CYCLE_1)
	s_add_nc_u64 s[14:15], s[20:21], s[22:23]
	s_mul_u64 s[20:21], s[8:9], s[14:15]
	s_delay_alu instid0(SALU_CYCLE_1)
	s_sub_co_u32 s3, s12, s20
	s_cselect_b32 s7, -1, 0
	s_sub_co_i32 s12, s13, s21
	s_wait_alu 0xfffe
	s_cmp_lg_u32 s7, 0
	s_sub_co_ci_u32 s12, s12, s9
	s_sub_co_u32 s20, s3, s8
	s_cselect_b32 s22, -1, 0
	s_delay_alu instid0(SALU_CYCLE_1) | instskip(SKIP_2) | instid1(SALU_CYCLE_1)
	s_cmp_lg_u32 s22, 0
	s_add_nc_u64 s[22:23], s[14:15], 1
	s_sub_co_ci_u32 s12, s12, 0
	s_cmp_ge_u32 s12, s9
	s_cselect_b32 s24, -1, 0
	s_cmp_ge_u32 s20, s8
	s_cselect_b32 s20, -1, 0
	s_cmp_eq_u32 s12, s9
	s_cselect_b32 s12, s20, s24
	s_add_nc_u64 s[24:25], s[14:15], 2
	s_cmp_lg_u32 s12, 0
	s_cselect_b32 s12, s24, s22
	s_cselect_b32 s20, s25, s23
	s_cmp_lg_u32 s7, 0
	s_sub_co_ci_u32 s7, s13, s21
	s_wait_alu 0xfffe
	s_cmp_ge_u32 s7, s9
	s_cselect_b32 s13, -1, 0
	s_cmp_ge_u32 s3, s8
	s_cselect_b32 s3, -1, 0
	s_cmp_eq_u32 s7, s9
	s_cselect_b32 s3, s3, s13
	s_delay_alu instid0(SALU_CYCLE_1) | instskip(SKIP_4) | instid1(SALU_CYCLE_1)
	s_cmp_lg_u32 s3, 0
	s_mov_b32 s3, s17
	s_cselect_b32 s9, s20, s15
	s_cselect_b32 s8, s12, s14
	s_xor_b64 s[10:11], s[10:11], 0
	s_xor_b64 s[8:9], s[8:9], s[10:11]
	s_delay_alu instid0(SALU_CYCLE_1)
	s_sub_nc_u64 s[20:21], s[8:9], s[10:11]
	s_and_not1_b32 vcc_lo, exec_lo, s3
	s_cbranch_vccnz .LBB57_3
.LBB57_2:
	v_cvt_f32_u32_e32 v1, s16
	s_sub_co_i32 s7, 0, s16
	s_delay_alu instid0(VALU_DEP_1) | instskip(NEXT) | instid1(TRANS32_DEP_1)
	v_rcp_iflag_f32_e32 v1, v1
	v_mul_f32_e32 v1, 0x4f7ffffe, v1
	s_delay_alu instid0(VALU_DEP_1) | instskip(NEXT) | instid1(VALU_DEP_1)
	v_cvt_u32_f32_e32 v1, v1
	v_readfirstlane_b32 s3, v1
	s_wait_alu 0xfffe
	s_mul_i32 s7, s7, s3
	s_wait_alu 0xfffe
	s_mul_hi_u32 s7, s3, s7
	s_wait_alu 0xfffe
	s_add_co_i32 s3, s3, s7
	s_delay_alu instid0(SALU_CYCLE_1) | instskip(NEXT) | instid1(SALU_CYCLE_1)
	s_mul_hi_u32 s3, s2, s3
	s_mul_i32 s7, s3, s16
	s_wait_alu 0xfffe
	s_sub_co_i32 s2, s2, s7
	s_add_co_i32 s7, s3, 1
	s_sub_co_i32 s8, s2, s16
	s_cmp_ge_u32 s2, s16
	s_wait_alu 0xfffe
	s_cselect_b32 s3, s7, s3
	s_cselect_b32 s2, s8, s2
	s_add_co_i32 s7, s3, 1
	s_cmp_ge_u32 s2, s16
	s_wait_alu 0xfffe
	s_cselect_b32 s20, s7, s3
.LBB57_3:
	s_add_co_i32 s2, ttmp9, 1
	s_mov_b32 s8, 0
	s_ashr_i32 s3, s2, 31
	s_delay_alu instid0(SALU_CYCLE_1) | instskip(NEXT) | instid1(SALU_CYCLE_1)
	s_mul_u64 s[2:3], s[18:19], s[2:3]
	s_mov_b32 s9, s3
	s_delay_alu instid0(SALU_CYCLE_1)
	s_cmp_lg_u64 s[8:9], 0
	s_cbranch_scc0 .LBB57_22
; %bb.4:
	s_add_nc_u64 s[10:11], s[16:17], 0
	s_mov_b32 s23, s8
	s_xor_b64 s[10:11], s[10:11], 0
	s_mov_b32 s27, s8
	s_cvt_f32_u32 s7, s10
	s_cvt_f32_u32 s9, s11
	s_sub_nc_u64 s[14:15], 0, s[10:11]
	s_wait_alu 0xfffe
	s_delay_alu instid0(SALU_CYCLE_1) | instskip(SKIP_1) | instid1(SALU_CYCLE_2)
	s_fmamk_f32 s7, s9, 0x4f800000, s7
	s_wait_alu 0xfffe
	v_s_rcp_f32 s7, s7
	s_delay_alu instid0(TRANS32_DEP_1) | instskip(SKIP_1) | instid1(SALU_CYCLE_2)
	s_mul_f32 s7, s7, 0x5f7ffffc
	s_wait_alu 0xfffe
	s_mul_f32 s9, s7, 0x2f800000
	s_delay_alu instid0(SALU_CYCLE_3) | instskip(NEXT) | instid1(SALU_CYCLE_3)
	s_trunc_f32 s9, s9
	s_fmamk_f32 s7, s9, 0xcf800000, s7
	s_cvt_u32_f32 s13, s9
	s_wait_alu 0xfffe
	s_delay_alu instid0(SALU_CYCLE_1) | instskip(NEXT) | instid1(SALU_CYCLE_3)
	s_cvt_u32_f32 s12, s7
	s_mul_u64 s[24:25], s[14:15], s[12:13]
	s_delay_alu instid0(SALU_CYCLE_1)
	s_mul_hi_u32 s29, s12, s25
	s_mul_i32 s28, s12, s25
	s_mul_hi_u32 s22, s12, s24
	s_mul_i32 s9, s13, s24
	s_add_nc_u64 s[22:23], s[22:23], s[28:29]
	s_mul_hi_u32 s7, s13, s24
	s_mul_hi_u32 s21, s13, s25
	s_add_co_u32 s9, s22, s9
	s_wait_alu 0xfffe
	s_add_co_ci_u32 s26, s23, s7
	s_mul_i32 s24, s13, s25
	s_add_co_ci_u32 s25, s21, 0
	s_delay_alu instid0(SALU_CYCLE_1)
	s_add_nc_u64 s[22:23], s[26:27], s[24:25]
	s_mov_b32 s25, s8
	s_add_co_u32 s12, s12, s22
	s_cselect_b32 s7, -1, 0
	s_wait_alu 0xfffe
	s_cmp_lg_u32 s7, 0
	s_add_co_ci_u32 s13, s13, s23
	s_mov_b32 s23, s8
	s_mul_u64 s[14:15], s[14:15], s[12:13]
	s_delay_alu instid0(SALU_CYCLE_1)
	s_mul_hi_u32 s27, s12, s15
	s_mul_i32 s26, s12, s15
	s_mul_hi_u32 s22, s12, s14
	s_mul_i32 s9, s13, s14
	s_add_nc_u64 s[22:23], s[22:23], s[26:27]
	s_mul_hi_u32 s7, s13, s14
	s_mul_hi_u32 s21, s13, s15
	s_add_co_u32 s9, s22, s9
	s_wait_alu 0xfffe
	s_add_co_ci_u32 s24, s23, s7
	s_mul_i32 s14, s13, s15
	s_add_co_ci_u32 s15, s21, 0
	s_mov_b32 s23, s8
	s_add_nc_u64 s[14:15], s[24:25], s[14:15]
	s_delay_alu instid0(SALU_CYCLE_1) | instskip(SKIP_1) | instid1(SALU_CYCLE_1)
	s_add_co_u32 s7, s12, s14
	s_cselect_b32 s9, -1, 0
	s_cmp_lg_u32 s9, 0
	s_add_co_ci_u32 s9, s13, s15
	s_ashr_i32 s12, s3, 31
	s_delay_alu instid0(SALU_CYCLE_1) | instskip(NEXT) | instid1(SALU_CYCLE_1)
	s_mov_b32 s13, s12
	s_add_nc_u64 s[14:15], s[2:3], s[12:13]
	s_delay_alu instid0(SALU_CYCLE_1) | instskip(NEXT) | instid1(SALU_CYCLE_1)
	s_xor_b64 s[14:15], s[14:15], s[12:13]
	s_mul_hi_u32 s27, s14, s9
	s_mul_i32 s26, s14, s9
	s_wait_alu 0xfffe
	s_mul_hi_u32 s22, s14, s7
	s_mul_hi_u32 s21, s15, s7
	s_mul_i32 s7, s15, s7
	s_add_nc_u64 s[22:23], s[22:23], s[26:27]
	s_mul_hi_u32 s3, s15, s9
	s_wait_alu 0xfffe
	s_add_co_u32 s7, s22, s7
	s_add_co_ci_u32 s24, s23, s21
	s_mul_i32 s26, s15, s9
	s_add_co_ci_u32 s27, s3, 0
	s_delay_alu instid0(SALU_CYCLE_1) | instskip(NEXT) | instid1(SALU_CYCLE_1)
	s_add_nc_u64 s[22:23], s[24:25], s[26:27]
	s_mul_u64 s[24:25], s[10:11], s[22:23]
	s_add_nc_u64 s[26:27], s[22:23], 1
	s_sub_co_u32 s3, s14, s24
	s_cselect_b32 s7, -1, 0
	s_sub_co_i32 s9, s15, s25
	s_wait_alu 0xfffe
	s_cmp_lg_u32 s7, 0
	s_add_nc_u64 s[28:29], s[22:23], 2
	s_sub_co_ci_u32 s9, s9, s11
	s_sub_co_u32 s14, s3, s10
	s_cselect_b32 s21, -1, 0
	s_delay_alu instid0(SALU_CYCLE_1) | instskip(SKIP_1) | instid1(SALU_CYCLE_1)
	s_cmp_lg_u32 s21, 0
	s_sub_co_ci_u32 s9, s9, 0
	s_cmp_ge_u32 s9, s11
	s_cselect_b32 s21, -1, 0
	s_cmp_ge_u32 s14, s10
	s_cselect_b32 s14, -1, 0
	s_cmp_eq_u32 s9, s11
	s_cselect_b32 s9, s14, s21
	s_delay_alu instid0(SALU_CYCLE_1)
	s_cmp_lg_u32 s9, 0
	s_cselect_b32 s9, s28, s26
	s_cselect_b32 s14, s29, s27
	s_cmp_lg_u32 s7, 0
	s_sub_co_ci_u32 s7, s15, s25
	s_wait_alu 0xfffe
	s_cmp_ge_u32 s7, s11
	s_cselect_b32 s15, -1, 0
	s_cmp_ge_u32 s3, s10
	s_cselect_b32 s3, -1, 0
	s_cmp_eq_u32 s7, s11
	s_cselect_b32 s3, s3, s15
	s_delay_alu instid0(SALU_CYCLE_1) | instskip(SKIP_3) | instid1(SALU_CYCLE_1)
	s_cmp_lg_u32 s3, 0
	s_cselect_b32 s11, s14, s23
	s_cselect_b32 s10, s9, s22
	s_xor_b64 s[12:13], s[12:13], 0
	s_xor_b64 s[10:11], s[10:11], s[12:13]
	s_delay_alu instid0(SALU_CYCLE_1)
	s_sub_nc_u64 s[10:11], s[10:11], s[12:13]
	s_load_b96 s[12:14], s[0:1], 0x44
	s_and_not1_b32 vcc_lo, exec_lo, s8
	s_cbranch_vccnz .LBB57_6
.LBB57_5:
	v_cvt_f32_u32_e32 v1, s16
	s_sub_co_i32 s7, 0, s16
	s_delay_alu instid0(VALU_DEP_1) | instskip(NEXT) | instid1(TRANS32_DEP_1)
	v_rcp_iflag_f32_e32 v1, v1
	v_mul_f32_e32 v1, 0x4f7ffffe, v1
	s_delay_alu instid0(VALU_DEP_1) | instskip(NEXT) | instid1(VALU_DEP_1)
	v_cvt_u32_f32_e32 v1, v1
	v_readfirstlane_b32 s3, v1
	s_wait_alu 0xfffe
	s_mul_i32 s7, s7, s3
	s_wait_alu 0xfffe
	s_mul_hi_u32 s7, s3, s7
	s_wait_alu 0xfffe
	s_add_co_i32 s3, s3, s7
	s_delay_alu instid0(SALU_CYCLE_1) | instskip(NEXT) | instid1(SALU_CYCLE_1)
	s_mul_hi_u32 s3, s2, s3
	s_mul_i32 s7, s3, s16
	s_wait_alu 0xfffe
	s_sub_co_i32 s2, s2, s7
	s_add_co_i32 s7, s3, 1
	s_sub_co_i32 s8, s2, s16
	s_cmp_ge_u32 s2, s16
	s_wait_alu 0xfffe
	s_cselect_b32 s3, s7, s3
	s_cselect_b32 s2, s8, s2
	s_add_co_i32 s7, s3, 1
	s_cmp_ge_u32 s2, s16
	s_wait_alu 0xfffe
	s_cselect_b32 s10, s7, s3
.LBB57_6:
	s_mov_b32 s21, 0
	s_wait_kmcnt 0x0
	s_mov_b32 s22, s12
	s_mov_b32 s23, s21
	s_cmp_eq_u32 s20, s10
	s_mul_u64 s[2:3], s[20:21], s[22:23]
	s_cselect_b32 s7, -1, 0
	s_add_co_i32 s2, s3, s20
	s_mov_b32 s11, s21
	s_lshr_b32 s12, s2, s13
	s_mul_u64 s[2:3], s[10:11], s[22:23]
	s_mul_i32 s2, s12, s14
	s_delay_alu instid0(SALU_CYCLE_1) | instskip(SKIP_2) | instid1(SALU_CYCLE_1)
	s_cmp_eq_u32 s2, s20
	s_cselect_b32 s2, -1, 0
	s_add_co_i32 s3, s3, s10
	s_lshr_b32 s3, s3, s13
	s_delay_alu instid0(SALU_CYCLE_1)
	s_cmp_eq_u32 s12, s3
	s_mul_i32 s3, s3, s14
	s_cselect_b32 s8, -1, 0
	s_cmp_lg_u32 s3, s10
	s_cselect_b32 s3, -1, 0
	s_wait_alu 0xfffe
	s_or_b32 s2, s7, s2
	s_and_b32 s3, s8, s3
	s_delay_alu instid0(SALU_CYCLE_1) | instskip(NEXT) | instid1(SALU_CYCLE_1)
	s_or_b32 s2, s2, s3
	s_and_b32 vcc_lo, exec_lo, s2
	s_cbranch_vccnz .LBB57_24
; %bb.7:
	s_load_b256 s[24:31], s[0:1], 0x20
	s_mov_b32 s3, s21
	s_and_b32 s15, ttmp7, 0xffff
	s_wait_kmcnt 0x0
	s_mov_b32 s2, s24
	s_delay_alu instid0(SALU_CYCLE_1) | instskip(NEXT) | instid1(SALU_CYCLE_1)
	s_mul_u64 s[2:3], s[20:21], s[2:3]
	s_add_co_i32 s2, s3, s20
	s_delay_alu instid0(SALU_CYCLE_1) | instskip(SKIP_4) | instid1(SALU_CYCLE_1)
	s_lshr_b32 s3, s2, s25
	s_load_b32 s2, s[0:1], 0x40
	s_mul_i32 s7, s3, s26
	s_wait_alu 0xfffe
	s_sub_co_i32 s8, s20, s7
	s_mul_hi_u32 s7, s8, s27
	s_wait_alu 0xfffe
	s_add_co_i32 s7, s8, s7
	s_wait_alu 0xfffe
	s_lshr_b32 s7, s7, s28
	s_wait_alu 0xfffe
	s_mul_i32 s9, s7, s29
	s_delay_alu instid0(SALU_CYCLE_1) | instskip(NEXT) | instid1(SALU_CYCLE_1)
	s_sub_co_i32 s8, s8, s9
	s_mul_hi_u32 s9, s8, s30
	s_delay_alu instid0(SALU_CYCLE_1) | instskip(NEXT) | instid1(SALU_CYCLE_1)
	s_add_co_i32 s9, s8, s9
	s_lshr_b32 s24, s9, s31
	s_mov_b32 s9, s21
	s_wait_kmcnt 0x0
	s_mul_i32 s2, s24, s2
	s_delay_alu instid0(SALU_CYCLE_1) | instskip(NEXT) | instid1(SALU_CYCLE_1)
	s_sub_co_i32 s8, s8, s2
	s_mul_u64 s[10:11], s[8:9], s[22:23]
	s_delay_alu instid0(SALU_CYCLE_1) | instskip(NEXT) | instid1(SALU_CYCLE_1)
	s_add_co_i32 s2, s8, s11
	s_lshr_b32 s21, s2, s13
	s_delay_alu instid0(SALU_CYCLE_1) | instskip(NEXT) | instid1(SALU_CYCLE_1)
	s_lshl_b32 s2, s21, 1
	s_add_co_i32 s8, s2, s15
	s_lshr_b32 s2, ttmp7, 16
	s_cmp_lt_i32 s8, s4
	s_cselect_b32 s8, -1, 0
	s_add_co_i32 s9, s24, s2
	s_delay_alu instid0(SALU_CYCLE_1) | instskip(SKIP_1) | instid1(SALU_CYCLE_1)
	s_cmp_lt_i32 s9, s6
	s_cselect_b32 s9, -1, 0
	s_and_b32 s8, s8, s9
	s_delay_alu instid0(SALU_CYCLE_1)
	s_and_not1_b32 vcc_lo, exec_lo, s8
	s_cbranch_vccnz .LBB57_24
; %bb.8:
	s_mul_i32 s3, s3, s4
	s_mul_i32 s7, s7, s6
	s_add_co_i32 s3, s3, s15
	s_load_b128 s[8:11], s[0:1], 0x0
	s_mul_i32 s3, s3, s5
	s_mul_i32 s1, s5, s21
	s_add_co_i32 s3, s3, s2
	s_lshl_b32 s1, s1, 9
	s_add_co_i32 s0, s3, s7
	s_add_co_i32 s15, s15, s2
	;; [unrolled: 1-line block ×3, first 2 shown]
	v_cvt_f32_u32_e32 v4, s16
	s_lshl_b32 s0, s0, 8
	s_add_co_i32 s34, ttmp9, -1
	s_add_co_i32 s1, s1, s0
	s_delay_alu instid0(VALU_DEP_1)
	v_rcp_iflag_f32_e32 v4, v4
	v_or_b32_e32 v1, s1, v0
	s_add_nc_u64 s[0:1], s[16:17], 0
	v_lshl_or_b32 v0, s15, 8, v0
	s_wait_alu 0xfffe
	s_xor_b64 s[6:7], s[0:1], 0
	s_lshl_b32 s0, ttmp9, 1
	v_ashrrev_i32_e32 v2, 31, v1
	s_wait_alu 0xfffe
	s_cvt_f32_u32 s1, s6
	s_cvt_f32_u32 s2, s7
	s_add_co_i32 s0, s0, s15
	s_sub_nc_u64 s[30:31], 0, s[6:7]
	v_lshlrev_b64_e32 v[1:2], 2, v[1:2]
	s_wait_alu 0xfffe
	s_fmamk_f32 s2, s2, 0x4f800000, s1
	s_ashr_i32 s1, s0, 31
	s_wait_alu 0xfffe
	s_lshl_b64 s[0:1], s[0:1], 3
	v_s_rcp_f32 s2, s2
	s_wait_kmcnt 0x0
	v_add_co_u32 v1, vcc_lo, s8, v1
	s_delay_alu instid0(VALU_DEP_1)
	v_add_co_ci_u32_e64 v2, null, s9, v2, vcc_lo
	s_wait_alu 0xfffe
	s_add_nc_u64 s[0:1], s[10:11], s[0:1]
	s_mov_b32 s8, 0
	s_load_b64 s[26:27], s[0:1], 0x0
	global_load_b32 v3, v[1:2], off
	s_mul_f32 s2, s2, 0x5f7ffffc
	v_mul_f32_e32 v4, 0x4f7ffffe, v4
	s_lshl_b32 s0, s16, 3
	s_wait_alu 0xfffe
	s_mul_f32 s1, s2, 0x2f800000
	s_wait_alu 0xfffe
	s_delay_alu instid0(SALU_CYCLE_2)
	s_trunc_f32 s3, s1
	s_mov_b32 s1, s8
	s_wait_alu 0xfffe
	s_lshl_b64 s[0:1], s[0:1], 2
	s_fmamk_f32 s2, s3, 0xcf800000, s2
	s_cvt_u32_f32 s29, s3
	s_wait_alu 0xfffe
	s_add_nc_u64 s[24:25], s[10:11], s[0:1]
	s_cvt_u32_f32 s28, s2
	s_wait_kmcnt 0x0
	v_mov_b32_e32 v5, s27
	v_cvt_u32_f32_e32 v4, v4
.LBB57_9:                               ; =>This Inner Loop Header: Depth=1
	s_wait_alu 0xfffe
	s_ashr_i32 s35, s34, 31
	s_mov_b32 s2, -1
	s_wait_alu 0xfffe
	s_mul_u64 s[0:1], s[34:35], s[18:19]
                                        ; implicit-def: $sgpr38_sgpr39
	s_wait_alu 0xfffe
	s_mov_b32 s9, s1
	s_wait_alu 0xfffe
	s_cmp_lg_u64 s[8:9], 0
	s_cbranch_scc0 .LBB57_11
; %bb.10:                               ;   in Loop: Header=BB57_9 Depth=1
	s_mul_u64 s[2:3], s[30:31], s[28:29]
	s_mov_b32 s37, s8
	s_wait_alu 0xfffe
	s_mul_hi_u32 s5, s28, s3
	s_mul_i32 s4, s28, s3
	s_mul_hi_u32 s36, s28, s2
	s_mul_hi_u32 s9, s29, s2
	s_wait_alu 0xfffe
	s_add_nc_u64 s[4:5], s[36:37], s[4:5]
	s_mul_i32 s2, s29, s2
	s_mul_hi_u32 s17, s29, s3
	s_wait_alu 0xfffe
	s_add_co_u32 s2, s4, s2
	s_add_co_ci_u32 s2, s5, s9
	s_add_co_ci_u32 s5, s17, 0
	s_mul_i32 s4, s29, s3
	s_mov_b32 s3, s8
	s_mov_b32 s39, s8
	s_wait_alu 0xfffe
	s_add_nc_u64 s[2:3], s[2:3], s[4:5]
	s_wait_alu 0xfffe
	s_add_co_u32 s2, s28, s2
	s_cselect_b32 s4, -1, 0
	s_wait_alu 0xfffe
	s_cmp_lg_u32 s4, 0
	s_add_co_ci_u32 s3, s29, s3
	s_wait_alu 0xfffe
	s_mul_u64 s[4:5], s[30:31], s[2:3]
	s_wait_alu 0xfffe
	s_mul_hi_u32 s37, s2, s5
	s_mul_i32 s36, s2, s5
	s_mul_hi_u32 s38, s2, s4
	s_mul_hi_u32 s9, s3, s4
	s_mul_i32 s4, s3, s4
	s_wait_alu 0xfffe
	s_add_nc_u64 s[36:37], s[38:39], s[36:37]
	s_mul_hi_u32 s17, s3, s5
	s_wait_alu 0xfffe
	s_add_co_u32 s4, s36, s4
	s_add_co_ci_u32 s4, s37, s9
	s_add_co_ci_u32 s37, s17, 0
	s_mul_i32 s36, s3, s5
	s_mov_b32 s5, s8
	s_wait_alu 0xfffe
	s_add_nc_u64 s[4:5], s[4:5], s[36:37]
	s_mov_b32 s37, s8
	s_wait_alu 0xfffe
	s_add_co_u32 s9, s2, s4
	s_cselect_b32 s2, -1, 0
	s_wait_alu 0xfffe
	s_cmp_lg_u32 s2, 0
	s_add_co_ci_u32 s17, s3, s5
	s_ashr_i32 s2, s1, 31
	s_wait_alu 0xfffe
	s_mov_b32 s3, s2
	s_wait_alu 0xfffe
	s_add_nc_u64 s[4:5], s[0:1], s[2:3]
	s_wait_alu 0xfffe
	s_xor_b64 s[4:5], s[4:5], s[2:3]
	s_wait_alu 0xfffe
	s_mul_hi_u32 s39, s4, s17
	s_mul_i32 s38, s4, s17
	s_mul_hi_u32 s36, s4, s9
	s_mul_i32 s21, s5, s9
	s_wait_alu 0xfffe
	s_add_nc_u64 s[36:37], s[36:37], s[38:39]
	s_mul_hi_u32 s9, s5, s9
	s_mul_hi_u32 s1, s5, s17
	s_wait_alu 0xfffe
	s_add_co_u32 s21, s36, s21
	s_add_co_ci_u32 s36, s37, s9
	s_add_co_ci_u32 s39, s1, 0
	s_mul_i32 s38, s5, s17
	s_mov_b32 s37, s8
	s_wait_alu 0xfffe
	s_add_nc_u64 s[36:37], s[36:37], s[38:39]
	s_wait_alu 0xfffe
	s_mul_u64 s[38:39], s[6:7], s[36:37]
	s_add_nc_u64 s[40:41], s[36:37], 1
	s_sub_co_u32 s1, s4, s38
	s_cselect_b32 s4, -1, 0
	s_sub_co_i32 s9, s5, s39
	s_wait_alu 0xfffe
	s_cmp_lg_u32 s4, 0
	s_add_nc_u64 s[42:43], s[36:37], 2
	s_sub_co_ci_u32 s9, s9, s7
	s_sub_co_u32 s17, s1, s6
	s_cselect_b32 s21, -1, 0
	s_delay_alu instid0(SALU_CYCLE_1)
	s_cmp_lg_u32 s21, 0
	s_wait_alu 0xfffe
	s_sub_co_ci_u32 s9, s9, 0
	s_wait_alu 0xfffe
	s_cmp_ge_u32 s9, s7
	s_cselect_b32 s21, -1, 0
	s_cmp_ge_u32 s17, s6
	s_cselect_b32 s17, -1, 0
	s_cmp_eq_u32 s9, s7
	s_wait_alu 0xfffe
	s_cselect_b32 s9, s17, s21
	s_wait_alu 0xfffe
	s_cmp_lg_u32 s9, 0
	s_cselect_b32 s9, s42, s40
	s_cselect_b32 s17, s43, s41
	s_cmp_lg_u32 s4, 0
	s_sub_co_ci_u32 s4, s5, s39
	s_wait_alu 0xfffe
	s_cmp_ge_u32 s4, s7
	s_cselect_b32 s5, -1, 0
	s_cmp_ge_u32 s1, s6
	s_cselect_b32 s1, -1, 0
	s_cmp_eq_u32 s4, s7
	s_wait_alu 0xfffe
	s_cselect_b32 s1, s1, s5
	s_wait_alu 0xfffe
	s_cmp_lg_u32 s1, 0
	s_cselect_b32 s5, s17, s37
	s_cselect_b32 s4, s9, s36
	s_xor_b64 s[2:3], s[2:3], 0
	s_wait_alu 0xfffe
	s_xor_b64 s[4:5], s[4:5], s[2:3]
	s_wait_alu 0xfffe
	s_sub_nc_u64 s[38:39], s[4:5], s[2:3]
	s_mov_b32 s2, 0
.LBB57_11:                              ;   in Loop: Header=BB57_9 Depth=1
	s_wait_alu 0xfffe
	s_and_not1_b32 vcc_lo, exec_lo, s2
	s_wait_alu 0xfffe
	s_cbranch_vccnz .LBB57_13
; %bb.12:                               ;   in Loop: Header=BB57_9 Depth=1
	v_readfirstlane_b32 s1, v4
	s_sub_co_i32 s2, 0, s16
	s_wait_alu 0xfffe
	s_mul_i32 s2, s2, s1
	s_wait_alu 0xfffe
	s_mul_hi_u32 s2, s1, s2
	s_wait_alu 0xfffe
	s_add_co_i32 s1, s1, s2
	s_wait_alu 0xfffe
	s_mul_hi_u32 s1, s0, s1
	s_wait_alu 0xfffe
	s_mul_i32 s2, s1, s16
	s_wait_alu 0xfffe
	s_sub_co_i32 s0, s0, s2
	s_add_co_i32 s2, s1, 1
	s_wait_alu 0xfffe
	s_sub_co_i32 s3, s0, s16
	s_cmp_ge_u32 s0, s16
	s_cselect_b32 s1, s2, s1
	s_wait_alu 0xfffe
	s_cselect_b32 s0, s3, s0
	s_add_co_i32 s2, s1, 1
	s_wait_alu 0xfffe
	s_cmp_ge_u32 s0, s16
	s_cselect_b32 s38, s2, s1
.LBB57_13:                              ;   in Loop: Header=BB57_9 Depth=1
	v_readfirstlane_b32 s9, v0
	s_cmp_lg_u32 s20, s38
	s_mov_b32 s0, -1
                                        ; implicit-def: $sgpr21
                                        ; implicit-def: $vgpr6
                                        ; implicit-def: $vgpr7
                                        ; implicit-def: $sgpr17
                                        ; implicit-def: $sgpr27
	s_cbranch_scc1 .LBB57_16
; %bb.14:                               ;   in Loop: Header=BB57_9 Depth=1
	s_wait_alu 0xfffe
	s_and_not1_b32 vcc_lo, exec_lo, s0
	s_wait_alu 0xfffe
	s_cbranch_vccz .LBB57_19
.LBB57_15:                              ;   in Loop: Header=BB57_9 Depth=1
	s_and_not1_b32 vcc_lo, exec_lo, s21
	s_wait_alu 0xfffe
	s_cbranch_vccnz .LBB57_20
	s_branch .LBB57_23
.LBB57_16:                              ;   in Loop: Header=BB57_9 Depth=1
	s_add_co_i32 s0, s34, s16
	s_mov_b32 s1, s8
	s_wait_alu 0xfffe
	s_lshl_b32 s0, s0, 1
	v_max_num_f32_e64 v6, s26, s26
	s_wait_alu 0xfffe
	s_add_co_i32 s0, s0, s15
	s_mov_b32 s39, s8
	s_wait_alu 0xfffe
	s_lshl_b64 s[0:1], s[0:1], 3
	s_mul_u64 s[40:41], s[38:39], s[22:23]
	s_wait_alu 0xfffe
	s_add_nc_u64 s[0:1], s[10:11], s[0:1]
	s_mov_b32 s27, s20
	s_load_b64 s[36:37], s[0:1], 0x0
	v_readfirstlane_b32 s0, v6
	s_wait_kmcnt 0x0
	v_max_num_f32_e64 v7, s36, s36
	s_delay_alu instid0(VALU_DEP_1) | instskip(SKIP_2) | instid1(SALU_CYCLE_2)
	v_readfirstlane_b32 s1, v7
	s_max_num_f32 s9, s0, s1
	s_wait_alu 0xfffe
	s_sub_f32 s33, s26, s9
	s_sub_f32 s35, s36, s9
	s_wait_alu 0xfffe
	s_delay_alu instid0(SALU_CYCLE_1)
	s_cmp_nlt_f32 s33, 0xc2ce8ed0
	s_cselect_b32 s0, -1, 0
	s_cmp_ngt_f32 s33, 0x42b17218
	s_cselect_b32 s1, -1, 0
	s_cmp_ge_f32 s33, 0xc1a00000
	s_cselect_b32 s2, -1, 0
	s_cmp_nlt_f32 s35, 0xc2ce8ed0
	s_cselect_b32 s3, -1, 0
	s_cmp_ngt_f32 s35, 0x42b17218
	s_cselect_b32 s4, -1, 0
	s_cmp_ge_f32 s35, 0xc1a00000
	s_cselect_b32 s5, -1, 0
	s_add_co_i32 s17, s41, s38
	s_wait_alu 0xfffe
	s_lshr_b32 s17, s17, s13
	s_wait_alu 0xfffe
	s_mul_i32 s21, s17, s14
	s_delay_alu instid0(SALU_CYCLE_1)
	s_cmp_eq_u32 s21, s38
	s_cselect_b32 s21, -1, 0
	s_cmp_lt_u32 s17, s12
	s_cselect_b32 s17, -1, 0
	s_wait_alu 0xfffe
	s_or_b32 s17, s17, s21
	s_mov_b32 s21, -1
	s_wait_alu 0xfffe
	s_and_b32 vcc_lo, exec_lo, s17
	s_mov_b32 s17, s34
	s_wait_alu 0xfffe
	s_cbranch_vccnz .LBB57_18
; %bb.17:                               ;   in Loop: Header=BB57_9 Depth=1
	s_add_co_i32 s17, s34, -1
	s_mov_b32 s21, 0
	s_mov_b32 s27, s38
.LBB57_18:                              ;   in Loop: Header=BB57_9 Depth=1
	v_lshl_add_u32 v6, s34, 9, v0
	s_mul_f32 s36, s35, 0x3fb8aa3b
	s_mul_f32 s38, s33, 0x3fb8aa3b
	s_wait_alu 0xfffe
	s_delay_alu instid0(SALU_CYCLE_1)
	s_xor_b32 s39, s36, 0x80000000
	v_ashrrev_i32_e32 v7, 31, v6
	s_rndne_f32 s40, s36
	s_fmamk_f32 s39, s35, 0x3fb8aa3b, s39
	s_xor_b32 s41, s38, 0x80000000
	s_rndne_f32 s42, s38
	v_lshlrev_b64_e32 v[6:7], 2, v[6:7]
	s_sub_f32 s36, s36, s40
	s_fmamk_f32 s35, s35, 0x32a5705f, s39
	s_fmamk_f32 s39, s33, 0x3fb8aa3b, s41
	s_sub_f32 s38, s38, s42
	s_delay_alu instid0(VALU_DEP_1)
	v_add_co_u32 v6, vcc_lo, s24, v6
	s_wait_alu 0xfffd
	v_add_co_ci_u32_e64 v7, null, s25, v7, vcc_lo
	s_wait_alu 0xfffe
	s_add_f32 s35, s36, s35
	s_fmamk_f32 s33, s33, 0x32a5705f, s39
	s_cvt_i32_f32 s36, s40
	global_load_b32 v6, v[6:7], off
	s_wait_alu 0xfffe
	v_s_exp_f32 s35, s35
	s_add_f32 s33, s38, s33
	s_wait_alu 0xfffe
	s_delay_alu instid0(SALU_CYCLE_2) | instskip(NEXT) | instid1(TRANS32_DEP_2)
	v_s_exp_f32 s33, s33
	v_ldexp_f32 v7, s35, s36
	s_cvt_i32_f32 s35, s42
	s_wait_alu 0xf1fe
	s_delay_alu instid0(TRANS32_DEP_1) | instid1(SALU_CYCLE_2)
	v_ldexp_f32 v8, s33, s35
	s_delay_alu instid0(VALU_DEP_2) | instskip(NEXT) | instid1(VALU_DEP_2)
	v_cndmask_b32_e64 v7, 0, v7, s3
	v_cndmask_b32_e64 v8, 0, v8, s0
	s_delay_alu instid0(VALU_DEP_2) | instskip(NEXT) | instid1(VALU_DEP_2)
	v_cndmask_b32_e64 v7, 0x7f800000, v7, s4
	v_cndmask_b32_e64 v8, 0x7f800000, v8, s1
	;; [unrolled: 3-line block ×3, first 2 shown]
	s_wait_loadcnt 0x0
	s_delay_alu instid0(VALU_DEP_2) | instskip(SKIP_1) | instid1(VALU_DEP_1)
	v_mul_f32_e32 v6, v6, v7
	v_mul_f32_e32 v7, s37, v7
	v_fmac_f32_e32 v7, v5, v8
	s_delay_alu instid0(VALU_DEP_3)
	v_fmac_f32_e32 v6, v3, v8
	s_cbranch_execnz .LBB57_15
.LBB57_19:                              ;   in Loop: Header=BB57_9 Depth=1
	s_wait_loadcnt 0x0
	v_dual_mov_b32 v7, v5 :: v_dual_mov_b32 v6, v3
	s_add_co_i32 s17, s34, -1
	s_mov_b32 s27, s20
	s_mov_b32 s9, s26
	s_cbranch_execz .LBB57_23
.LBB57_20:                              ;   in Loop: Header=BB57_9 Depth=1
	v_mov_b32_e32 v5, v7
	s_wait_loadcnt 0x0
	v_mov_b32_e32 v3, v6
	s_wait_alu 0xfffe
	s_mov_b32 s20, s27
	s_mov_b32 s34, s17
	;; [unrolled: 1-line block ×3, first 2 shown]
	s_branch .LBB57_9
.LBB57_21:
                                        ; implicit-def: $sgpr20_sgpr21
	s_branch .LBB57_2
.LBB57_22:
                                        ; implicit-def: $sgpr10_sgpr11
	s_load_b96 s[12:14], s[0:1], 0x44
	s_branch .LBB57_5
.LBB57_23:
	v_div_scale_f32 v0, null, v7, v7, v6
	s_wait_loadcnt 0x0
	s_delay_alu instid0(VALU_DEP_1) | instskip(NEXT) | instid1(TRANS32_DEP_1)
	v_rcp_f32_e32 v3, v0
	v_fma_f32 v4, -v0, v3, 1.0
	s_delay_alu instid0(VALU_DEP_1) | instskip(SKIP_1) | instid1(VALU_DEP_1)
	v_fmac_f32_e32 v3, v4, v3
	v_div_scale_f32 v4, vcc_lo, v6, v7, v6
	v_mul_f32_e32 v5, v4, v3
	s_delay_alu instid0(VALU_DEP_1) | instskip(NEXT) | instid1(VALU_DEP_1)
	v_fma_f32 v8, -v0, v5, v4
	v_fmac_f32_e32 v5, v8, v3
	s_delay_alu instid0(VALU_DEP_1) | instskip(SKIP_1) | instid1(VALU_DEP_1)
	v_fma_f32 v0, -v0, v5, v4
	s_wait_alu 0xfffd
	v_div_fmas_f32 v0, v0, v3, v5
	s_delay_alu instid0(VALU_DEP_1)
	v_div_fixup_f32 v0, v0, v7, v6
	global_store_b32 v[1:2], v0, off
.LBB57_24:
	s_endpgm
	.section	.rodata,"a",@progbits
	.p2align	6, 0x0
	.amdhsa_kernel _ZL33flash_attn_stream_k_fixup_generalILi256ELi2ELi1EEvPfPK15HIP_vector_typeIfLj2EEiiiiS1_IjLj3EES5_S5_S5_
		.amdhsa_group_segment_fixed_size 0
		.amdhsa_private_segment_fixed_size 0
		.amdhsa_kernarg_size 336
		.amdhsa_user_sgpr_count 2
		.amdhsa_user_sgpr_dispatch_ptr 0
		.amdhsa_user_sgpr_queue_ptr 0
		.amdhsa_user_sgpr_kernarg_segment_ptr 1
		.amdhsa_user_sgpr_dispatch_id 0
		.amdhsa_user_sgpr_private_segment_size 0
		.amdhsa_wavefront_size32 1
		.amdhsa_uses_dynamic_stack 0
		.amdhsa_enable_private_segment 0
		.amdhsa_system_sgpr_workgroup_id_x 1
		.amdhsa_system_sgpr_workgroup_id_y 1
		.amdhsa_system_sgpr_workgroup_id_z 1
		.amdhsa_system_sgpr_workgroup_info 0
		.amdhsa_system_vgpr_workitem_id 0
		.amdhsa_next_free_vgpr 9
		.amdhsa_next_free_sgpr 44
		.amdhsa_reserve_vcc 1
		.amdhsa_float_round_mode_32 0
		.amdhsa_float_round_mode_16_64 0
		.amdhsa_float_denorm_mode_32 3
		.amdhsa_float_denorm_mode_16_64 3
		.amdhsa_fp16_overflow 0
		.amdhsa_workgroup_processor_mode 1
		.amdhsa_memory_ordered 1
		.amdhsa_forward_progress 1
		.amdhsa_inst_pref_size 28
		.amdhsa_round_robin_scheduling 0
		.amdhsa_exception_fp_ieee_invalid_op 0
		.amdhsa_exception_fp_denorm_src 0
		.amdhsa_exception_fp_ieee_div_zero 0
		.amdhsa_exception_fp_ieee_overflow 0
		.amdhsa_exception_fp_ieee_underflow 0
		.amdhsa_exception_fp_ieee_inexact 0
		.amdhsa_exception_int_div_zero 0
	.end_amdhsa_kernel
	.section	.text._ZL33flash_attn_stream_k_fixup_generalILi256ELi2ELi1EEvPfPK15HIP_vector_typeIfLj2EEiiiiS1_IjLj3EES5_S5_S5_,"axG",@progbits,_ZL33flash_attn_stream_k_fixup_generalILi256ELi2ELi1EEvPfPK15HIP_vector_typeIfLj2EEiiiiS1_IjLj3EES5_S5_S5_,comdat
.Lfunc_end57:
	.size	_ZL33flash_attn_stream_k_fixup_generalILi256ELi2ELi1EEvPfPK15HIP_vector_typeIfLj2EEiiiiS1_IjLj3EES5_S5_S5_, .Lfunc_end57-_ZL33flash_attn_stream_k_fixup_generalILi256ELi2ELi1EEvPfPK15HIP_vector_typeIfLj2EEiiiiS1_IjLj3EES5_S5_S5_
                                        ; -- End function
	.set _ZL33flash_attn_stream_k_fixup_generalILi256ELi2ELi1EEvPfPK15HIP_vector_typeIfLj2EEiiiiS1_IjLj3EES5_S5_S5_.num_vgpr, 9
	.set _ZL33flash_attn_stream_k_fixup_generalILi256ELi2ELi1EEvPfPK15HIP_vector_typeIfLj2EEiiiiS1_IjLj3EES5_S5_S5_.num_agpr, 0
	.set _ZL33flash_attn_stream_k_fixup_generalILi256ELi2ELi1EEvPfPK15HIP_vector_typeIfLj2EEiiiiS1_IjLj3EES5_S5_S5_.numbered_sgpr, 44
	.set _ZL33flash_attn_stream_k_fixup_generalILi256ELi2ELi1EEvPfPK15HIP_vector_typeIfLj2EEiiiiS1_IjLj3EES5_S5_S5_.num_named_barrier, 0
	.set _ZL33flash_attn_stream_k_fixup_generalILi256ELi2ELi1EEvPfPK15HIP_vector_typeIfLj2EEiiiiS1_IjLj3EES5_S5_S5_.private_seg_size, 0
	.set _ZL33flash_attn_stream_k_fixup_generalILi256ELi2ELi1EEvPfPK15HIP_vector_typeIfLj2EEiiiiS1_IjLj3EES5_S5_S5_.uses_vcc, 1
	.set _ZL33flash_attn_stream_k_fixup_generalILi256ELi2ELi1EEvPfPK15HIP_vector_typeIfLj2EEiiiiS1_IjLj3EES5_S5_S5_.uses_flat_scratch, 0
	.set _ZL33flash_attn_stream_k_fixup_generalILi256ELi2ELi1EEvPfPK15HIP_vector_typeIfLj2EEiiiiS1_IjLj3EES5_S5_S5_.has_dyn_sized_stack, 0
	.set _ZL33flash_attn_stream_k_fixup_generalILi256ELi2ELi1EEvPfPK15HIP_vector_typeIfLj2EEiiiiS1_IjLj3EES5_S5_S5_.has_recursion, 0
	.set _ZL33flash_attn_stream_k_fixup_generalILi256ELi2ELi1EEvPfPK15HIP_vector_typeIfLj2EEiiiiS1_IjLj3EES5_S5_S5_.has_indirect_call, 0
	.section	.AMDGPU.csdata,"",@progbits
; Kernel info:
; codeLenInByte = 3556
; TotalNumSgprs: 46
; NumVgprs: 9
; ScratchSize: 0
; MemoryBound: 0
; FloatMode: 240
; IeeeMode: 1
; LDSByteSize: 0 bytes/workgroup (compile time only)
; SGPRBlocks: 0
; VGPRBlocks: 1
; NumSGPRsForWavesPerEU: 46
; NumVGPRsForWavesPerEU: 9
; Occupancy: 16
; WaveLimiterHint : 0
; COMPUTE_PGM_RSRC2:SCRATCH_EN: 0
; COMPUTE_PGM_RSRC2:USER_SGPR: 2
; COMPUTE_PGM_RSRC2:TRAP_HANDLER: 0
; COMPUTE_PGM_RSRC2:TGID_X_EN: 1
; COMPUTE_PGM_RSRC2:TGID_Y_EN: 1
; COMPUTE_PGM_RSRC2:TGID_Z_EN: 1
; COMPUTE_PGM_RSRC2:TIDIG_COMP_CNT: 0
	.section	.text._ZL15flash_attn_tileILi256ELi256ELi4ELi8ELb1EEvPKcS1_S1_S1_S1_PKiPfP15HIP_vector_typeIfLj2EEffffjfiS5_IjLj3EEiiiiiiiiiiiliiliiiiil,"axG",@progbits,_ZL15flash_attn_tileILi256ELi256ELi4ELi8ELb1EEvPKcS1_S1_S1_S1_PKiPfP15HIP_vector_typeIfLj2EEffffjfiS5_IjLj3EEiiiiiiiiiiiliiliiiiil,comdat
	.globl	_ZL15flash_attn_tileILi256ELi256ELi4ELi8ELb1EEvPKcS1_S1_S1_S1_PKiPfP15HIP_vector_typeIfLj2EEffffjfiS5_IjLj3EEiiiiiiiiiiiliiliiiiil ; -- Begin function _ZL15flash_attn_tileILi256ELi256ELi4ELi8ELb1EEvPKcS1_S1_S1_S1_PKiPfP15HIP_vector_typeIfLj2EEffffjfiS5_IjLj3EEiiiiiiiiiiiliiliiiiil
	.p2align	8
	.type	_ZL15flash_attn_tileILi256ELi256ELi4ELi8ELb1EEvPKcS1_S1_S1_S1_PKiPfP15HIP_vector_typeIfLj2EEffffjfiS5_IjLj3EEiiiiiiiiiiiliiliiiiil,@function
_ZL15flash_attn_tileILi256ELi256ELi4ELi8ELb1EEvPKcS1_S1_S1_S1_PKiPfP15HIP_vector_typeIfLj2EEffffjfiS5_IjLj3EEiiiiiiiiiiiliiliiiiil: ; @_ZL15flash_attn_tileILi256ELi256ELi4ELi8ELb1EEvPKcS1_S1_S1_S1_PKiPfP15HIP_vector_typeIfLj2EEffffjfiS5_IjLj3EEiiiiiiiiiiiliiliiiiil
; %bb.0:
	s_clause 0x1
	s_load_b128 s[20:23], s[0:1], 0x5c
	s_load_b64 s[28:29], s[0:1], 0x80
	s_lshr_b32 s5, ttmp7, 16
	s_load_b64 s[36:37], s[0:1], 0xb8
	s_mov_b32 s35, 0
	s_mov_b64 s[30:31], 0
	s_wait_kmcnt 0x0
	s_ashr_i32 s2, s23, 31
	s_delay_alu instid0(SALU_CYCLE_1) | instskip(NEXT) | instid1(SALU_CYCLE_1)
	s_lshr_b32 s2, s2, 29
	s_add_co_i32 s2, s23, s2
	s_delay_alu instid0(SALU_CYCLE_1) | instskip(NEXT) | instid1(SALU_CYCLE_1)
	s_ashr_i32 s2, s2, 3
	s_cvt_f32_u32 s3, s2
	s_sub_co_i32 s4, 0, s2
	s_delay_alu instid0(SALU_CYCLE_2) | instskip(NEXT) | instid1(TRANS32_DEP_1)
	v_rcp_iflag_f32_e32 v1, s3
	v_readfirstlane_b32 s3, v1
	s_mul_f32 s3, s3, 0x4f7ffffe
	s_wait_alu 0xfffe
	s_delay_alu instid0(SALU_CYCLE_2) | instskip(SKIP_1) | instid1(SALU_CYCLE_2)
	s_cvt_u32_f32 s3, s3
	s_wait_alu 0xfffe
	s_mul_i32 s4, s4, s3
	s_delay_alu instid0(SALU_CYCLE_1) | instskip(NEXT) | instid1(SALU_CYCLE_1)
	s_mul_hi_u32 s4, s3, s4
	s_add_co_i32 s3, s3, s4
	s_wait_alu 0xfffe
	s_mul_hi_u32 s3, s5, s3
	s_wait_alu 0xfffe
	s_mul_i32 s4, s3, s2
	s_add_co_i32 s6, s3, 1
	s_sub_co_i32 s4, s5, s4
	s_delay_alu instid0(SALU_CYCLE_1)
	s_sub_co_i32 s7, s4, s2
	s_cmp_ge_u32 s4, s2
	s_cselect_b32 s3, s6, s3
	s_cselect_b32 s4, s7, s4
	s_wait_alu 0xfffe
	s_add_co_i32 s6, s3, 1
	s_cmp_ge_u32 s4, s2
	s_cselect_b32 s2, s6, s3
	s_abs_i32 s3, s29
	s_abs_i32 s8, s23
	s_wait_alu 0xfffe
	s_cvt_f32_u32 s4, s3
	s_sub_co_i32 s6, 0, s3
	s_lshl_b32 s5, s5, 3
	s_mul_i32 s7, s2, s23
	v_rcp_iflag_f32_e32 v1, s4
	s_sub_co_i32 s33, s5, s7
	s_xor_b32 s5, s23, s29
	s_wait_alu 0xfffe
	s_ashr_i32 s24, s5, 31
	s_delay_alu instid0(TRANS32_DEP_1) | instskip(SKIP_2) | instid1(SALU_CYCLE_2)
	v_readfirstlane_b32 s4, v1
	s_mul_f32 s4, s4, 0x4f7ffffe
	s_wait_alu 0xfffe
	s_cvt_u32_f32 s4, s4
	s_wait_alu 0xfffe
	s_delay_alu instid0(SALU_CYCLE_2) | instskip(NEXT) | instid1(SALU_CYCLE_1)
	s_mul_i32 s6, s6, s4
	s_mul_hi_u32 s6, s4, s6
	s_delay_alu instid0(SALU_CYCLE_1) | instskip(SKIP_4) | instid1(SALU_CYCLE_1)
	s_add_co_i32 s4, s4, s6
	s_wait_alu 0xfffe
	s_mul_hi_u32 s4, s8, s4
	s_wait_alu 0xfffe
	s_mul_i32 s6, s4, s3
	s_sub_co_i32 s5, s8, s6
	s_add_co_i32 s6, s4, 1
	s_wait_alu 0xfffe
	s_sub_co_i32 s7, s5, s3
	s_cmp_ge_u32 s5, s3
	s_cselect_b32 s4, s6, s4
	s_cselect_b32 s5, s7, s5
	s_wait_alu 0xfffe
	s_add_co_i32 s6, s4, 1
	s_cmp_ge_u32 s5, s3
	s_cselect_b32 s3, s6, s4
	s_load_b512 s[4:19], s[0:1], 0x0
	s_xor_b32 s3, s3, s24
	s_wait_alu 0xfffe
	s_sub_co_i32 s38, s3, s24
	s_delay_alu instid0(SALU_CYCLE_1) | instskip(NEXT) | instid1(SALU_CYCLE_1)
	s_abs_i32 s29, s38
	s_cvt_f32_u32 s3, s29
	s_wait_alu 0xfffe
	s_delay_alu instid0(SALU_CYCLE_2) | instskip(SKIP_2) | instid1(TRANS32_DEP_1)
	v_rcp_iflag_f32_e32 v1, s3
	s_wait_kmcnt 0x0
	s_cmp_eq_u64 s[10:11], 0
	v_readfirstlane_b32 s27, v1
	s_cbranch_scc1 .LBB58_2
; %bb.1:
	s_abs_i32 s3, s36
	s_wait_alu 0xfffe
	s_cvt_f32_u32 s24, s3
	s_delay_alu instid0(SALU_CYCLE_3) | instskip(NEXT) | instid1(TRANS32_DEP_1)
	v_rcp_iflag_f32_e32 v1, s24
	v_readfirstlane_b32 s24, v1
	s_mul_f32 s24, s24, 0x4f7ffffe
	s_wait_alu 0xfffe
	s_delay_alu instid0(SALU_CYCLE_2) | instskip(SKIP_2) | instid1(SALU_CYCLE_1)
	s_cvt_u32_f32 s26, s24
	s_sub_co_i32 s24, 0, s3
	s_wait_alu 0xfffe
	s_mul_i32 s24, s24, s26
	s_wait_alu 0xfffe
	s_mul_hi_u32 s30, s26, s24
	s_load_b64 s[24:25], s[0:1], 0xc8
	s_add_co_i32 s26, s26, s30
	s_delay_alu instid0(SALU_CYCLE_1) | instskip(NEXT) | instid1(SALU_CYCLE_1)
	s_mul_hi_u32 s26, s2, s26
	s_mul_i32 s26, s26, s3
	s_delay_alu instid0(SALU_CYCLE_1) | instskip(NEXT) | instid1(SALU_CYCLE_1)
	s_sub_co_i32 s26, s2, s26
	s_sub_co_i32 s30, s26, s3
	s_cmp_ge_u32 s26, s3
	s_cselect_b32 s26, s30, s26
	s_delay_alu instid0(SALU_CYCLE_1) | instskip(SKIP_2) | instid1(SALU_CYCLE_1)
	s_sub_co_i32 s30, s26, s3
	s_cmp_ge_u32 s26, s3
	s_cselect_b32 s30, s30, s26
	s_ashr_i32 s31, s30, 31
	s_wait_kmcnt 0x0
	s_mul_u64 s[24:25], s[24:25], s[30:31]
	s_wait_alu 0xfffe
	s_add_nc_u64 s[30:31], s[10:11], s[24:25]
.LBB58_2:
	v_lshrrev_b32_e32 v1, 10, v0
	s_load_b96 s[24:26], s[0:1], 0x70
	v_and_b32_e32 v13, 0x3ff, v0
	s_delay_alu instid0(VALU_DEP_2) | instskip(NEXT) | instid1(VALU_DEP_1)
	v_bfe_u32 v1, v1, 1, 9
	v_lshl_add_u32 v12, ttmp9, 2, v1
	v_bfe_u32 v1, v0, 10, 10
	s_delay_alu instid0(VALU_DEP_2) | instskip(NEXT) | instid1(VALU_DEP_2)
	v_mul_hi_u32 v2, s20, v12
	v_lshlrev_b32_e32 v0, 2, v1
	s_delay_alu instid0(VALU_DEP_1) | instskip(SKIP_2) | instid1(VALU_DEP_3)
	v_or_b32_e32 v43, 3, v0
	s_wait_kmcnt 0x0
	s_mov_b32 s20, s25
	v_add_nc_u32_e32 v2, v12, v2
	v_or_b32_e32 v28, 1, v0
	v_or_b32_e32 v42, 2, v0
	v_and_b32_e32 v17, 7, v43
	s_mul_i32 s10, s33, s25
	v_lshrrev_b32_e32 v2, s21, v2
	s_ashr_i32 s21, s25, 31
	s_ashr_i32 s25, s24, 31
	s_wait_alu 0xfffe
	s_lshr_b64 s[42:43], s[20:21], 2
	s_lshr_b64 s[40:41], s[24:25], 2
	v_mul_lo_u32 v2, v2, s22
	v_mad_co_u64_u32 v[18:19], null, s42, v17, 0
	v_and_b32_e32 v29, 4, v0
	v_and_b32_e32 v14, 5, v28
	;; [unrolled: 1-line block ×3, first 2 shown]
	s_lshr_b32 s3, s25, 2
	s_lshr_b32 s20, s21, 2
	v_sub_nc_u32_e32 v0, v12, v2
	v_mad_co_u64_u32 v[4:5], null, s42, v29, 0
	v_mad_co_u64_u32 v[9:10], null, s42, v16, 0
	s_delay_alu instid0(VALU_DEP_3)
	v_mad_co_u64_u32 v[2:3], null, s40, v0, 0
	s_mul_i32 s40, s2, s26
	s_ashr_i32 s11, s10, 31
	s_wait_alu 0xfffe
	s_ashr_i32 s41, s40, 31
	s_cmp_eq_u64 s[14:15], 0
	s_wait_alu 0xfffe
	s_add_nc_u64 s[4:5], s[4:5], s[40:41]
	s_wait_alu 0xfffe
	s_add_nc_u64 s[4:5], s[4:5], s[10:11]
	v_mad_co_u64_u32 v[6:7], null, s3, v0, v[3:4]
	v_mad_co_u64_u32 v[7:8], null, s42, v14, 0
	s_load_b32 s3, s[0:1], 0x40
	v_dual_mov_b32 v3, v6 :: v_dual_mov_b32 v6, v8
	v_dual_mov_b32 v8, v10 :: v_dual_lshlrev_b32 v11, 4, v13
	v_mov_b32_e32 v10, v19
	v_mul_lo_u32 v15, s20, v29
	s_delay_alu instid0(VALU_DEP_4) | instskip(NEXT) | instid1(VALU_DEP_2)
	v_lshlrev_b64_e32 v[2:3], 2, v[2:3]
	v_or_b32_e32 v5, v5, v15
	v_mad_co_u64_u32 v[14:15], null, s20, v14, v[6:7]
	s_delay_alu instid0(VALU_DEP_3) | instskip(NEXT) | instid1(VALU_DEP_1)
	v_add_co_u32 v6, vcc_lo, s4, v2
	v_add_co_ci_u32_e64 v15, null, s5, v3, vcc_lo
	v_mad_co_u64_u32 v[2:3], null, s20, v16, v[8:9]
	s_delay_alu instid0(VALU_DEP_3)
	v_add_co_u32 v11, vcc_lo, v6, v11
	v_mov_b32_e32 v8, v14
	v_lshlrev_b64_e32 v[4:5], 2, v[4:5]
	s_wait_alu 0xfffd
	v_add_co_ci_u32_e64 v32, null, 0, v15, vcc_lo
	v_mad_co_u64_u32 v[16:17], null, s20, v17, v[10:11]
	v_mov_b32_e32 v10, v2
	v_lshlrev_b64_e32 v[7:8], 2, v[7:8]
	v_add_co_u32 v14, vcc_lo, v11, v4
	s_wait_alu 0xfffd
	v_add_co_ci_u32_e64 v15, null, v32, v5, vcc_lo
	v_mov_b32_e32 v19, v16
	v_lshlrev_b64_e32 v[22:23], 2, v[9:10]
	v_add_co_u32 v20, vcc_lo, v11, v7
	s_wait_alu 0xfffd
	v_add_co_ci_u32_e64 v21, null, v32, v8, vcc_lo
	v_lshlrev_b64_e32 v[30:31], 2, v[18:19]
	s_delay_alu instid0(VALU_DEP_4)
	v_add_co_u32 v26, vcc_lo, v11, v22
	s_wait_alu 0xfffd
	v_add_co_ci_u32_e64 v27, null, v32, v23, vcc_lo
	s_clause 0x1
	global_load_b128 v[3:6], v[14:15], off
	global_load_b128 v[7:10], v[14:15], off offset:512
	v_add_co_u32 v38, vcc_lo, v11, v30
	s_wait_alu 0xfffd
	v_add_co_ci_u32_e64 v39, null, v32, v31, vcc_lo
	s_clause 0x5
	global_load_b128 v[14:17], v[20:21], off
	global_load_b128 v[18:21], v[20:21], off offset:512
	global_load_b128 v[22:25], v[26:27], off
	global_load_b128 v[30:33], v[26:27], off offset:512
	;; [unrolled: 2-line block ×3, first 2 shown]
	v_lshlrev_b32_e32 v11, 3, v13
	v_lshlrev_b32_e32 v2, 11, v1
	s_delay_alu instid0(VALU_DEP_2) | instskip(NEXT) | instid1(VALU_DEP_1)
	v_add_nc_u32_e32 v26, 0x4400, v11
	v_add_nc_u32_e32 v27, v26, v2
	v_lshl_add_u32 v28, v28, 9, v26
	v_lshl_add_u32 v42, v42, 9, v26
	;; [unrolled: 1-line block ×3, first 2 shown]
	s_wait_loadcnt 0x7
	s_wait_kmcnt 0x0
	v_fma_mixlo_f16 v3, s3, v3, 0
	v_fma_mixlo_f16 v4, s3, v4, 0
	;; [unrolled: 1-line block ×4, first 2 shown]
	s_wait_loadcnt 0x6
	v_fma_mixlo_f16 v7, s3, v7, 0
	v_fma_mixlo_f16 v8, s3, v8, 0
	v_fma_mixlo_f16 v9, s3, v9, 0
	v_fma_mixlo_f16 v10, s3, v10, 0
	s_wait_loadcnt 0x5
	v_fma_mixlo_f16 v14, s3, v14, 0
	v_fma_mixlo_f16 v15, s3, v15, 0
	s_wait_loadcnt 0x4
	v_fma_mixlo_f16 v18, s3, v18, 0
	v_fma_mixlo_f16 v19, s3, v19, 0
	v_fma_mixlo_f16 v16, s3, v16, 0
	v_fma_mixlo_f16 v17, s3, v17, 0
	s_wait_loadcnt 0x3
	v_fma_mixlo_f16 v22, s3, v22, 0
	v_fma_mixlo_f16 v23, s3, v23, 0
	s_wait_loadcnt 0x2
	v_fma_mixlo_f16 v30, s3, v30, 0
	v_fma_mixlo_f16 v31, s3, v31, 0
	v_fma_mixlo_f16 v20, s3, v20, 0
	v_fma_mixlo_f16 v21, s3, v21, 0
	s_wait_loadcnt 0x1
	v_fma_mixlo_f16 v34, s3, v34, 0
	v_fma_mixlo_f16 v35, s3, v35, 0
	s_wait_loadcnt 0x0
	v_fma_mixlo_f16 v38, s3, v38, 0
	v_fma_mixlo_f16 v39, s3, v39, 0
	v_lshlrev_b32_e32 v4, 16, v4
	v_and_b32_e32 v3, 0xffff, v3
	v_lshlrev_b32_e32 v6, 16, v6
	v_and_b32_e32 v5, 0xffff, v5
	;; [unrolled: 2-line block ×6, first 2 shown]
	v_fma_mixlo_f16 v24, s3, v24, 0
	v_fma_mixlo_f16 v25, s3, v25, 0
	;; [unrolled: 1-line block ×4, first 2 shown]
	v_lshlrev_b32_e32 v17, 16, v17
	v_and_b32_e32 v16, 0xffff, v16
	v_lshlrev_b32_e32 v23, 16, v23
	v_and_b32_e32 v22, 0xffff, v22
	;; [unrolled: 2-line block ×3, first 2 shown]
	v_fma_mixlo_f16 v36, s3, v36, 0
	v_fma_mixlo_f16 v37, s3, v37, 0
	v_fma_mixlo_f16 v40, s3, v40, 0
	v_fma_mixlo_f16 v41, s3, v41, 0
	v_lshlrev_b32_e32 v21, 16, v21
	v_and_b32_e32 v20, 0xffff, v20
	v_lshlrev_b32_e32 v35, 16, v35
	v_and_b32_e32 v34, 0xffff, v34
	;; [unrolled: 2-line block ×3, first 2 shown]
	v_or_b32_e32 v3, v4, v3
	v_or3_b32 v4, v6, v5, 0
	v_or_b32_e32 v5, v8, v7
	v_or3_b32 v6, v10, v9, 0
	v_or_b32_e32 v7, v15, v14
	v_or_b32_e32 v9, v19, v18
	v_lshlrev_b32_e32 v25, 16, v25
	v_and_b32_e32 v24, 0xffff, v24
	v_lshlrev_b32_e32 v33, 16, v33
	v_and_b32_e32 v32, 0xffff, v32
	v_or3_b32 v8, v17, v16, 0
	v_or_b32_e32 v14, v23, v22
	v_or_b32_e32 v16, v31, v30
	v_lshlrev_b32_e32 v37, 16, v37
	v_and_b32_e32 v36, 0xffff, v36
	v_lshlrev_b32_e32 v41, 16, v41
	v_and_b32_e32 v40, 0xffff, v40
	v_or3_b32 v10, v21, v20, 0
	v_or_b32_e32 v18, v35, v34
	v_or_b32_e32 v20, v39, v38
	v_or3_b32 v3, 0, 0, v3
	v_or3_b32 v5, 0, 0, v5
	;; [unrolled: 1-line block ×12, first 2 shown]
	ds_store_2addr_b64 v27, v[3:4], v[5:6] offset1:32
	ds_store_2addr_b64 v28, v[7:8], v[9:10] offset1:32
	;; [unrolled: 1-line block ×4, first 2 shown]
	s_wait_dscnt 0x0
	s_barrier_signal -1
	s_barrier_wait -1
	global_inv scope:SCOPE_SE
	s_cbranch_scc1 .LBB58_4
; %bb.3:
	s_load_b32 s3, s[0:1], 0xd0
	s_mov_b32 s5, 0
	s_wait_kmcnt 0x0
	s_mul_i32 s3, s3, s2
	s_wait_alu 0xfffe
	s_add_co_i32 s4, s3, ttmp9
	s_wait_alu 0xfffe
	s_lshl_b64 s[4:5], s[4:5], 2
	s_wait_alu 0xfffe
	s_add_nc_u64 s[4:5], s[14:15], s[4:5]
	s_load_b32 s28, s[4:5], 0x0
.LBB58_4:
	s_and_b32 s4, ttmp7, 0xffff
	v_lshlrev_b32_e32 v28, 2, v13
	v_mbcnt_lo_u32_b32 v30, -1, 0
	s_wait_alu 0xfffe
	s_lshl_b32 s10, s4, 6
	s_wait_kmcnt 0x0
	s_cmp_lt_i32 s10, s28
	s_cbranch_scc1 .LBB58_7
; %bb.5:
	v_mbcnt_lo_u32_b32 v4, -1, 0
	v_mov_b32_e32 v31, 32
	s_delay_alu instid0(VALU_DEP_2)
	v_xor_b32_e32 v78, 16, v4
	v_xor_b32_e32 v77, 8, v4
	;; [unrolled: 1-line block ×5, first 2 shown]
	s_mov_b32 s3, 0
	s_cbranch_execz .LBB58_8
; %bb.6:
	v_dual_mov_b32 v53, 0 :: v_dual_mov_b32 v2, 0xfeffffff
	v_dual_mov_b32 v71, 0 :: v_dual_mov_b32 v0, 0xfeffffff
	;; [unrolled: 1-line block ×12, first 2 shown]
	s_branch .LBB58_44
.LBB58_7:
                                        ; implicit-def: $vgpr4
                                        ; implicit-def: $vgpr31
                                        ; implicit-def: $vgpr78
                                        ; implicit-def: $vgpr77
                                        ; implicit-def: $vgpr76
                                        ; implicit-def: $vgpr75
                                        ; implicit-def: $vgpr74
	s_mov_b32 s3, 0
.LBB58_8:
	s_mul_f32 s5, s27, 0x4f7ffffe
	s_clause 0x1
	s_load_b128 s[24:27], s[0:1], 0x98
	s_load_b64 s[20:21], s[0:1], 0x8c
	s_sub_co_i32 s14, 0, s29
	s_abs_i32 s34, s33
	s_cvt_u32_f32 s11, s5
	s_load_b32 s5, s[0:1], 0x54
	s_mov_b32 s15, s35
	s_ashr_i32 s36, s33, 31
	s_mul_i32 s14, s14, s11
	s_ashr_i32 s37, s37, 1
	s_mul_hi_u32 s14, s11, s14
	v_lshrrev_b32_e32 v3, 4, v13
	s_add_co_i32 s14, s11, s14
	s_ashr_i32 s11, s38, 31
	s_load_b64 s[38:39], s[0:1], 0xa8
	s_mul_u64 s[14:15], s[34:35], s[14:15]
	s_xor_b32 s11, s36, s11
	s_mul_i32 s35, s15, s29
	s_add_co_i32 s36, s15, 1
	v_lshl_add_u32 v4, v1, 1, v3
	s_wait_kmcnt 0x0
	s_ashr_i32 s14, s26, 2
	s_sub_co_i32 s26, s34, s35
	s_ashr_i32 s20, s20, 2
	s_sub_co_i32 s34, s26, s29
	s_cmp_ge_u32 s26, s29
	s_mul_u64 s[24:25], s[24:25], s[2:3]
	s_cselect_b32 s15, s36, s15
	s_cselect_b32 s26, s34, s26
	s_add_co_i32 s34, s15, 1
	s_cmp_ge_u32 s26, s29
	s_wait_alu 0xfffe
	v_mul_lo_u32 v3, s20, v4
	s_cselect_b32 s15, s34, s15
	s_add_nc_u64 s[6:7], s[6:7], s[24:25]
	s_xor_b32 s15, s15, s11
	s_mul_u64 s[34:35], s[38:39], s[2:3]
	s_sub_co_i32 s3, s15, s11
	v_mul_lo_u32 v20, s14, v1
	s_wait_alu 0xfffe
	s_mul_i32 s24, s3, s21
	v_dual_mov_b32 v45, 0 :: v_dual_lshlrev_b32 v10, 9, v1
	s_wait_alu 0xfffe
	s_ashr_i32 s25, s24, 31
	v_mov_b32_e32 v46, 0
	s_wait_alu 0xfffe
	s_add_nc_u64 s[6:7], s[6:7], s[24:25]
	s_mul_i32 s24, s3, s27
	s_lshl_b32 s3, s20, 4
	v_dual_mov_b32 v44, 0 :: v_dual_and_b32 v7, 60, v28
	s_wait_alu 0xfffe
	v_add_nc_u32_e32 v5, s3, v3
	v_dual_mov_b32 v31, 32 :: v_dual_add_nc_u32 v36, 0x4400, v2
	s_delay_alu instid0(VALU_DEP_3) | instskip(NEXT) | instid1(VALU_DEP_3)
	v_dual_mov_b32 v55, 0 :: v_dual_lshlrev_b32 v6, 2, v7
	v_dual_mov_b32 v65, 0xfeffffff :: v_dual_add_nc_u32 v16, s3, v5
	v_mov_b32_e32 v52, 0
	v_ashrrev_i32_e32 v21, 31, v20
	s_delay_alu instid0(VALU_DEP_4)
	v_mad_u32_u24 v32, 0x110, v4, v6
	v_ashrrev_i32_e32 v4, 31, v3
	v_dual_mov_b32 v51, 0 :: v_dual_add_nc_u32 v18, s3, v16
	s_lshl_b32 s3, s14, 3
	v_mov_b32_e32 v49, 0
	s_wait_alu 0xfffe
	v_add_nc_u32_e32 v1, s3, v20
	v_ashrrev_i32_e32 v6, 31, v5
	v_ashrrev_i32_e32 v17, 31, v16
	;; [unrolled: 1-line block ×3, first 2 shown]
	s_delay_alu instid0(VALU_DEP_4) | instskip(SKIP_3) | instid1(VALU_DEP_4)
	v_dual_mov_b32 v59, 0 :: v_dual_add_nc_u32 v24, s3, v1
	v_ashrrev_i32_e32 v2, 31, v1
	v_lshl_add_u32 v38, v28, 2, v10
	v_mad_co_u64_u32 v[8:9], null, v0, s37, v[13:14]
	v_add_nc_u32_e32 v26, s3, v24
	v_ashrrev_i32_e32 v25, 31, v24
	v_dual_mov_b32 v54, 0 :: v_dual_add_nc_u32 v39, 0x8400, v10
	v_lshlrev_b64_e32 v[9:10], 2, v[3:4]
	s_delay_alu instid0(VALU_DEP_4)
	v_ashrrev_i32_e32 v27, 31, v26
	v_lshlrev_b64_e32 v[14:15], 2, v[5:6]
	v_lshlrev_b64_e32 v[16:17], 2, v[16:17]
	;; [unrolled: 1-line block ×7, first 2 shown]
	v_dual_mov_b32 v48, 0 :: v_dual_add_nc_u32 v33, 0x1100, v32
	v_dual_mov_b32 v47, 0 :: v_dual_add_nc_u32 v34, 0x2200, v32
	;; [unrolled: 1-line block ×3, first 2 shown]
	v_mul_u32_u24_e32 v37, 0x110, v13
	v_dual_mov_b32 v57, 0 :: v_dual_add_nc_u32 v40, 0x1000, v38
	v_dual_mov_b32 v56, 0 :: v_dual_add_nc_u32 v41, 0x2000, v38
	;; [unrolled: 1-line block ×3, first 2 shown]
	v_dual_mov_b32 v58, 0 :: v_dual_lshlrev_b32 v43, 2, v7
	v_dual_mov_b32 v67, 0xfeffffff :: v_dual_mov_b32 v66, 0xfeffffff
	v_dual_mov_b32 v64, 0xfeffffff :: v_dual_mov_b32 v63, 0
	;; [unrolled: 1-line block ×3, first 2 shown]
	v_mov_b32_e32 v60, 0
	s_add_nc_u64 s[8:9], s[8:9], s[34:35]
	s_ashr_i32 s25, s24, 31
	s_ashr_i32 s21, s20, 31
	s_wait_alu 0xfffe
	s_add_nc_u64 s[8:9], s[8:9], s[24:25]
	s_ashr_i32 s15, s14, 31
	s_add_nc_u64 s[24:25], s[0:1], 0xd0
	s_mov_b32 s3, 0xbbbac73d
.LBB58_9:                               ; =>This Inner Loop Header: Depth=1
	s_ashr_i32 s11, s10, 31
	s_wait_alu 0xfffe
	s_mul_u64 s[26:27], s[10:11], s[20:21]
	s_wait_alu 0xfffe
	s_lshl_b64 s[26:27], s[26:27], 2
	s_wait_alu 0xfffe
	s_add_nc_u64 s[26:27], s[6:7], s[26:27]
	s_wait_alu 0xfffe
	v_add_co_u32 v0, vcc_lo, s26, v9
	s_wait_alu 0xfffd
	v_add_co_ci_u32_e64 v1, null, s27, v10, vcc_lo
	v_add_co_u32 v2, vcc_lo, s26, v14
	s_wait_alu 0xfffd
	v_add_co_ci_u32_e64 v3, null, s27, v15, vcc_lo
	;; [unrolled: 3-line block ×8, first 2 shown]
	s_clause 0x3
	global_load_b128 v[68:71], v[0:1], off
	global_load_b128 v[72:75], v[2:3], off
	;; [unrolled: 1-line block ×4, first 2 shown]
	s_wait_loadcnt 0x3
	ds_store_b128 v32, v[68:71]
	s_wait_loadcnt 0x2
	ds_store_b128 v33, v[72:75]
	;; [unrolled: 2-line block ×4, first 2 shown]
	s_wait_dscnt 0x0
	s_barrier_signal -1
	s_barrier_wait -1
	global_inv scope:SCOPE_SE
	ds_load_b128 v[76:79], v37
	ds_load_b128 v[80:83], v36
	ds_load_b128 v[84:87], v36 offset:512
	ds_load_b128 v[88:91], v36 offset:1024
	v_dual_mov_b32 v74, 0 :: v_dual_mov_b32 v75, 0
	ds_load_b128 v[92:95], v36 offset:1536
	ds_load_b128 v[96:99], v37 offset:8704
	s_wait_dscnt 0x4
	;;#ASMSTART
	v_dot2_f32_f16 v74, v76, v80, v74
	;;#ASMEND
	;;#ASMSTART
	v_dot2_f32_f16 v74, v77, v81, v74
	;;#ASMEND
	v_dual_mov_b32 v72, 0 :: v_dual_mov_b32 v73, 0
	;;#ASMSTART
	v_dot2_f32_f16 v74, v78, v82, v74
	;;#ASMEND
	;;#ASMSTART
	v_dot2_f32_f16 v74, v79, v83, v74
	;;#ASMEND
	s_wait_dscnt 0x3
	;;#ASMSTART
	v_dot2_f32_f16 v72, v76, v84, v72
	;;#ASMEND
	;;#ASMSTART
	v_dot2_f32_f16 v72, v77, v85, v72
	;;#ASMEND
	v_dual_mov_b32 v70, 0 :: v_dual_mov_b32 v71, 0
	;;#ASMSTART
	v_dot2_f32_f16 v72, v78, v86, v72
	;;#ASMEND
	;;#ASMSTART
	v_dot2_f32_f16 v72, v79, v87, v72
	;;#ASMEND
	;; [unrolled: 14-line block ×3, first 2 shown]
	s_wait_dscnt 0x1
	;;#ASMSTART
	v_dot2_f32_f16 v68, v76, v92, v68
	;;#ASMEND
	;;#ASMSTART
	v_dot2_f32_f16 v68, v77, v93, v68
	;;#ASMEND
	;; [unrolled: 3-line block ×4, first 2 shown]
	s_wait_dscnt 0x0
	;;#ASMSTART
	v_dot2_f32_f16 v75, v96, v80, v75
	;;#ASMEND
	;;#ASMSTART
	v_dot2_f32_f16 v75, v97, v81, v75
	;;#ASMEND
	;; [unrolled: 3-line block ×16, first 2 shown]
	ds_load_b128 v[76:79], v37 offset:16
	ds_load_b128 v[80:83], v36 offset:16
	;; [unrolled: 1-line block ×6, first 2 shown]
	s_wait_dscnt 0x4
	;;#ASMSTART
	v_dot2_f32_f16 v74, v76, v80, v74
	;;#ASMEND
	;;#ASMSTART
	v_dot2_f32_f16 v74, v77, v81, v74
	;;#ASMEND
	;;#ASMSTART
	v_dot2_f32_f16 v74, v78, v82, v74
	;;#ASMEND
	;;#ASMSTART
	v_dot2_f32_f16 v74, v79, v83, v74
	;;#ASMEND
	s_wait_dscnt 0x3
	;;#ASMSTART
	v_dot2_f32_f16 v72, v76, v84, v72
	;;#ASMEND
	;;#ASMSTART
	v_dot2_f32_f16 v72, v77, v85, v72
	;;#ASMEND
	;;#ASMSTART
	v_dot2_f32_f16 v72, v78, v86, v72
	;;#ASMEND
	;;#ASMSTART
	v_dot2_f32_f16 v72, v79, v87, v72
	;;#ASMEND
	;; [unrolled: 13-line block ×5, first 2 shown]
	;;#ASMSTART
	v_dot2_f32_f16 v73, v96, v84, v73
	;;#ASMEND
	;;#ASMSTART
	v_dot2_f32_f16 v73, v97, v85, v73
	;;#ASMEND
	;; [unrolled: 3-line block ×12, first 2 shown]
	ds_load_b128 v[76:79], v37 offset:32
	ds_load_b128 v[80:83], v36 offset:32
	;; [unrolled: 1-line block ×6, first 2 shown]
	s_wait_dscnt 0x4
	;;#ASMSTART
	v_dot2_f32_f16 v74, v76, v80, v74
	;;#ASMEND
	;;#ASMSTART
	v_dot2_f32_f16 v74, v77, v81, v74
	;;#ASMEND
	;;#ASMSTART
	v_dot2_f32_f16 v74, v78, v82, v74
	;;#ASMEND
	;;#ASMSTART
	v_dot2_f32_f16 v74, v79, v83, v74
	;;#ASMEND
	s_wait_dscnt 0x3
	;;#ASMSTART
	v_dot2_f32_f16 v72, v76, v84, v72
	;;#ASMEND
	;;#ASMSTART
	v_dot2_f32_f16 v72, v77, v85, v72
	;;#ASMEND
	;;#ASMSTART
	v_dot2_f32_f16 v72, v78, v86, v72
	;;#ASMEND
	;;#ASMSTART
	v_dot2_f32_f16 v72, v79, v87, v72
	;;#ASMEND
	;; [unrolled: 13-line block ×5, first 2 shown]
	;;#ASMSTART
	v_dot2_f32_f16 v73, v96, v84, v73
	;;#ASMEND
	;;#ASMSTART
	v_dot2_f32_f16 v73, v97, v85, v73
	;;#ASMEND
	;; [unrolled: 3-line block ×12, first 2 shown]
	ds_load_b128 v[76:79], v37 offset:48
	ds_load_b128 v[80:83], v36 offset:48
	ds_load_b128 v[84:87], v36 offset:560
	ds_load_b128 v[88:91], v36 offset:1072
	ds_load_b128 v[92:95], v36 offset:1584
	ds_load_b128 v[96:99], v37 offset:8752
	s_wait_dscnt 0x4
	;;#ASMSTART
	v_dot2_f32_f16 v74, v76, v80, v74
	;;#ASMEND
	;;#ASMSTART
	v_dot2_f32_f16 v74, v77, v81, v74
	;;#ASMEND
	;;#ASMSTART
	v_dot2_f32_f16 v74, v78, v82, v74
	;;#ASMEND
	;;#ASMSTART
	v_dot2_f32_f16 v74, v79, v83, v74
	;;#ASMEND
	s_wait_dscnt 0x3
	;;#ASMSTART
	v_dot2_f32_f16 v72, v76, v84, v72
	;;#ASMEND
	;;#ASMSTART
	v_dot2_f32_f16 v72, v77, v85, v72
	;;#ASMEND
	;;#ASMSTART
	v_dot2_f32_f16 v72, v78, v86, v72
	;;#ASMEND
	;;#ASMSTART
	v_dot2_f32_f16 v72, v79, v87, v72
	;;#ASMEND
	;; [unrolled: 13-line block ×5, first 2 shown]
	;;#ASMSTART
	v_dot2_f32_f16 v73, v96, v84, v73
	;;#ASMEND
	;;#ASMSTART
	v_dot2_f32_f16 v73, v97, v85, v73
	;;#ASMEND
	;; [unrolled: 3-line block ×12, first 2 shown]
	ds_load_b128 v[76:79], v37 offset:64
	ds_load_b128 v[80:83], v36 offset:64
	;; [unrolled: 1-line block ×6, first 2 shown]
	s_wait_dscnt 0x4
	;;#ASMSTART
	v_dot2_f32_f16 v74, v76, v80, v74
	;;#ASMEND
	;;#ASMSTART
	v_dot2_f32_f16 v74, v77, v81, v74
	;;#ASMEND
	;;#ASMSTART
	v_dot2_f32_f16 v74, v78, v82, v74
	;;#ASMEND
	;;#ASMSTART
	v_dot2_f32_f16 v74, v79, v83, v74
	;;#ASMEND
	s_wait_dscnt 0x3
	;;#ASMSTART
	v_dot2_f32_f16 v72, v76, v84, v72
	;;#ASMEND
	;;#ASMSTART
	v_dot2_f32_f16 v72, v77, v85, v72
	;;#ASMEND
	;;#ASMSTART
	v_dot2_f32_f16 v72, v78, v86, v72
	;;#ASMEND
	;;#ASMSTART
	v_dot2_f32_f16 v72, v79, v87, v72
	;;#ASMEND
	;; [unrolled: 13-line block ×5, first 2 shown]
	;;#ASMSTART
	v_dot2_f32_f16 v73, v96, v84, v73
	;;#ASMEND
	;;#ASMSTART
	v_dot2_f32_f16 v73, v97, v85, v73
	;;#ASMEND
	;; [unrolled: 3-line block ×12, first 2 shown]
	ds_load_b128 v[76:79], v37 offset:80
	ds_load_b128 v[80:83], v36 offset:80
	;; [unrolled: 1-line block ×6, first 2 shown]
	s_wait_dscnt 0x4
	;;#ASMSTART
	v_dot2_f32_f16 v74, v76, v80, v74
	;;#ASMEND
	;;#ASMSTART
	v_dot2_f32_f16 v74, v77, v81, v74
	;;#ASMEND
	;;#ASMSTART
	v_dot2_f32_f16 v74, v78, v82, v74
	;;#ASMEND
	;;#ASMSTART
	v_dot2_f32_f16 v74, v79, v83, v74
	;;#ASMEND
	s_wait_dscnt 0x3
	;;#ASMSTART
	v_dot2_f32_f16 v72, v76, v84, v72
	;;#ASMEND
	;;#ASMSTART
	v_dot2_f32_f16 v72, v77, v85, v72
	;;#ASMEND
	;;#ASMSTART
	v_dot2_f32_f16 v72, v78, v86, v72
	;;#ASMEND
	;;#ASMSTART
	v_dot2_f32_f16 v72, v79, v87, v72
	;;#ASMEND
	;; [unrolled: 13-line block ×5, first 2 shown]
	;;#ASMSTART
	v_dot2_f32_f16 v73, v96, v84, v73
	;;#ASMEND
	;;#ASMSTART
	v_dot2_f32_f16 v73, v97, v85, v73
	;;#ASMEND
	;; [unrolled: 3-line block ×12, first 2 shown]
	ds_load_b128 v[76:79], v37 offset:96
	ds_load_b128 v[80:83], v36 offset:96
	;; [unrolled: 1-line block ×6, first 2 shown]
	s_wait_dscnt 0x4
	;;#ASMSTART
	v_dot2_f32_f16 v74, v76, v80, v74
	;;#ASMEND
	;;#ASMSTART
	v_dot2_f32_f16 v74, v77, v81, v74
	;;#ASMEND
	;;#ASMSTART
	v_dot2_f32_f16 v74, v78, v82, v74
	;;#ASMEND
	;;#ASMSTART
	v_dot2_f32_f16 v74, v79, v83, v74
	;;#ASMEND
	s_wait_dscnt 0x3
	;;#ASMSTART
	v_dot2_f32_f16 v72, v76, v84, v72
	;;#ASMEND
	;;#ASMSTART
	v_dot2_f32_f16 v72, v77, v85, v72
	;;#ASMEND
	;;#ASMSTART
	v_dot2_f32_f16 v72, v78, v86, v72
	;;#ASMEND
	;;#ASMSTART
	v_dot2_f32_f16 v72, v79, v87, v72
	;;#ASMEND
	;; [unrolled: 13-line block ×5, first 2 shown]
	;;#ASMSTART
	v_dot2_f32_f16 v73, v96, v84, v73
	;;#ASMEND
	;;#ASMSTART
	v_dot2_f32_f16 v73, v97, v85, v73
	;;#ASMEND
	;; [unrolled: 3-line block ×12, first 2 shown]
	ds_load_b128 v[76:79], v37 offset:112
	ds_load_b128 v[80:83], v36 offset:112
	ds_load_b128 v[84:87], v36 offset:624
	ds_load_b128 v[88:91], v36 offset:1136
	ds_load_b128 v[92:95], v36 offset:1648
	ds_load_b128 v[96:99], v37 offset:8816
	s_wait_dscnt 0x4
	;;#ASMSTART
	v_dot2_f32_f16 v74, v76, v80, v74
	;;#ASMEND
	;;#ASMSTART
	v_dot2_f32_f16 v74, v77, v81, v74
	;;#ASMEND
	;;#ASMSTART
	v_dot2_f32_f16 v74, v78, v82, v74
	;;#ASMEND
	;;#ASMSTART
	v_dot2_f32_f16 v74, v79, v83, v74
	;;#ASMEND
	s_wait_dscnt 0x3
	;;#ASMSTART
	v_dot2_f32_f16 v72, v76, v84, v72
	;;#ASMEND
	;;#ASMSTART
	v_dot2_f32_f16 v72, v77, v85, v72
	;;#ASMEND
	;;#ASMSTART
	v_dot2_f32_f16 v72, v78, v86, v72
	;;#ASMEND
	;;#ASMSTART
	v_dot2_f32_f16 v72, v79, v87, v72
	;;#ASMEND
	;; [unrolled: 13-line block ×5, first 2 shown]
	;;#ASMSTART
	v_dot2_f32_f16 v73, v96, v84, v73
	;;#ASMEND
	;;#ASMSTART
	v_dot2_f32_f16 v73, v97, v85, v73
	;;#ASMEND
	;; [unrolled: 3-line block ×12, first 2 shown]
	ds_load_b128 v[76:79], v37 offset:128
	ds_load_b128 v[80:83], v36 offset:128
	;; [unrolled: 1-line block ×6, first 2 shown]
	s_wait_dscnt 0x4
	;;#ASMSTART
	v_dot2_f32_f16 v74, v76, v80, v74
	;;#ASMEND
	;;#ASMSTART
	v_dot2_f32_f16 v74, v77, v81, v74
	;;#ASMEND
	;;#ASMSTART
	v_dot2_f32_f16 v74, v78, v82, v74
	;;#ASMEND
	;;#ASMSTART
	v_dot2_f32_f16 v74, v79, v83, v74
	;;#ASMEND
	s_wait_dscnt 0x3
	;;#ASMSTART
	v_dot2_f32_f16 v72, v76, v84, v72
	;;#ASMEND
	;;#ASMSTART
	v_dot2_f32_f16 v72, v77, v85, v72
	;;#ASMEND
	;;#ASMSTART
	v_dot2_f32_f16 v72, v78, v86, v72
	;;#ASMEND
	;;#ASMSTART
	v_dot2_f32_f16 v72, v79, v87, v72
	;;#ASMEND
	;; [unrolled: 13-line block ×5, first 2 shown]
	;;#ASMSTART
	v_dot2_f32_f16 v73, v96, v84, v73
	;;#ASMEND
	;;#ASMSTART
	v_dot2_f32_f16 v73, v97, v85, v73
	;;#ASMEND
	;;#ASMSTART
	v_dot2_f32_f16 v73, v98, v86, v73
	;;#ASMEND
	;;#ASMSTART
	v_dot2_f32_f16 v73, v99, v87, v73
	;;#ASMEND
	;;#ASMSTART
	v_dot2_f32_f16 v71, v96, v88, v71
	;;#ASMEND
	;;#ASMSTART
	v_dot2_f32_f16 v71, v97, v89, v71
	;;#ASMEND
	;;#ASMSTART
	v_dot2_f32_f16 v71, v98, v90, v71
	;;#ASMEND
	;;#ASMSTART
	v_dot2_f32_f16 v71, v99, v91, v71
	;;#ASMEND
	;;#ASMSTART
	v_dot2_f32_f16 v69, v96, v92, v69
	;;#ASMEND
	;;#ASMSTART
	v_dot2_f32_f16 v69, v97, v93, v69
	;;#ASMEND
	;;#ASMSTART
	v_dot2_f32_f16 v69, v98, v94, v69
	;;#ASMEND
	;;#ASMSTART
	v_dot2_f32_f16 v69, v99, v95, v69
	;;#ASMEND
	ds_load_b128 v[76:79], v37 offset:144
	ds_load_b128 v[80:83], v36 offset:144
	ds_load_b128 v[84:87], v36 offset:656
	ds_load_b128 v[88:91], v36 offset:1168
	ds_load_b128 v[92:95], v36 offset:1680
	ds_load_b128 v[96:99], v37 offset:8848
	s_wait_dscnt 0x4
	;;#ASMSTART
	v_dot2_f32_f16 v74, v76, v80, v74
	;;#ASMEND
	;;#ASMSTART
	v_dot2_f32_f16 v74, v77, v81, v74
	;;#ASMEND
	;;#ASMSTART
	v_dot2_f32_f16 v74, v78, v82, v74
	;;#ASMEND
	;;#ASMSTART
	v_dot2_f32_f16 v74, v79, v83, v74
	;;#ASMEND
	s_wait_dscnt 0x3
	;;#ASMSTART
	v_dot2_f32_f16 v72, v76, v84, v72
	;;#ASMEND
	;;#ASMSTART
	v_dot2_f32_f16 v72, v77, v85, v72
	;;#ASMEND
	;;#ASMSTART
	v_dot2_f32_f16 v72, v78, v86, v72
	;;#ASMEND
	;;#ASMSTART
	v_dot2_f32_f16 v72, v79, v87, v72
	;;#ASMEND
	;; [unrolled: 13-line block ×5, first 2 shown]
	;;#ASMSTART
	v_dot2_f32_f16 v73, v96, v84, v73
	;;#ASMEND
	;;#ASMSTART
	v_dot2_f32_f16 v73, v97, v85, v73
	;;#ASMEND
	;; [unrolled: 3-line block ×12, first 2 shown]
	ds_load_b128 v[76:79], v37 offset:160
	ds_load_b128 v[80:83], v36 offset:160
	;; [unrolled: 1-line block ×6, first 2 shown]
	s_wait_dscnt 0x4
	;;#ASMSTART
	v_dot2_f32_f16 v74, v76, v80, v74
	;;#ASMEND
	;;#ASMSTART
	v_dot2_f32_f16 v74, v77, v81, v74
	;;#ASMEND
	;;#ASMSTART
	v_dot2_f32_f16 v74, v78, v82, v74
	;;#ASMEND
	;;#ASMSTART
	v_dot2_f32_f16 v74, v79, v83, v74
	;;#ASMEND
	s_wait_dscnt 0x3
	;;#ASMSTART
	v_dot2_f32_f16 v72, v76, v84, v72
	;;#ASMEND
	;;#ASMSTART
	v_dot2_f32_f16 v72, v77, v85, v72
	;;#ASMEND
	;;#ASMSTART
	v_dot2_f32_f16 v72, v78, v86, v72
	;;#ASMEND
	;;#ASMSTART
	v_dot2_f32_f16 v72, v79, v87, v72
	;;#ASMEND
	;; [unrolled: 13-line block ×5, first 2 shown]
	;;#ASMSTART
	v_dot2_f32_f16 v73, v96, v84, v73
	;;#ASMEND
	;;#ASMSTART
	v_dot2_f32_f16 v73, v97, v85, v73
	;;#ASMEND
	;; [unrolled: 3-line block ×12, first 2 shown]
	ds_load_b128 v[76:79], v37 offset:176
	ds_load_b128 v[80:83], v36 offset:176
	;; [unrolled: 1-line block ×6, first 2 shown]
	s_wait_dscnt 0x4
	;;#ASMSTART
	v_dot2_f32_f16 v74, v76, v80, v74
	;;#ASMEND
	;;#ASMSTART
	v_dot2_f32_f16 v74, v77, v81, v74
	;;#ASMEND
	;;#ASMSTART
	v_dot2_f32_f16 v74, v78, v82, v74
	;;#ASMEND
	;;#ASMSTART
	v_dot2_f32_f16 v74, v79, v83, v74
	;;#ASMEND
	s_wait_dscnt 0x3
	;;#ASMSTART
	v_dot2_f32_f16 v72, v76, v84, v72
	;;#ASMEND
	;;#ASMSTART
	v_dot2_f32_f16 v72, v77, v85, v72
	;;#ASMEND
	;;#ASMSTART
	v_dot2_f32_f16 v72, v78, v86, v72
	;;#ASMEND
	;;#ASMSTART
	v_dot2_f32_f16 v72, v79, v87, v72
	;;#ASMEND
	s_wait_dscnt 0x2
	;;#ASMSTART
	v_dot2_f32_f16 v70, v76, v88, v70
	;;#ASMEND
	;;#ASMSTART
	v_dot2_f32_f16 v70, v77, v89, v70
	;;#ASMEND
	;;#ASMSTART
	v_dot2_f32_f16 v70, v78, v90, v70
	;;#ASMEND
	;;#ASMSTART
	v_dot2_f32_f16 v70, v79, v91, v70
	;;#ASMEND
	s_wait_dscnt 0x1
	;;#ASMSTART
	v_dot2_f32_f16 v68, v76, v92, v68
	;;#ASMEND
	;;#ASMSTART
	v_dot2_f32_f16 v68, v77, v93, v68
	;;#ASMEND
	;;#ASMSTART
	v_dot2_f32_f16 v68, v78, v94, v68
	;;#ASMEND
	;;#ASMSTART
	v_dot2_f32_f16 v68, v79, v95, v68
	;;#ASMEND
	s_wait_dscnt 0x0
	;;#ASMSTART
	v_dot2_f32_f16 v75, v96, v80, v75
	;;#ASMEND
	;;#ASMSTART
	v_dot2_f32_f16 v75, v97, v81, v75
	;;#ASMEND
	;;#ASMSTART
	v_dot2_f32_f16 v75, v98, v82, v75
	;;#ASMEND
	;;#ASMSTART
	v_dot2_f32_f16 v75, v99, v83, v75
	;;#ASMEND
	;;#ASMSTART
	v_dot2_f32_f16 v73, v96, v84, v73
	;;#ASMEND
	;;#ASMSTART
	v_dot2_f32_f16 v73, v97, v85, v73
	;;#ASMEND
	;; [unrolled: 3-line block ×12, first 2 shown]
	ds_load_b128 v[76:79], v37 offset:192
	ds_load_b128 v[80:83], v36 offset:192
	;; [unrolled: 1-line block ×6, first 2 shown]
	s_wait_dscnt 0x4
	;;#ASMSTART
	v_dot2_f32_f16 v74, v76, v80, v74
	;;#ASMEND
	;;#ASMSTART
	v_dot2_f32_f16 v74, v77, v81, v74
	;;#ASMEND
	;;#ASMSTART
	v_dot2_f32_f16 v74, v78, v82, v74
	;;#ASMEND
	;;#ASMSTART
	v_dot2_f32_f16 v74, v79, v83, v74
	;;#ASMEND
	s_wait_dscnt 0x3
	;;#ASMSTART
	v_dot2_f32_f16 v72, v76, v84, v72
	;;#ASMEND
	;;#ASMSTART
	v_dot2_f32_f16 v72, v77, v85, v72
	;;#ASMEND
	;;#ASMSTART
	v_dot2_f32_f16 v72, v78, v86, v72
	;;#ASMEND
	;;#ASMSTART
	v_dot2_f32_f16 v72, v79, v87, v72
	;;#ASMEND
	;; [unrolled: 13-line block ×5, first 2 shown]
	;;#ASMSTART
	v_dot2_f32_f16 v73, v96, v84, v73
	;;#ASMEND
	;;#ASMSTART
	v_dot2_f32_f16 v73, v97, v85, v73
	;;#ASMEND
	;; [unrolled: 3-line block ×12, first 2 shown]
	ds_load_b128 v[76:79], v37 offset:208
	ds_load_b128 v[80:83], v36 offset:208
	ds_load_b128 v[84:87], v36 offset:720
	ds_load_b128 v[88:91], v36 offset:1232
	ds_load_b128 v[92:95], v36 offset:1744
	ds_load_b128 v[96:99], v37 offset:8912
	s_wait_dscnt 0x4
	;;#ASMSTART
	v_dot2_f32_f16 v74, v76, v80, v74
	;;#ASMEND
	;;#ASMSTART
	v_dot2_f32_f16 v74, v77, v81, v74
	;;#ASMEND
	;;#ASMSTART
	v_dot2_f32_f16 v74, v78, v82, v74
	;;#ASMEND
	;;#ASMSTART
	v_dot2_f32_f16 v74, v79, v83, v74
	;;#ASMEND
	s_wait_dscnt 0x3
	;;#ASMSTART
	v_dot2_f32_f16 v72, v76, v84, v72
	;;#ASMEND
	;;#ASMSTART
	v_dot2_f32_f16 v72, v77, v85, v72
	;;#ASMEND
	;;#ASMSTART
	v_dot2_f32_f16 v72, v78, v86, v72
	;;#ASMEND
	;;#ASMSTART
	v_dot2_f32_f16 v72, v79, v87, v72
	;;#ASMEND
	;; [unrolled: 13-line block ×5, first 2 shown]
	;;#ASMSTART
	v_dot2_f32_f16 v73, v96, v84, v73
	;;#ASMEND
	;;#ASMSTART
	v_dot2_f32_f16 v73, v97, v85, v73
	;;#ASMEND
	;; [unrolled: 3-line block ×12, first 2 shown]
	ds_load_b128 v[76:79], v37 offset:224
	ds_load_b128 v[80:83], v36 offset:224
	;; [unrolled: 1-line block ×6, first 2 shown]
	s_wait_dscnt 0x4
	;;#ASMSTART
	v_dot2_f32_f16 v74, v76, v80, v74
	;;#ASMEND
	;;#ASMSTART
	v_dot2_f32_f16 v74, v77, v81, v74
	;;#ASMEND
	;;#ASMSTART
	v_dot2_f32_f16 v74, v78, v82, v74
	;;#ASMEND
	;;#ASMSTART
	v_dot2_f32_f16 v74, v79, v83, v74
	;;#ASMEND
	s_wait_dscnt 0x3
	;;#ASMSTART
	v_dot2_f32_f16 v72, v76, v84, v72
	;;#ASMEND
	;;#ASMSTART
	v_dot2_f32_f16 v72, v77, v85, v72
	;;#ASMEND
	;;#ASMSTART
	v_dot2_f32_f16 v72, v78, v86, v72
	;;#ASMEND
	;;#ASMSTART
	v_dot2_f32_f16 v72, v79, v87, v72
	;;#ASMEND
	;; [unrolled: 13-line block ×5, first 2 shown]
	;;#ASMSTART
	v_dot2_f32_f16 v73, v96, v84, v73
	;;#ASMEND
	;;#ASMSTART
	v_dot2_f32_f16 v73, v97, v85, v73
	;;#ASMEND
	;; [unrolled: 3-line block ×12, first 2 shown]
	ds_load_b128 v[76:79], v37 offset:240
	ds_load_b128 v[80:83], v36 offset:240
	;; [unrolled: 1-line block ×6, first 2 shown]
	s_wait_dscnt 0x4
	;;#ASMSTART
	v_dot2_f32_f16 v74, v76, v80, v74
	;;#ASMEND
	;;#ASMSTART
	v_dot2_f32_f16 v74, v77, v81, v74
	;;#ASMEND
	;;#ASMSTART
	v_dot2_f32_f16 v74, v78, v82, v74
	;;#ASMEND
	;;#ASMSTART
	v_dot2_f32_f16 v74, v79, v83, v74
	;;#ASMEND
	s_wait_dscnt 0x3
	;;#ASMSTART
	v_dot2_f32_f16 v72, v76, v84, v72
	;;#ASMEND
	;;#ASMSTART
	v_dot2_f32_f16 v72, v77, v85, v72
	;;#ASMEND
	;;#ASMSTART
	v_dot2_f32_f16 v72, v78, v86, v72
	;;#ASMEND
	;;#ASMSTART
	v_dot2_f32_f16 v72, v79, v87, v72
	;;#ASMEND
	;; [unrolled: 13-line block ×5, first 2 shown]
	;;#ASMSTART
	v_dot2_f32_f16 v73, v96, v84, v73
	;;#ASMEND
	;;#ASMSTART
	v_dot2_f32_f16 v73, v97, v85, v73
	;;#ASMEND
	;; [unrolled: 3-line block ×12, first 2 shown]
	s_wait_loadcnt 0x0
	s_barrier_signal -1
	s_barrier_wait -1
	global_inv scope:SCOPE_SE
	s_clause 0x3
	global_load_b128 v[76:79], v[0:1], off offset:256
	global_load_b128 v[0:3], v[2:3], off offset:256
	;; [unrolled: 1-line block ×4, first 2 shown]
	s_wait_loadcnt 0x3
	ds_store_b128 v32, v[76:79]
	s_wait_loadcnt 0x2
	ds_store_b128 v33, v[0:3]
	;; [unrolled: 2-line block ×4, first 2 shown]
	s_wait_dscnt 0x0
	s_barrier_signal -1
	s_barrier_wait -1
	global_inv scope:SCOPE_SE
	ds_load_b128 v[0:3], v37
	ds_load_b128 v[4:7], v36 offset:256
	ds_load_b128 v[76:79], v36 offset:768
	ds_load_b128 v[80:83], v36 offset:1280
	ds_load_b128 v[84:87], v36 offset:1792
	ds_load_b128 v[88:91], v37 offset:8704
	s_wait_dscnt 0x4
	;;#ASMSTART
	v_dot2_f32_f16 v74, v0, v4, v74
	;;#ASMEND
	;;#ASMSTART
	v_dot2_f32_f16 v74, v1, v5, v74
	;;#ASMEND
	;;#ASMSTART
	v_dot2_f32_f16 v74, v2, v6, v74
	;;#ASMEND
	;;#ASMSTART
	v_dot2_f32_f16 v74, v3, v7, v74
	;;#ASMEND
	s_wait_dscnt 0x3
	;;#ASMSTART
	v_dot2_f32_f16 v72, v0, v76, v72
	;;#ASMEND
	;;#ASMSTART
	v_dot2_f32_f16 v72, v1, v77, v72
	;;#ASMEND
	;;#ASMSTART
	v_dot2_f32_f16 v72, v2, v78, v72
	;;#ASMEND
	;;#ASMSTART
	v_dot2_f32_f16 v72, v3, v79, v72
	;;#ASMEND
	;; [unrolled: 13-line block ×5, first 2 shown]
	;;#ASMSTART
	v_dot2_f32_f16 v73, v88, v76, v73
	;;#ASMEND
	;;#ASMSTART
	v_dot2_f32_f16 v73, v89, v77, v73
	;;#ASMEND
	;; [unrolled: 3-line block ×12, first 2 shown]
	ds_load_b128 v[0:3], v37 offset:16
	ds_load_b128 v[4:7], v36 offset:272
	;; [unrolled: 1-line block ×6, first 2 shown]
	s_wait_dscnt 0x4
	;;#ASMSTART
	v_dot2_f32_f16 v74, v0, v4, v74
	;;#ASMEND
	;;#ASMSTART
	v_dot2_f32_f16 v74, v1, v5, v74
	;;#ASMEND
	;;#ASMSTART
	v_dot2_f32_f16 v74, v2, v6, v74
	;;#ASMEND
	;;#ASMSTART
	v_dot2_f32_f16 v74, v3, v7, v74
	;;#ASMEND
	s_wait_dscnt 0x3
	;;#ASMSTART
	v_dot2_f32_f16 v72, v0, v76, v72
	;;#ASMEND
	;;#ASMSTART
	v_dot2_f32_f16 v72, v1, v77, v72
	;;#ASMEND
	;;#ASMSTART
	v_dot2_f32_f16 v72, v2, v78, v72
	;;#ASMEND
	;;#ASMSTART
	v_dot2_f32_f16 v72, v3, v79, v72
	;;#ASMEND
	;; [unrolled: 13-line block ×5, first 2 shown]
	;;#ASMSTART
	v_dot2_f32_f16 v73, v88, v76, v73
	;;#ASMEND
	;;#ASMSTART
	v_dot2_f32_f16 v73, v89, v77, v73
	;;#ASMEND
	;; [unrolled: 3-line block ×12, first 2 shown]
	ds_load_b128 v[0:3], v37 offset:32
	ds_load_b128 v[4:7], v36 offset:288
	;; [unrolled: 1-line block ×6, first 2 shown]
	s_wait_dscnt 0x4
	;;#ASMSTART
	v_dot2_f32_f16 v74, v0, v4, v74
	;;#ASMEND
	;;#ASMSTART
	v_dot2_f32_f16 v74, v1, v5, v74
	;;#ASMEND
	;;#ASMSTART
	v_dot2_f32_f16 v74, v2, v6, v74
	;;#ASMEND
	;;#ASMSTART
	v_dot2_f32_f16 v74, v3, v7, v74
	;;#ASMEND
	s_wait_dscnt 0x3
	;;#ASMSTART
	v_dot2_f32_f16 v72, v0, v76, v72
	;;#ASMEND
	;;#ASMSTART
	v_dot2_f32_f16 v72, v1, v77, v72
	;;#ASMEND
	;;#ASMSTART
	v_dot2_f32_f16 v72, v2, v78, v72
	;;#ASMEND
	;;#ASMSTART
	v_dot2_f32_f16 v72, v3, v79, v72
	;;#ASMEND
	;; [unrolled: 13-line block ×5, first 2 shown]
	;;#ASMSTART
	v_dot2_f32_f16 v73, v88, v76, v73
	;;#ASMEND
	;;#ASMSTART
	v_dot2_f32_f16 v73, v89, v77, v73
	;;#ASMEND
	;;#ASMSTART
	v_dot2_f32_f16 v73, v90, v78, v73
	;;#ASMEND
	;;#ASMSTART
	v_dot2_f32_f16 v73, v91, v79, v73
	;;#ASMEND
	;;#ASMSTART
	v_dot2_f32_f16 v71, v88, v80, v71
	;;#ASMEND
	;;#ASMSTART
	v_dot2_f32_f16 v71, v89, v81, v71
	;;#ASMEND
	;;#ASMSTART
	v_dot2_f32_f16 v71, v90, v82, v71
	;;#ASMEND
	;;#ASMSTART
	v_dot2_f32_f16 v71, v91, v83, v71
	;;#ASMEND
	;;#ASMSTART
	v_dot2_f32_f16 v69, v88, v84, v69
	;;#ASMEND
	;;#ASMSTART
	v_dot2_f32_f16 v69, v89, v85, v69
	;;#ASMEND
	;;#ASMSTART
	v_dot2_f32_f16 v69, v90, v86, v69
	;;#ASMEND
	;;#ASMSTART
	v_dot2_f32_f16 v69, v91, v87, v69
	;;#ASMEND
	ds_load_b128 v[0:3], v37 offset:48
	ds_load_b128 v[4:7], v36 offset:304
	;; [unrolled: 1-line block ×6, first 2 shown]
	s_wait_dscnt 0x4
	;;#ASMSTART
	v_dot2_f32_f16 v74, v0, v4, v74
	;;#ASMEND
	;;#ASMSTART
	v_dot2_f32_f16 v74, v1, v5, v74
	;;#ASMEND
	;;#ASMSTART
	v_dot2_f32_f16 v74, v2, v6, v74
	;;#ASMEND
	;;#ASMSTART
	v_dot2_f32_f16 v74, v3, v7, v74
	;;#ASMEND
	s_wait_dscnt 0x3
	;;#ASMSTART
	v_dot2_f32_f16 v72, v0, v76, v72
	;;#ASMEND
	;;#ASMSTART
	v_dot2_f32_f16 v72, v1, v77, v72
	;;#ASMEND
	;;#ASMSTART
	v_dot2_f32_f16 v72, v2, v78, v72
	;;#ASMEND
	;;#ASMSTART
	v_dot2_f32_f16 v72, v3, v79, v72
	;;#ASMEND
	;; [unrolled: 13-line block ×5, first 2 shown]
	;;#ASMSTART
	v_dot2_f32_f16 v73, v88, v76, v73
	;;#ASMEND
	;;#ASMSTART
	v_dot2_f32_f16 v73, v89, v77, v73
	;;#ASMEND
	;; [unrolled: 3-line block ×12, first 2 shown]
	ds_load_b128 v[0:3], v37 offset:64
	ds_load_b128 v[4:7], v36 offset:320
	;; [unrolled: 1-line block ×6, first 2 shown]
	s_wait_dscnt 0x4
	;;#ASMSTART
	v_dot2_f32_f16 v74, v0, v4, v74
	;;#ASMEND
	;;#ASMSTART
	v_dot2_f32_f16 v74, v1, v5, v74
	;;#ASMEND
	;;#ASMSTART
	v_dot2_f32_f16 v74, v2, v6, v74
	;;#ASMEND
	;;#ASMSTART
	v_dot2_f32_f16 v74, v3, v7, v74
	;;#ASMEND
	s_wait_dscnt 0x3
	;;#ASMSTART
	v_dot2_f32_f16 v72, v0, v76, v72
	;;#ASMEND
	;;#ASMSTART
	v_dot2_f32_f16 v72, v1, v77, v72
	;;#ASMEND
	;;#ASMSTART
	v_dot2_f32_f16 v72, v2, v78, v72
	;;#ASMEND
	;;#ASMSTART
	v_dot2_f32_f16 v72, v3, v79, v72
	;;#ASMEND
	s_wait_dscnt 0x2
	;;#ASMSTART
	v_dot2_f32_f16 v70, v0, v80, v70
	;;#ASMEND
	;;#ASMSTART
	v_dot2_f32_f16 v70, v1, v81, v70
	;;#ASMEND
	;;#ASMSTART
	v_dot2_f32_f16 v70, v2, v82, v70
	;;#ASMEND
	;;#ASMSTART
	v_dot2_f32_f16 v70, v3, v83, v70
	;;#ASMEND
	s_wait_dscnt 0x1
	;;#ASMSTART
	v_dot2_f32_f16 v68, v0, v84, v68
	;;#ASMEND
	;;#ASMSTART
	v_dot2_f32_f16 v68, v1, v85, v68
	;;#ASMEND
	;;#ASMSTART
	v_dot2_f32_f16 v68, v2, v86, v68
	;;#ASMEND
	;;#ASMSTART
	v_dot2_f32_f16 v68, v3, v87, v68
	;;#ASMEND
	s_wait_dscnt 0x0
	;;#ASMSTART
	v_dot2_f32_f16 v75, v88, v4, v75
	;;#ASMEND
	;;#ASMSTART
	v_dot2_f32_f16 v75, v89, v5, v75
	;;#ASMEND
	;;#ASMSTART
	v_dot2_f32_f16 v75, v90, v6, v75
	;;#ASMEND
	;;#ASMSTART
	v_dot2_f32_f16 v75, v91, v7, v75
	;;#ASMEND
	;;#ASMSTART
	v_dot2_f32_f16 v73, v88, v76, v73
	;;#ASMEND
	;;#ASMSTART
	v_dot2_f32_f16 v73, v89, v77, v73
	;;#ASMEND
	;; [unrolled: 3-line block ×12, first 2 shown]
	ds_load_b128 v[0:3], v37 offset:80
	ds_load_b128 v[4:7], v36 offset:336
	;; [unrolled: 1-line block ×6, first 2 shown]
	s_wait_dscnt 0x4
	;;#ASMSTART
	v_dot2_f32_f16 v74, v0, v4, v74
	;;#ASMEND
	;;#ASMSTART
	v_dot2_f32_f16 v74, v1, v5, v74
	;;#ASMEND
	;;#ASMSTART
	v_dot2_f32_f16 v74, v2, v6, v74
	;;#ASMEND
	;;#ASMSTART
	v_dot2_f32_f16 v74, v3, v7, v74
	;;#ASMEND
	s_wait_dscnt 0x3
	;;#ASMSTART
	v_dot2_f32_f16 v72, v0, v76, v72
	;;#ASMEND
	;;#ASMSTART
	v_dot2_f32_f16 v72, v1, v77, v72
	;;#ASMEND
	;;#ASMSTART
	v_dot2_f32_f16 v72, v2, v78, v72
	;;#ASMEND
	;;#ASMSTART
	v_dot2_f32_f16 v72, v3, v79, v72
	;;#ASMEND
	;; [unrolled: 13-line block ×5, first 2 shown]
	;;#ASMSTART
	v_dot2_f32_f16 v73, v88, v76, v73
	;;#ASMEND
	;;#ASMSTART
	v_dot2_f32_f16 v73, v89, v77, v73
	;;#ASMEND
	;; [unrolled: 3-line block ×12, first 2 shown]
	ds_load_b128 v[0:3], v37 offset:96
	ds_load_b128 v[4:7], v36 offset:352
	;; [unrolled: 1-line block ×6, first 2 shown]
	s_wait_dscnt 0x4
	;;#ASMSTART
	v_dot2_f32_f16 v74, v0, v4, v74
	;;#ASMEND
	;;#ASMSTART
	v_dot2_f32_f16 v74, v1, v5, v74
	;;#ASMEND
	;;#ASMSTART
	v_dot2_f32_f16 v74, v2, v6, v74
	;;#ASMEND
	;;#ASMSTART
	v_dot2_f32_f16 v74, v3, v7, v74
	;;#ASMEND
	s_wait_dscnt 0x3
	;;#ASMSTART
	v_dot2_f32_f16 v72, v0, v76, v72
	;;#ASMEND
	;;#ASMSTART
	v_dot2_f32_f16 v72, v1, v77, v72
	;;#ASMEND
	;;#ASMSTART
	v_dot2_f32_f16 v72, v2, v78, v72
	;;#ASMEND
	;;#ASMSTART
	v_dot2_f32_f16 v72, v3, v79, v72
	;;#ASMEND
	;; [unrolled: 13-line block ×5, first 2 shown]
	;;#ASMSTART
	v_dot2_f32_f16 v73, v88, v76, v73
	;;#ASMEND
	;;#ASMSTART
	v_dot2_f32_f16 v73, v89, v77, v73
	;;#ASMEND
	;; [unrolled: 3-line block ×12, first 2 shown]
	ds_load_b128 v[0:3], v37 offset:112
	ds_load_b128 v[4:7], v36 offset:368
	;; [unrolled: 1-line block ×6, first 2 shown]
	s_wait_dscnt 0x4
	;;#ASMSTART
	v_dot2_f32_f16 v74, v0, v4, v74
	;;#ASMEND
	;;#ASMSTART
	v_dot2_f32_f16 v74, v1, v5, v74
	;;#ASMEND
	;;#ASMSTART
	v_dot2_f32_f16 v74, v2, v6, v74
	;;#ASMEND
	;;#ASMSTART
	v_dot2_f32_f16 v74, v3, v7, v74
	;;#ASMEND
	s_wait_dscnt 0x3
	;;#ASMSTART
	v_dot2_f32_f16 v72, v0, v76, v72
	;;#ASMEND
	;;#ASMSTART
	v_dot2_f32_f16 v72, v1, v77, v72
	;;#ASMEND
	;;#ASMSTART
	v_dot2_f32_f16 v72, v2, v78, v72
	;;#ASMEND
	;;#ASMSTART
	v_dot2_f32_f16 v72, v3, v79, v72
	;;#ASMEND
	;; [unrolled: 13-line block ×5, first 2 shown]
	;;#ASMSTART
	v_dot2_f32_f16 v73, v88, v76, v73
	;;#ASMEND
	;;#ASMSTART
	v_dot2_f32_f16 v73, v89, v77, v73
	;;#ASMEND
	;;#ASMSTART
	v_dot2_f32_f16 v73, v90, v78, v73
	;;#ASMEND
	;;#ASMSTART
	v_dot2_f32_f16 v73, v91, v79, v73
	;;#ASMEND
	;;#ASMSTART
	v_dot2_f32_f16 v71, v88, v80, v71
	;;#ASMEND
	;;#ASMSTART
	v_dot2_f32_f16 v71, v89, v81, v71
	;;#ASMEND
	;;#ASMSTART
	v_dot2_f32_f16 v71, v90, v82, v71
	;;#ASMEND
	;;#ASMSTART
	v_dot2_f32_f16 v71, v91, v83, v71
	;;#ASMEND
	;;#ASMSTART
	v_dot2_f32_f16 v69, v88, v84, v69
	;;#ASMEND
	;;#ASMSTART
	v_dot2_f32_f16 v69, v89, v85, v69
	;;#ASMEND
	;;#ASMSTART
	v_dot2_f32_f16 v69, v90, v86, v69
	;;#ASMEND
	;;#ASMSTART
	v_dot2_f32_f16 v69, v91, v87, v69
	;;#ASMEND
	ds_load_b128 v[0:3], v37 offset:128
	ds_load_b128 v[4:7], v36 offset:384
	;; [unrolled: 1-line block ×6, first 2 shown]
	s_wait_dscnt 0x4
	;;#ASMSTART
	v_dot2_f32_f16 v74, v0, v4, v74
	;;#ASMEND
	;;#ASMSTART
	v_dot2_f32_f16 v74, v1, v5, v74
	;;#ASMEND
	;;#ASMSTART
	v_dot2_f32_f16 v74, v2, v6, v74
	;;#ASMEND
	;;#ASMSTART
	v_dot2_f32_f16 v74, v3, v7, v74
	;;#ASMEND
	s_wait_dscnt 0x3
	;;#ASMSTART
	v_dot2_f32_f16 v72, v0, v76, v72
	;;#ASMEND
	;;#ASMSTART
	v_dot2_f32_f16 v72, v1, v77, v72
	;;#ASMEND
	;;#ASMSTART
	v_dot2_f32_f16 v72, v2, v78, v72
	;;#ASMEND
	;;#ASMSTART
	v_dot2_f32_f16 v72, v3, v79, v72
	;;#ASMEND
	;; [unrolled: 13-line block ×5, first 2 shown]
	;;#ASMSTART
	v_dot2_f32_f16 v73, v88, v76, v73
	;;#ASMEND
	;;#ASMSTART
	v_dot2_f32_f16 v73, v89, v77, v73
	;;#ASMEND
	;; [unrolled: 3-line block ×12, first 2 shown]
	ds_load_b128 v[0:3], v37 offset:144
	ds_load_b128 v[4:7], v36 offset:400
	;; [unrolled: 1-line block ×6, first 2 shown]
	s_wait_dscnt 0x4
	;;#ASMSTART
	v_dot2_f32_f16 v74, v0, v4, v74
	;;#ASMEND
	;;#ASMSTART
	v_dot2_f32_f16 v74, v1, v5, v74
	;;#ASMEND
	;;#ASMSTART
	v_dot2_f32_f16 v74, v2, v6, v74
	;;#ASMEND
	;;#ASMSTART
	v_dot2_f32_f16 v74, v3, v7, v74
	;;#ASMEND
	s_wait_dscnt 0x3
	;;#ASMSTART
	v_dot2_f32_f16 v72, v0, v76, v72
	;;#ASMEND
	;;#ASMSTART
	v_dot2_f32_f16 v72, v1, v77, v72
	;;#ASMEND
	;;#ASMSTART
	v_dot2_f32_f16 v72, v2, v78, v72
	;;#ASMEND
	;;#ASMSTART
	v_dot2_f32_f16 v72, v3, v79, v72
	;;#ASMEND
	;; [unrolled: 13-line block ×5, first 2 shown]
	;;#ASMSTART
	v_dot2_f32_f16 v73, v88, v76, v73
	;;#ASMEND
	;;#ASMSTART
	v_dot2_f32_f16 v73, v89, v77, v73
	;;#ASMEND
	;; [unrolled: 3-line block ×12, first 2 shown]
	ds_load_b128 v[0:3], v37 offset:160
	ds_load_b128 v[4:7], v36 offset:416
	;; [unrolled: 1-line block ×6, first 2 shown]
	s_wait_dscnt 0x4
	;;#ASMSTART
	v_dot2_f32_f16 v74, v0, v4, v74
	;;#ASMEND
	;;#ASMSTART
	v_dot2_f32_f16 v74, v1, v5, v74
	;;#ASMEND
	;;#ASMSTART
	v_dot2_f32_f16 v74, v2, v6, v74
	;;#ASMEND
	;;#ASMSTART
	v_dot2_f32_f16 v74, v3, v7, v74
	;;#ASMEND
	s_wait_dscnt 0x3
	;;#ASMSTART
	v_dot2_f32_f16 v72, v0, v76, v72
	;;#ASMEND
	;;#ASMSTART
	v_dot2_f32_f16 v72, v1, v77, v72
	;;#ASMEND
	;;#ASMSTART
	v_dot2_f32_f16 v72, v2, v78, v72
	;;#ASMEND
	;;#ASMSTART
	v_dot2_f32_f16 v72, v3, v79, v72
	;;#ASMEND
	;; [unrolled: 13-line block ×5, first 2 shown]
	;;#ASMSTART
	v_dot2_f32_f16 v73, v88, v76, v73
	;;#ASMEND
	;;#ASMSTART
	v_dot2_f32_f16 v73, v89, v77, v73
	;;#ASMEND
	;; [unrolled: 3-line block ×12, first 2 shown]
	ds_load_b128 v[0:3], v37 offset:176
	ds_load_b128 v[4:7], v36 offset:432
	;; [unrolled: 1-line block ×6, first 2 shown]
	s_wait_dscnt 0x4
	;;#ASMSTART
	v_dot2_f32_f16 v74, v0, v4, v74
	;;#ASMEND
	;;#ASMSTART
	v_dot2_f32_f16 v74, v1, v5, v74
	;;#ASMEND
	;;#ASMSTART
	v_dot2_f32_f16 v74, v2, v6, v74
	;;#ASMEND
	;;#ASMSTART
	v_dot2_f32_f16 v74, v3, v7, v74
	;;#ASMEND
	s_wait_dscnt 0x3
	;;#ASMSTART
	v_dot2_f32_f16 v72, v0, v76, v72
	;;#ASMEND
	;;#ASMSTART
	v_dot2_f32_f16 v72, v1, v77, v72
	;;#ASMEND
	;;#ASMSTART
	v_dot2_f32_f16 v72, v2, v78, v72
	;;#ASMEND
	;;#ASMSTART
	v_dot2_f32_f16 v72, v3, v79, v72
	;;#ASMEND
	;; [unrolled: 13-line block ×5, first 2 shown]
	;;#ASMSTART
	v_dot2_f32_f16 v73, v88, v76, v73
	;;#ASMEND
	;;#ASMSTART
	v_dot2_f32_f16 v73, v89, v77, v73
	;;#ASMEND
	;; [unrolled: 3-line block ×12, first 2 shown]
	ds_load_b128 v[0:3], v37 offset:192
	ds_load_b128 v[4:7], v36 offset:448
	;; [unrolled: 1-line block ×6, first 2 shown]
	s_wait_dscnt 0x4
	;;#ASMSTART
	v_dot2_f32_f16 v74, v0, v4, v74
	;;#ASMEND
	;;#ASMSTART
	v_dot2_f32_f16 v74, v1, v5, v74
	;;#ASMEND
	;;#ASMSTART
	v_dot2_f32_f16 v74, v2, v6, v74
	;;#ASMEND
	;;#ASMSTART
	v_dot2_f32_f16 v74, v3, v7, v74
	;;#ASMEND
	s_wait_dscnt 0x3
	;;#ASMSTART
	v_dot2_f32_f16 v72, v0, v76, v72
	;;#ASMEND
	;;#ASMSTART
	v_dot2_f32_f16 v72, v1, v77, v72
	;;#ASMEND
	;;#ASMSTART
	v_dot2_f32_f16 v72, v2, v78, v72
	;;#ASMEND
	;;#ASMSTART
	v_dot2_f32_f16 v72, v3, v79, v72
	;;#ASMEND
	;; [unrolled: 13-line block ×5, first 2 shown]
	;;#ASMSTART
	v_dot2_f32_f16 v73, v88, v76, v73
	;;#ASMEND
	;;#ASMSTART
	v_dot2_f32_f16 v73, v89, v77, v73
	;;#ASMEND
	;; [unrolled: 3-line block ×12, first 2 shown]
	ds_load_b128 v[0:3], v37 offset:208
	ds_load_b128 v[4:7], v36 offset:464
	;; [unrolled: 1-line block ×6, first 2 shown]
	s_wait_dscnt 0x4
	;;#ASMSTART
	v_dot2_f32_f16 v74, v0, v4, v74
	;;#ASMEND
	;;#ASMSTART
	v_dot2_f32_f16 v74, v1, v5, v74
	;;#ASMEND
	;;#ASMSTART
	v_dot2_f32_f16 v74, v2, v6, v74
	;;#ASMEND
	;;#ASMSTART
	v_dot2_f32_f16 v74, v3, v7, v74
	;;#ASMEND
	s_wait_dscnt 0x3
	;;#ASMSTART
	v_dot2_f32_f16 v72, v0, v76, v72
	;;#ASMEND
	;;#ASMSTART
	v_dot2_f32_f16 v72, v1, v77, v72
	;;#ASMEND
	;;#ASMSTART
	v_dot2_f32_f16 v72, v2, v78, v72
	;;#ASMEND
	;;#ASMSTART
	v_dot2_f32_f16 v72, v3, v79, v72
	;;#ASMEND
	;; [unrolled: 13-line block ×5, first 2 shown]
	;;#ASMSTART
	v_dot2_f32_f16 v73, v88, v76, v73
	;;#ASMEND
	;;#ASMSTART
	v_dot2_f32_f16 v73, v89, v77, v73
	;;#ASMEND
	;; [unrolled: 3-line block ×12, first 2 shown]
	ds_load_b128 v[0:3], v37 offset:224
	ds_load_b128 v[4:7], v36 offset:480
	;; [unrolled: 1-line block ×6, first 2 shown]
	s_wait_dscnt 0x4
	;;#ASMSTART
	v_dot2_f32_f16 v74, v0, v4, v74
	;;#ASMEND
	;;#ASMSTART
	v_dot2_f32_f16 v74, v1, v5, v74
	;;#ASMEND
	;;#ASMSTART
	v_dot2_f32_f16 v74, v2, v6, v74
	;;#ASMEND
	;;#ASMSTART
	v_dot2_f32_f16 v74, v3, v7, v74
	;;#ASMEND
	s_wait_dscnt 0x3
	;;#ASMSTART
	v_dot2_f32_f16 v72, v0, v76, v72
	;;#ASMEND
	;;#ASMSTART
	v_dot2_f32_f16 v72, v1, v77, v72
	;;#ASMEND
	;;#ASMSTART
	v_dot2_f32_f16 v72, v2, v78, v72
	;;#ASMEND
	;;#ASMSTART
	v_dot2_f32_f16 v72, v3, v79, v72
	;;#ASMEND
	;; [unrolled: 13-line block ×5, first 2 shown]
	;;#ASMSTART
	v_dot2_f32_f16 v73, v88, v76, v73
	;;#ASMEND
	;;#ASMSTART
	v_dot2_f32_f16 v73, v89, v77, v73
	;;#ASMEND
	;; [unrolled: 3-line block ×12, first 2 shown]
	ds_load_b128 v[0:3], v37 offset:240
	ds_load_b128 v[4:7], v36 offset:496
	;; [unrolled: 1-line block ×6, first 2 shown]
	s_wait_dscnt 0x4
	;;#ASMSTART
	v_dot2_f32_f16 v74, v0, v4, v74
	;;#ASMEND
	;;#ASMSTART
	v_dot2_f32_f16 v74, v1, v5, v74
	;;#ASMEND
	;;#ASMSTART
	v_dot2_f32_f16 v74, v2, v6, v74
	;;#ASMEND
	;;#ASMSTART
	v_dot2_f32_f16 v74, v3, v7, v74
	;;#ASMEND
	s_wait_dscnt 0x3
	;;#ASMSTART
	v_dot2_f32_f16 v72, v0, v76, v72
	;;#ASMEND
	;;#ASMSTART
	v_dot2_f32_f16 v72, v1, v77, v72
	;;#ASMEND
	;;#ASMSTART
	v_dot2_f32_f16 v72, v2, v78, v72
	;;#ASMEND
	;;#ASMSTART
	v_dot2_f32_f16 v72, v3, v79, v72
	;;#ASMEND
	;; [unrolled: 13-line block ×5, first 2 shown]
	;;#ASMSTART
	v_dot2_f32_f16 v73, v88, v76, v73
	;;#ASMEND
	;;#ASMSTART
	v_dot2_f32_f16 v73, v89, v77, v73
	;;#ASMEND
	;; [unrolled: 3-line block ×5, first 2 shown]
	v_cmp_ngt_f32_e64 s26, 0x3f200000, |v74|
	;;#ASMSTART
	v_dot2_f32_f16 v71, v89, v81, v71
	;;#ASMEND
	;;#ASMSTART
	v_dot2_f32_f16 v71, v90, v82, v71
	;;#ASMEND
	;; [unrolled: 3-line block ×7, first 2 shown]
                                        ; implicit-def: $vgpr3
	s_and_saveexec_b32 s27, s26
	s_wait_alu 0xfffe
	s_xor_b32 s26, exec_lo, s27
	s_cbranch_execz .LBB58_11
; %bb.10:                               ;   in Loop: Header=BB58_9 Depth=1
	v_add_f32_e64 v0, |v74|, |v74|
	s_delay_alu instid0(VALU_DEP_1) | instskip(SKIP_1) | instid1(VALU_DEP_2)
	v_mul_f32_e32 v1, 0x3fb8aa3b, v0
	v_cmp_ngt_f32_e32 vcc_lo, 0xc2ce8ed0, v0
	v_rndne_f32_e32 v2, v1
	v_fma_f32 v3, 0x3fb8aa3b, v0, -v1
	s_delay_alu instid0(VALU_DEP_2) | instskip(NEXT) | instid1(VALU_DEP_2)
	v_sub_f32_e32 v1, v1, v2
	v_fmac_f32_e32 v3, 0x32a5705f, v0
	v_cvt_i32_f32_e32 v2, v2
	s_delay_alu instid0(VALU_DEP_2) | instskip(NEXT) | instid1(VALU_DEP_1)
	v_add_f32_e32 v1, v1, v3
	v_exp_f32_e32 v1, v1
	s_delay_alu instid0(TRANS32_DEP_1) | instskip(SKIP_1) | instid1(VALU_DEP_1)
	v_ldexp_f32 v1, v1, v2
	s_wait_alu 0xfffd
	v_cndmask_b32_e32 v1, 0, v1, vcc_lo
	v_cmp_nlt_f32_e32 vcc_lo, 0x42b17218, v0
	s_wait_alu 0xfffd
	s_delay_alu instid0(VALU_DEP_2) | instskip(NEXT) | instid1(VALU_DEP_1)
	v_cndmask_b32_e32 v0, 0x7f800000, v1, vcc_lo
	v_add_f32_e32 v0, 1.0, v0
	s_delay_alu instid0(VALU_DEP_1) | instskip(NEXT) | instid1(TRANS32_DEP_1)
	v_rcp_f32_e32 v0, v0
	v_fma_f32 v3, v0, -2.0, 1.0
.LBB58_11:                              ;   in Loop: Header=BB58_9 Depth=1
	s_wait_alu 0xfffe
	s_and_not1_saveexec_b32 s26, s26
	s_cbranch_execz .LBB58_13
; %bb.12:                               ;   in Loop: Header=BB58_9 Depth=1
	v_mul_f32_e32 v0, v74, v74
	s_delay_alu instid0(VALU_DEP_1) | instskip(NEXT) | instid1(VALU_DEP_1)
	v_fmaak_f32 v1, s3, v0, 0x3ca908c9
	v_fmaak_f32 v1, v0, v1, 0xbd5c1c4e
	s_delay_alu instid0(VALU_DEP_1) | instskip(NEXT) | instid1(VALU_DEP_1)
	v_fmaak_f32 v1, v0, v1, 0x3e088382
	v_fmaak_f32 v1, v0, v1, 0xbeaaaa99
	s_delay_alu instid0(VALU_DEP_1) | instskip(NEXT) | instid1(VALU_DEP_1)
	v_mul_f32_e64 v1, |v74|, v1
	v_fma_f32 v3, v0, v1, |v74|
.LBB58_13:                              ;   in Loop: Header=BB58_9 Depth=1
	s_wait_alu 0xfffe
	s_or_b32 exec_lo, exec_lo, s26
	v_add_nc_u32_e32 v0, s10, v8
	v_cmp_ngt_f32_e64 s26, 0x3f200000, |v75|
                                        ; implicit-def: $vgpr4
	s_delay_alu instid0(VALU_DEP_2) | instskip(NEXT) | instid1(VALU_DEP_1)
	v_ashrrev_i32_e32 v1, 31, v0
	v_lshlrev_b64_e32 v[0:1], 1, v[0:1]
	s_delay_alu instid0(VALU_DEP_1) | instskip(SKIP_1) | instid1(VALU_DEP_2)
	v_add_co_u32 v0, vcc_lo, s30, v0
	s_wait_alu 0xfffd
	v_add_co_ci_u32_e64 v1, null, s31, v1, vcc_lo
	global_load_u16 v2, v[0:1], off
	s_and_saveexec_b32 s27, s26
	s_wait_alu 0xfffe
	s_xor_b32 s26, exec_lo, s27
	s_cbranch_execz .LBB58_15
; %bb.14:                               ;   in Loop: Header=BB58_9 Depth=1
	v_add_f32_e64 v4, |v75|, |v75|
	s_delay_alu instid0(VALU_DEP_1) | instskip(SKIP_1) | instid1(VALU_DEP_2)
	v_mul_f32_e32 v5, 0x3fb8aa3b, v4
	v_cmp_ngt_f32_e32 vcc_lo, 0xc2ce8ed0, v4
	v_rndne_f32_e32 v6, v5
	v_fma_f32 v7, 0x3fb8aa3b, v4, -v5
	s_delay_alu instid0(VALU_DEP_2) | instskip(NEXT) | instid1(VALU_DEP_2)
	v_sub_f32_e32 v5, v5, v6
	v_fmac_f32_e32 v7, 0x32a5705f, v4
	v_cvt_i32_f32_e32 v6, v6
	s_delay_alu instid0(VALU_DEP_2) | instskip(NEXT) | instid1(VALU_DEP_1)
	v_add_f32_e32 v5, v5, v7
	v_exp_f32_e32 v5, v5
	s_delay_alu instid0(TRANS32_DEP_1) | instskip(SKIP_1) | instid1(VALU_DEP_1)
	v_ldexp_f32 v5, v5, v6
	s_wait_alu 0xfffd
	v_cndmask_b32_e32 v5, 0, v5, vcc_lo
	v_cmp_nlt_f32_e32 vcc_lo, 0x42b17218, v4
	s_wait_alu 0xfffd
	s_delay_alu instid0(VALU_DEP_2) | instskip(NEXT) | instid1(VALU_DEP_1)
	v_cndmask_b32_e32 v4, 0x7f800000, v5, vcc_lo
	v_add_f32_e32 v4, 1.0, v4
	s_delay_alu instid0(VALU_DEP_1) | instskip(NEXT) | instid1(TRANS32_DEP_1)
	v_rcp_f32_e32 v4, v4
	v_fma_f32 v4, v4, -2.0, 1.0
.LBB58_15:                              ;   in Loop: Header=BB58_9 Depth=1
	s_wait_alu 0xfffe
	s_and_not1_saveexec_b32 s26, s26
	s_cbranch_execz .LBB58_17
; %bb.16:                               ;   in Loop: Header=BB58_9 Depth=1
	v_mul_f32_e32 v4, v75, v75
	s_delay_alu instid0(VALU_DEP_1) | instskip(NEXT) | instid1(VALU_DEP_1)
	v_fmaak_f32 v5, s3, v4, 0x3ca908c9
	v_fmaak_f32 v5, v4, v5, 0xbd5c1c4e
	s_delay_alu instid0(VALU_DEP_1) | instskip(NEXT) | instid1(VALU_DEP_1)
	v_fmaak_f32 v5, v4, v5, 0x3e088382
	v_fmaak_f32 v5, v4, v5, 0xbeaaaa99
	s_delay_alu instid0(VALU_DEP_1) | instskip(NEXT) | instid1(VALU_DEP_1)
	v_mul_f32_e64 v5, |v75|, v5
	v_fma_f32 v4, v4, v5, |v75|
.LBB58_17:                              ;   in Loop: Header=BB58_9 Depth=1
	s_wait_alu 0xfffe
	s_or_b32 exec_lo, exec_lo, s26
	global_load_u16 v7, v[0:1], off offset:64
	v_bfi_b32 v0, 0x7fffffff, v3, v74
	v_bfi_b32 v1, 0x7fffffff, v4, v75
	v_xor_b32_e32 v78, 16, v30
	v_xor_b32_e32 v77, 8, v30
	;; [unrolled: 1-line block ×3, first 2 shown]
	s_wait_loadcnt 0x1
	v_fma_mix_f32 v80, s5, v0, v2 op_sel_hi:[0,0,1]
	v_xor_b32_e32 v75, 2, v30
	v_cmp_gt_i32_e32 vcc_lo, 32, v78
	v_xor_b32_e32 v74, 1, v30
	v_cmp_ngt_f32_e64 s26, 0x3f200000, |v72|
	v_add_f32_e32 v0, 0x40051340, v80
                                        ; implicit-def: $vgpr83
	s_wait_loadcnt 0x0
	v_fma_mix_f32 v81, s5, v1, v7 op_sel_hi:[0,0,1]
	s_wait_alu 0xfffd
	v_cndmask_b32_e32 v1, v30, v78, vcc_lo
	v_cmp_gt_i32_e32 vcc_lo, 32, v77
	s_delay_alu instid0(VALU_DEP_3) | instskip(NEXT) | instid1(VALU_DEP_1)
	v_add_f32_e32 v3, 0x40051340, v81
	v_max3_num_f32 v0, v65, v0, v3
	s_wait_alu 0xfffd
	v_cndmask_b32_e32 v3, v30, v77, vcc_lo
	v_cmp_gt_i32_e32 vcc_lo, 32, v76
	v_lshlrev_b32_e32 v82, 2, v1
	s_wait_alu 0xfffd
	s_delay_alu instid0(VALU_DEP_3)
	v_dual_cndmask_b32 v3, v30, v76 :: v_dual_lshlrev_b32 v6, 2, v3
	ds_bpermute_b32 v1, v82, v0
	v_cmp_gt_i32_e32 vcc_lo, 32, v75
	v_lshlrev_b32_e32 v5, 2, v3
	s_wait_alu 0xfffd
	v_cndmask_b32_e32 v3, v30, v75, vcc_lo
	v_cmp_gt_i32_e32 vcc_lo, 32, v74
	s_wait_alu 0xfffd
	s_delay_alu instid0(VALU_DEP_2) | instskip(SKIP_2) | instid1(VALU_DEP_1)
	v_dual_cndmask_b32 v3, v30, v74 :: v_dual_lshlrev_b32 v4, 2, v3
	s_wait_dscnt 0x0
	v_max_num_f32_e32 v1, v1, v1
	v_max_num_f32_e32 v0, v0, v1
	ds_bpermute_b32 v1, v6, v0
	s_wait_dscnt 0x0
	v_max_num_f32_e32 v1, v1, v1
	s_delay_alu instid0(VALU_DEP_1) | instskip(SKIP_3) | instid1(VALU_DEP_1)
	v_max_num_f32_e32 v0, v0, v1
	ds_bpermute_b32 v1, v5, v0
	s_wait_dscnt 0x0
	v_max_num_f32_e32 v1, v1, v1
	v_max_num_f32_e32 v0, v0, v1
	ds_bpermute_b32 v1, v4, v0
	s_wait_dscnt 0x0
	v_max_num_f32_e32 v1, v1, v1
	s_delay_alu instid0(VALU_DEP_1)
	v_dual_max_num_f32 v0, v0, v1 :: v_dual_lshlrev_b32 v3, 2, v3
	ds_bpermute_b32 v1, v3, v0
	s_and_saveexec_b32 s27, s26
	s_wait_alu 0xfffe
	s_xor_b32 s26, exec_lo, s27
	s_cbranch_execz .LBB58_19
; %bb.18:                               ;   in Loop: Header=BB58_9 Depth=1
	v_add_f32_e64 v79, |v72|, |v72|
	s_delay_alu instid0(VALU_DEP_1) | instskip(SKIP_1) | instid1(VALU_DEP_2)
	v_mul_f32_e32 v83, 0x3fb8aa3b, v79
	v_cmp_ngt_f32_e32 vcc_lo, 0xc2ce8ed0, v79
	v_rndne_f32_e32 v84, v83
	v_fma_f32 v85, 0x3fb8aa3b, v79, -v83
	s_delay_alu instid0(VALU_DEP_2) | instskip(NEXT) | instid1(VALU_DEP_2)
	v_sub_f32_e32 v83, v83, v84
	v_fmac_f32_e32 v85, 0x32a5705f, v79
	v_cvt_i32_f32_e32 v84, v84
	s_delay_alu instid0(VALU_DEP_2) | instskip(NEXT) | instid1(VALU_DEP_1)
	v_add_f32_e32 v83, v83, v85
	v_exp_f32_e32 v83, v83
	s_delay_alu instid0(TRANS32_DEP_1) | instskip(SKIP_1) | instid1(VALU_DEP_1)
	v_ldexp_f32 v83, v83, v84
	s_wait_alu 0xfffd
	v_cndmask_b32_e32 v83, 0, v83, vcc_lo
	v_cmp_nlt_f32_e32 vcc_lo, 0x42b17218, v79
	s_wait_alu 0xfffd
	s_delay_alu instid0(VALU_DEP_2) | instskip(NEXT) | instid1(VALU_DEP_1)
	v_cndmask_b32_e32 v79, 0x7f800000, v83, vcc_lo
	v_add_f32_e32 v79, 1.0, v79
	s_delay_alu instid0(VALU_DEP_1) | instskip(NEXT) | instid1(TRANS32_DEP_1)
	v_rcp_f32_e32 v79, v79
	v_fma_f32 v83, v79, -2.0, 1.0
.LBB58_19:                              ;   in Loop: Header=BB58_9 Depth=1
	s_wait_alu 0xfffe
	s_and_not1_saveexec_b32 s26, s26
	s_cbranch_execz .LBB58_21
; %bb.20:                               ;   in Loop: Header=BB58_9 Depth=1
	v_mul_f32_e32 v79, v72, v72
	s_delay_alu instid0(VALU_DEP_1) | instskip(NEXT) | instid1(VALU_DEP_1)
	v_fmaak_f32 v83, s3, v79, 0x3ca908c9
	v_fmaak_f32 v83, v79, v83, 0xbd5c1c4e
	s_delay_alu instid0(VALU_DEP_1) | instskip(NEXT) | instid1(VALU_DEP_1)
	v_fmaak_f32 v83, v79, v83, 0x3e088382
	v_fmaak_f32 v83, v79, v83, 0xbeaaaa99
	s_delay_alu instid0(VALU_DEP_1) | instskip(NEXT) | instid1(VALU_DEP_1)
	v_mul_f32_e64 v83, |v72|, v83
	v_fma_f32 v83, v79, v83, |v72|
.LBB58_21:                              ;   in Loop: Header=BB58_9 Depth=1
	s_wait_alu 0xfffe
	s_or_b32 exec_lo, exec_lo, s26
	v_cmp_ngt_f32_e64 s26, 0x3f200000, |v73|
                                        ; implicit-def: $vgpr84
	s_and_saveexec_b32 s27, s26
	s_wait_alu 0xfffe
	s_xor_b32 s26, exec_lo, s27
	s_cbranch_execz .LBB58_23
; %bb.22:                               ;   in Loop: Header=BB58_9 Depth=1
	v_add_f32_e64 v79, |v73|, |v73|
	s_delay_alu instid0(VALU_DEP_1) | instskip(SKIP_1) | instid1(VALU_DEP_2)
	v_mul_f32_e32 v84, 0x3fb8aa3b, v79
	v_cmp_ngt_f32_e32 vcc_lo, 0xc2ce8ed0, v79
	v_rndne_f32_e32 v85, v84
	v_fma_f32 v86, 0x3fb8aa3b, v79, -v84
	s_delay_alu instid0(VALU_DEP_2) | instskip(NEXT) | instid1(VALU_DEP_2)
	v_sub_f32_e32 v84, v84, v85
	v_fmac_f32_e32 v86, 0x32a5705f, v79
	v_cvt_i32_f32_e32 v85, v85
	s_delay_alu instid0(VALU_DEP_2) | instskip(NEXT) | instid1(VALU_DEP_1)
	v_add_f32_e32 v84, v84, v86
	v_exp_f32_e32 v84, v84
	s_delay_alu instid0(TRANS32_DEP_1) | instskip(SKIP_1) | instid1(VALU_DEP_1)
	v_ldexp_f32 v84, v84, v85
	s_wait_alu 0xfffd
	v_cndmask_b32_e32 v84, 0, v84, vcc_lo
	v_cmp_nlt_f32_e32 vcc_lo, 0x42b17218, v79
	s_wait_alu 0xfffd
	s_delay_alu instid0(VALU_DEP_2) | instskip(NEXT) | instid1(VALU_DEP_1)
	v_cndmask_b32_e32 v79, 0x7f800000, v84, vcc_lo
	v_add_f32_e32 v79, 1.0, v79
	s_delay_alu instid0(VALU_DEP_1) | instskip(NEXT) | instid1(TRANS32_DEP_1)
	v_rcp_f32_e32 v79, v79
	v_fma_f32 v84, v79, -2.0, 1.0
.LBB58_23:                              ;   in Loop: Header=BB58_9 Depth=1
	s_wait_alu 0xfffe
	s_and_not1_saveexec_b32 s26, s26
	s_cbranch_execz .LBB58_25
; %bb.24:                               ;   in Loop: Header=BB58_9 Depth=1
	v_mul_f32_e32 v79, v73, v73
	s_delay_alu instid0(VALU_DEP_1) | instskip(NEXT) | instid1(VALU_DEP_1)
	v_fmaak_f32 v84, s3, v79, 0x3ca908c9
	v_fmaak_f32 v84, v79, v84, 0xbd5c1c4e
	s_delay_alu instid0(VALU_DEP_1) | instskip(NEXT) | instid1(VALU_DEP_1)
	v_fmaak_f32 v84, v79, v84, 0x3e088382
	v_fmaak_f32 v84, v79, v84, 0xbeaaaa99
	s_delay_alu instid0(VALU_DEP_1) | instskip(NEXT) | instid1(VALU_DEP_1)
	v_mul_f32_e64 v84, |v73|, v84
	v_fma_f32 v84, v79, v84, |v73|
.LBB58_25:                              ;   in Loop: Header=BB58_9 Depth=1
	s_wait_alu 0xfffe
	s_or_b32 exec_lo, exec_lo, s26
	v_cvt_f32_f16_e32 v79, v2
	v_cvt_f32_f16_e32 v7, v7
	v_bfi_b32 v2, 0x7fffffff, v83, v72
	v_bfi_b32 v72, 0x7fffffff, v84, v73
	v_cmp_ngt_f32_e64 s26, 0x3f200000, |v70|
	s_delay_alu instid0(VALU_DEP_3) | instskip(NEXT) | instid1(VALU_DEP_3)
	v_fma_f32 v73, s5, v2, v79
	v_fma_f32 v83, s5, v72, v7
	s_delay_alu instid0(VALU_DEP_2) | instskip(NEXT) | instid1(VALU_DEP_2)
	v_add_f32_e32 v2, 0x40051340, v73
	v_add_f32_e32 v72, 0x40051340, v83
	s_delay_alu instid0(VALU_DEP_1) | instskip(SKIP_3) | instid1(VALU_DEP_1)
	v_max3_num_f32 v2, v67, v2, v72
	ds_bpermute_b32 v72, v82, v2
	s_wait_dscnt 0x0
	v_max_num_f32_e32 v72, v72, v72
	v_max_num_f32_e32 v2, v2, v72
	ds_bpermute_b32 v72, v6, v2
	s_wait_dscnt 0x0
	v_max_num_f32_e32 v72, v72, v72
	s_delay_alu instid0(VALU_DEP_1) | instskip(SKIP_3) | instid1(VALU_DEP_1)
	v_max_num_f32_e32 v2, v2, v72
	ds_bpermute_b32 v72, v5, v2
	s_wait_dscnt 0x0
	v_max_num_f32_e32 v72, v72, v72
	v_max_num_f32_e32 v2, v2, v72
	ds_bpermute_b32 v72, v4, v2
	s_wait_dscnt 0x0
	v_max_num_f32_e32 v72, v72, v72
	s_delay_alu instid0(VALU_DEP_1)
	v_max_num_f32_e32 v2, v2, v72
                                        ; implicit-def: $vgpr72
	ds_bpermute_b32 v84, v3, v2
	s_and_saveexec_b32 s27, s26
	s_wait_alu 0xfffe
	s_xor_b32 s26, exec_lo, s27
	s_cbranch_execz .LBB58_27
; %bb.26:                               ;   in Loop: Header=BB58_9 Depth=1
	v_add_f32_e64 v72, |v70|, |v70|
	s_delay_alu instid0(VALU_DEP_1) | instskip(SKIP_1) | instid1(VALU_DEP_2)
	v_mul_f32_e32 v85, 0x3fb8aa3b, v72
	v_cmp_ngt_f32_e32 vcc_lo, 0xc2ce8ed0, v72
	v_rndne_f32_e32 v86, v85
	v_fma_f32 v87, 0x3fb8aa3b, v72, -v85
	s_delay_alu instid0(VALU_DEP_2) | instskip(NEXT) | instid1(VALU_DEP_2)
	v_sub_f32_e32 v85, v85, v86
	v_fmac_f32_e32 v87, 0x32a5705f, v72
	v_cvt_i32_f32_e32 v86, v86
	s_delay_alu instid0(VALU_DEP_2) | instskip(NEXT) | instid1(VALU_DEP_1)
	v_add_f32_e32 v85, v85, v87
	v_exp_f32_e32 v85, v85
	s_delay_alu instid0(TRANS32_DEP_1) | instskip(SKIP_1) | instid1(VALU_DEP_1)
	v_ldexp_f32 v85, v85, v86
	s_wait_alu 0xfffd
	v_cndmask_b32_e32 v85, 0, v85, vcc_lo
	v_cmp_nlt_f32_e32 vcc_lo, 0x42b17218, v72
	s_wait_alu 0xfffd
	s_delay_alu instid0(VALU_DEP_2) | instskip(NEXT) | instid1(VALU_DEP_1)
	v_cndmask_b32_e32 v72, 0x7f800000, v85, vcc_lo
	v_add_f32_e32 v72, 1.0, v72
	s_delay_alu instid0(VALU_DEP_1) | instskip(NEXT) | instid1(TRANS32_DEP_1)
	v_rcp_f32_e32 v72, v72
	v_fma_f32 v72, v72, -2.0, 1.0
.LBB58_27:                              ;   in Loop: Header=BB58_9 Depth=1
	s_wait_alu 0xfffe
	s_and_not1_saveexec_b32 s26, s26
	s_cbranch_execz .LBB58_29
; %bb.28:                               ;   in Loop: Header=BB58_9 Depth=1
	v_mul_f32_e32 v72, v70, v70
	s_delay_alu instid0(VALU_DEP_1) | instskip(NEXT) | instid1(VALU_DEP_1)
	v_fmaak_f32 v85, s3, v72, 0x3ca908c9
	v_fmaak_f32 v85, v72, v85, 0xbd5c1c4e
	s_delay_alu instid0(VALU_DEP_1) | instskip(NEXT) | instid1(VALU_DEP_1)
	v_fmaak_f32 v85, v72, v85, 0x3e088382
	v_fmaak_f32 v85, v72, v85, 0xbeaaaa99
	s_delay_alu instid0(VALU_DEP_1) | instskip(NEXT) | instid1(VALU_DEP_1)
	v_mul_f32_e64 v85, |v70|, v85
	v_fma_f32 v72, v72, v85, |v70|
.LBB58_29:                              ;   in Loop: Header=BB58_9 Depth=1
	s_wait_alu 0xfffe
	s_or_b32 exec_lo, exec_lo, s26
	v_cmp_ngt_f32_e64 s26, 0x3f200000, |v71|
                                        ; implicit-def: $vgpr85
	s_and_saveexec_b32 s27, s26
	s_wait_alu 0xfffe
	s_xor_b32 s26, exec_lo, s27
	s_cbranch_execz .LBB58_31
; %bb.30:                               ;   in Loop: Header=BB58_9 Depth=1
	v_add_f32_e64 v85, |v71|, |v71|
	s_delay_alu instid0(VALU_DEP_1) | instskip(SKIP_1) | instid1(VALU_DEP_2)
	v_mul_f32_e32 v86, 0x3fb8aa3b, v85
	v_cmp_ngt_f32_e32 vcc_lo, 0xc2ce8ed0, v85
	v_rndne_f32_e32 v87, v86
	v_fma_f32 v88, 0x3fb8aa3b, v85, -v86
	s_delay_alu instid0(VALU_DEP_2) | instskip(NEXT) | instid1(VALU_DEP_2)
	v_sub_f32_e32 v86, v86, v87
	v_fmac_f32_e32 v88, 0x32a5705f, v85
	v_cvt_i32_f32_e32 v87, v87
	s_delay_alu instid0(VALU_DEP_2) | instskip(NEXT) | instid1(VALU_DEP_1)
	v_add_f32_e32 v86, v86, v88
	v_exp_f32_e32 v86, v86
	s_delay_alu instid0(TRANS32_DEP_1) | instskip(SKIP_1) | instid1(VALU_DEP_1)
	v_ldexp_f32 v86, v86, v87
	s_wait_alu 0xfffd
	v_cndmask_b32_e32 v86, 0, v86, vcc_lo
	v_cmp_nlt_f32_e32 vcc_lo, 0x42b17218, v85
	s_wait_alu 0xfffd
	s_delay_alu instid0(VALU_DEP_2) | instskip(NEXT) | instid1(VALU_DEP_1)
	v_cndmask_b32_e32 v85, 0x7f800000, v86, vcc_lo
	v_add_f32_e32 v85, 1.0, v85
	s_delay_alu instid0(VALU_DEP_1) | instskip(NEXT) | instid1(TRANS32_DEP_1)
	v_rcp_f32_e32 v85, v85
	v_fma_f32 v85, v85, -2.0, 1.0
.LBB58_31:                              ;   in Loop: Header=BB58_9 Depth=1
	s_wait_alu 0xfffe
	s_and_not1_saveexec_b32 s26, s26
	s_cbranch_execz .LBB58_33
; %bb.32:                               ;   in Loop: Header=BB58_9 Depth=1
	v_mul_f32_e32 v85, v71, v71
	s_delay_alu instid0(VALU_DEP_1) | instskip(NEXT) | instid1(VALU_DEP_1)
	v_fmaak_f32 v86, s3, v85, 0x3ca908c9
	v_fmaak_f32 v86, v85, v86, 0xbd5c1c4e
	s_delay_alu instid0(VALU_DEP_1) | instskip(NEXT) | instid1(VALU_DEP_1)
	v_fmaak_f32 v86, v85, v86, 0x3e088382
	v_fmaak_f32 v86, v85, v86, 0xbeaaaa99
	s_delay_alu instid0(VALU_DEP_1) | instskip(NEXT) | instid1(VALU_DEP_1)
	v_mul_f32_e64 v86, |v71|, v86
	v_fma_f32 v85, v85, v86, |v71|
.LBB58_33:                              ;   in Loop: Header=BB58_9 Depth=1
	s_wait_alu 0xfffe
	s_or_b32 exec_lo, exec_lo, s26
	v_bfi_b32 v70, 0x7fffffff, v72, v70
	s_delay_alu instid0(VALU_DEP_2) | instskip(SKIP_1) | instid1(VALU_DEP_3)
	v_bfi_b32 v71, 0x7fffffff, v85, v71
	v_cmp_ngt_f32_e64 s26, 0x3f200000, |v68|
                                        ; implicit-def: $vgpr87
	v_fma_f32 v70, s5, v70, v79
	s_delay_alu instid0(VALU_DEP_3) | instskip(NEXT) | instid1(VALU_DEP_1)
	v_fma_f32 v71, s5, v71, v7
	v_dual_add_f32 v72, 0x40051340, v70 :: v_dual_add_f32 v85, 0x40051340, v71
	s_delay_alu instid0(VALU_DEP_1) | instskip(SKIP_3) | instid1(VALU_DEP_1)
	v_max3_num_f32 v72, v66, v72, v85
	ds_bpermute_b32 v85, v82, v72
	s_wait_dscnt 0x0
	v_max_num_f32_e32 v85, v85, v85
	v_max_num_f32_e32 v72, v72, v85
	ds_bpermute_b32 v85, v6, v72
	s_wait_dscnt 0x0
	v_max_num_f32_e32 v85, v85, v85
	s_delay_alu instid0(VALU_DEP_1) | instskip(SKIP_3) | instid1(VALU_DEP_1)
	v_max_num_f32_e32 v72, v72, v85
	ds_bpermute_b32 v85, v5, v72
	s_wait_dscnt 0x0
	v_max_num_f32_e32 v85, v85, v85
	v_max_num_f32_e32 v72, v72, v85
	ds_bpermute_b32 v85, v4, v72
	s_wait_dscnt 0x0
	v_max_num_f32_e32 v85, v85, v85
	s_delay_alu instid0(VALU_DEP_1)
	v_max_num_f32_e32 v85, v72, v85
	ds_bpermute_b32 v86, v3, v85
	s_and_saveexec_b32 s27, s26
	s_wait_alu 0xfffe
	s_xor_b32 s26, exec_lo, s27
	s_cbranch_execz .LBB58_35
; %bb.34:                               ;   in Loop: Header=BB58_9 Depth=1
	v_add_f32_e64 v72, |v68|, |v68|
	s_delay_alu instid0(VALU_DEP_1) | instskip(SKIP_1) | instid1(VALU_DEP_2)
	v_mul_f32_e32 v87, 0x3fb8aa3b, v72
	v_cmp_ngt_f32_e32 vcc_lo, 0xc2ce8ed0, v72
	v_rndne_f32_e32 v88, v87
	v_fma_f32 v89, 0x3fb8aa3b, v72, -v87
	s_delay_alu instid0(VALU_DEP_2) | instskip(NEXT) | instid1(VALU_DEP_2)
	v_sub_f32_e32 v87, v87, v88
	v_fmac_f32_e32 v89, 0x32a5705f, v72
	v_cvt_i32_f32_e32 v88, v88
	s_delay_alu instid0(VALU_DEP_2) | instskip(NEXT) | instid1(VALU_DEP_1)
	v_add_f32_e32 v87, v87, v89
	v_exp_f32_e32 v87, v87
	s_delay_alu instid0(TRANS32_DEP_1) | instskip(SKIP_1) | instid1(VALU_DEP_1)
	v_ldexp_f32 v87, v87, v88
	s_wait_alu 0xfffd
	v_cndmask_b32_e32 v87, 0, v87, vcc_lo
	v_cmp_nlt_f32_e32 vcc_lo, 0x42b17218, v72
	s_wait_alu 0xfffd
	s_delay_alu instid0(VALU_DEP_2) | instskip(NEXT) | instid1(VALU_DEP_1)
	v_cndmask_b32_e32 v72, 0x7f800000, v87, vcc_lo
	v_add_f32_e32 v72, 1.0, v72
	s_delay_alu instid0(VALU_DEP_1) | instskip(NEXT) | instid1(TRANS32_DEP_1)
	v_rcp_f32_e32 v72, v72
	v_fma_f32 v87, v72, -2.0, 1.0
.LBB58_35:                              ;   in Loop: Header=BB58_9 Depth=1
	s_wait_alu 0xfffe
	s_and_not1_saveexec_b32 s26, s26
	s_cbranch_execz .LBB58_37
; %bb.36:                               ;   in Loop: Header=BB58_9 Depth=1
	v_mul_f32_e32 v72, v68, v68
	s_delay_alu instid0(VALU_DEP_1) | instskip(NEXT) | instid1(VALU_DEP_1)
	v_fmaak_f32 v87, s3, v72, 0x3ca908c9
	v_fmaak_f32 v87, v72, v87, 0xbd5c1c4e
	s_delay_alu instid0(VALU_DEP_1) | instskip(NEXT) | instid1(VALU_DEP_1)
	v_fmaak_f32 v87, v72, v87, 0x3e088382
	v_fmaak_f32 v87, v72, v87, 0xbeaaaa99
	s_delay_alu instid0(VALU_DEP_1) | instskip(NEXT) | instid1(VALU_DEP_1)
	v_mul_f32_e64 v87, |v68|, v87
	v_fma_f32 v87, v72, v87, |v68|
.LBB58_37:                              ;   in Loop: Header=BB58_9 Depth=1
	s_wait_alu 0xfffe
	s_or_b32 exec_lo, exec_lo, s26
	v_cmp_ngt_f32_e64 s26, 0x3f200000, |v69|
                                        ; implicit-def: $vgpr88
	s_and_saveexec_b32 s27, s26
	s_wait_alu 0xfffe
	s_xor_b32 s26, exec_lo, s27
	s_cbranch_execz .LBB58_39
; %bb.38:                               ;   in Loop: Header=BB58_9 Depth=1
	v_add_f32_e64 v72, |v69|, |v69|
	s_delay_alu instid0(VALU_DEP_1) | instskip(SKIP_1) | instid1(VALU_DEP_2)
	v_mul_f32_e32 v88, 0x3fb8aa3b, v72
	v_cmp_ngt_f32_e32 vcc_lo, 0xc2ce8ed0, v72
	v_rndne_f32_e32 v89, v88
	v_fma_f32 v90, 0x3fb8aa3b, v72, -v88
	s_delay_alu instid0(VALU_DEP_2) | instskip(NEXT) | instid1(VALU_DEP_2)
	v_sub_f32_e32 v88, v88, v89
	v_fmac_f32_e32 v90, 0x32a5705f, v72
	v_cvt_i32_f32_e32 v89, v89
	s_delay_alu instid0(VALU_DEP_2) | instskip(NEXT) | instid1(VALU_DEP_1)
	v_add_f32_e32 v88, v88, v90
	v_exp_f32_e32 v88, v88
	s_delay_alu instid0(TRANS32_DEP_1) | instskip(SKIP_1) | instid1(VALU_DEP_1)
	v_ldexp_f32 v88, v88, v89
	s_wait_alu 0xfffd
	v_cndmask_b32_e32 v88, 0, v88, vcc_lo
	v_cmp_nlt_f32_e32 vcc_lo, 0x42b17218, v72
	s_wait_alu 0xfffd
	s_delay_alu instid0(VALU_DEP_2) | instskip(NEXT) | instid1(VALU_DEP_1)
	v_cndmask_b32_e32 v72, 0x7f800000, v88, vcc_lo
	v_add_f32_e32 v72, 1.0, v72
	s_delay_alu instid0(VALU_DEP_1) | instskip(NEXT) | instid1(TRANS32_DEP_1)
	v_rcp_f32_e32 v72, v72
	v_fma_f32 v88, v72, -2.0, 1.0
.LBB58_39:                              ;   in Loop: Header=BB58_9 Depth=1
	s_wait_alu 0xfffe
	s_and_not1_saveexec_b32 s26, s26
	s_cbranch_execz .LBB58_41
; %bb.40:                               ;   in Loop: Header=BB58_9 Depth=1
	v_mul_f32_e32 v72, v69, v69
	s_delay_alu instid0(VALU_DEP_1) | instskip(NEXT) | instid1(VALU_DEP_1)
	v_fmaak_f32 v88, s3, v72, 0x3ca908c9
	v_fmaak_f32 v88, v72, v88, 0xbd5c1c4e
	s_delay_alu instid0(VALU_DEP_1) | instskip(NEXT) | instid1(VALU_DEP_1)
	v_fmaak_f32 v88, v72, v88, 0x3e088382
	v_fmaak_f32 v88, v72, v88, 0xbeaaaa99
	s_delay_alu instid0(VALU_DEP_1) | instskip(NEXT) | instid1(VALU_DEP_1)
	v_mul_f32_e64 v88, |v69|, v88
	v_fma_f32 v88, v72, v88, |v69|
.LBB58_41:                              ;   in Loop: Header=BB58_9 Depth=1
	s_wait_alu 0xfffe
	s_or_b32 exec_lo, exec_lo, s26
	s_mul_u64 s[26:27], s[10:11], s[14:15]
	s_delay_alu instid0(VALU_DEP_1)
	v_bfi_b32 v69, 0x7fffffff, v88, v69
	s_wait_alu 0xfffe
	s_lshl_b64 s[26:27], s[26:27], 2
	v_lshlrev_b32_e32 v72, 2, v28
	s_wait_alu 0xfffe
	s_add_nc_u64 s[26:27], s[8:9], s[26:27]
	s_wait_dscnt 0x0
	s_wait_alu 0xfffe
	v_add_co_u32 v89, vcc_lo, s26, v20
	s_wait_alu 0xfffd
	v_add_co_ci_u32_e64 v90, null, s27, v21, vcc_lo
	v_add_co_u32 v91, vcc_lo, s26, v22
	s_wait_alu 0xfffd
	v_add_co_ci_u32_e64 v92, null, s27, v23, vcc_lo
	v_fmac_f32_e32 v7, s5, v69
	v_add_co_u32 v89, vcc_lo, v89, v72
	s_wait_alu 0xfffd
	v_add_co_ci_u32_e64 v90, null, 0, v90, vcc_lo
	v_add_co_u32 v93, vcc_lo, v91, v72
	s_wait_alu 0xfffd
	v_add_co_ci_u32_e64 v94, null, 0, v92, vcc_lo
	;; [unrolled: 3-line block ×6, first 2 shown]
	s_barrier_signal -1
	s_barrier_wait -1
	global_inv scope:SCOPE_SE
	s_clause 0x3
	global_load_b128 v[89:92], v[89:90], off
	global_load_b128 v[93:96], v[93:94], off
	global_load_b128 v[97:100], v[97:98], off
	global_load_b128 v[101:104], v[101:102], off
	v_bfi_b32 v68, 0x7fffffff, v87, v68
	v_dual_max_num_f32 v1, v1, v1 :: v_dual_max_num_f32 v0, v0, v0
	v_dual_max_num_f32 v85, v85, v85 :: v_dual_max_num_f32 v84, v84, v84
	s_delay_alu instid0(VALU_DEP_3) | instskip(SKIP_1) | instid1(VALU_DEP_2)
	v_dual_fmac_f32 v79, s5, v68 :: v_dual_max_num_f32 v68, v86, v86
	v_dual_add_f32 v86, 0x40051340, v7 :: v_dual_max_num_f32 v87, v2, v2
	v_dual_max_num_f32 v0, v0, v1 :: v_dual_add_f32 v69, 0x40051340, v79
	s_or_b32 s26, s10, 32
	s_delay_alu instid0(VALU_DEP_2) | instskip(SKIP_1) | instid1(VALU_DEP_3)
	v_max_num_f32_e32 v1, v87, v84
	v_max_num_f32_e32 v2, v85, v68
	v_max3_num_f32 v69, v64, v69, v86
	v_dual_sub_f32 v65, v65, v0 :: v_dual_add_nc_u32 v86, v39, v11
	s_delay_alu instid0(VALU_DEP_3) | instskip(SKIP_4) | instid1(VALU_DEP_3)
	v_dual_sub_f32 v67, v67, v1 :: v_dual_sub_f32 v66, v66, v2
	ds_bpermute_b32 v68, v82, v69
	v_dual_sub_f32 v80, v80, v0 :: v_dual_sub_f32 v73, v73, v1
	v_dual_sub_f32 v81, v81, v0 :: v_dual_sub_f32 v82, v83, v1
	v_sub_f32_e32 v71, v71, v2
	v_dual_sub_f32 v70, v70, v2 :: v_dual_mul_f32 v83, 0x3fb8aa3b, v80
	s_delay_alu instid0(VALU_DEP_3) | instskip(NEXT) | instid1(VALU_DEP_4)
	v_mul_f32_e32 v84, 0x3fb8aa3b, v81
	v_dual_mul_f32 v85, 0x3fb8aa3b, v65 :: v_dual_mul_f32 v88, 0x3fb8aa3b, v82
	s_delay_alu instid0(VALU_DEP_4) | instskip(NEXT) | instid1(VALU_DEP_4)
	v_mul_f32_e32 v107, 0x3fb8aa3b, v71
	v_rndne_f32_e32 v110, v83
	v_fma_f32 v109, 0x3fb8aa3b, v80, -v83
	s_delay_alu instid0(VALU_DEP_4) | instskip(SKIP_1) | instid1(VALU_DEP_4)
	v_fma_f32 v113, 0x3fb8aa3b, v65, -v85
	v_dual_mul_f32 v87, 0x3fb8aa3b, v73 :: v_dual_mul_f32 v106, 0x3fb8aa3b, v70
	v_sub_f32_e32 v83, v83, v110
	v_dual_mul_f32 v105, 0x3fb8aa3b, v67 :: v_dual_mul_f32 v108, 0x3fb8aa3b, v66
	s_wait_dscnt 0x0
	v_max_num_f32_e32 v68, v68, v68
	v_fma_f32 v111, 0x3fb8aa3b, v81, -v84
	v_rndne_f32_e32 v112, v84
	v_fma_f32 v114, 0x3fb8aa3b, v73, -v87
	v_fma_f32 v118, 0x3fb8aa3b, v67, -v105
	v_max_num_f32_e32 v68, v69, v68
	v_rndne_f32_e32 v69, v85
	v_rndne_f32_e32 v119, v105
	v_dual_fmac_f32 v109, 0x32a5705f, v80 :: v_dual_fmac_f32 v114, 0x32a5705f, v73
	ds_bpermute_b32 v6, v6, v68
	v_fmac_f32_e32 v113, 0x32a5705f, v65
	v_rndne_f32_e32 v115, v87
	v_fma_f32 v116, 0x3fb8aa3b, v82, -v88
	v_fma_f32 v120, 0x3fb8aa3b, v70, -v106
	;; [unrolled: 1-line block ×3, first 2 shown]
	v_rndne_f32_e32 v123, v107
	v_dual_fmac_f32 v111, 0x32a5705f, v81 :: v_dual_sub_f32 v84, v84, v112
	v_dual_sub_f32 v85, v85, v69 :: v_dual_fmac_f32 v116, 0x32a5705f, v82
	v_dual_fmac_f32 v118, 0x32a5705f, v67 :: v_dual_add_f32 v83, v83, v109
	v_sub_f32_e32 v105, v105, v119
	v_rndne_f32_e32 v117, v88
	v_rndne_f32_e32 v121, v106
	v_dual_sub_f32 v87, v87, v115 :: v_dual_fmac_f32 v120, 0x32a5705f, v70
	v_sub_f32_e32 v107, v107, v123
	v_exp_f32_e32 v83, v83
	s_wait_dscnt 0x0
	v_max_num_f32_e32 v6, v6, v6
	v_dual_fmac_f32 v122, 0x32a5705f, v71 :: v_dual_add_f32 v85, v85, v113
	v_add_f32_e32 v84, v84, v111
	v_cvt_i32_f32_e32 v110, v110
	s_delay_alu instid0(VALU_DEP_4)
	v_max_num_f32_e32 v6, v68, v6
	v_sub_f32_e32 v88, v88, v117
	v_dual_sub_f32 v106, v106, v121 :: v_dual_add_f32 v87, v87, v114
	v_add_f32_e32 v107, v107, v122
	ds_bpermute_b32 v5, v5, v6
	v_exp_f32_e32 v84, v84
	v_fma_f32 v124, 0x3fb8aa3b, v66, -v108
	v_cvt_i32_f32_e32 v112, v112
	v_exp_f32_e32 v85, v85
	v_exp_f32_e32 v87, v87
	v_ldexp_f32 v83, v83, v110
	v_cmp_ngt_f32_e32 vcc_lo, 0xc2ce8ed0, v80
	v_rndne_f32_e32 v125, v108
	v_cvt_i32_f32_e32 v69, v69
	v_cvt_i32_f32_e32 v115, v115
	v_fmac_f32_e32 v124, 0x32a5705f, v66
	s_wait_alu 0xfffd
	v_dual_add_f32 v106, v106, v120 :: v_dual_cndmask_b32 v83, 0, v83
	v_ldexp_f32 v84, v84, v112
	v_cmp_ngt_f32_e32 vcc_lo, 0xc2ce8ed0, v81
	v_dual_sub_f32 v108, v108, v125 :: v_dual_add_f32 v105, v105, v118
	v_ldexp_f32 v69, v85, v69
	v_ldexp_f32 v85, v87, v115
	s_wait_dscnt 0x0
	v_dual_max_num_f32 v5, v5, v5 :: v_dual_add_f32 v88, v88, v116
	s_wait_alu 0xfffd
	v_cndmask_b32_e32 v84, 0, v84, vcc_lo
	v_cmp_ngt_f32_e32 vcc_lo, 0xc2ce8ed0, v65
	v_cvt_i32_f32_e32 v68, v117
	v_max_num_f32_e32 v5, v6, v5
	v_exp_f32_e32 v88, v88
	s_wait_alu 0xfffd
	v_dual_add_f32 v108, v108, v124 :: v_dual_cndmask_b32 v69, 0, v69
	v_exp_f32_e32 v6, v105
	v_exp_f32_e32 v105, v106
	ds_bpermute_b32 v4, v4, v5
	v_cmp_ngt_f32_e32 vcc_lo, 0xc2ce8ed0, v73
	v_cvt_i32_f32_e32 v117, v119
	v_cvt_i32_f32_e32 v119, v121
	v_exp_f32_e32 v106, v107
	v_ldexp_f32 v68, v88, v68
	s_wait_alu 0xfffd
	v_cndmask_b32_e32 v85, 0, v85, vcc_lo
	v_cmp_ngt_f32_e32 vcc_lo, 0xc2ce8ed0, v82
	v_cvt_i32_f32_e32 v121, v123
	v_ldexp_f32 v6, v6, v117
	v_ldexp_f32 v87, v105, v119
	v_exp_f32_e32 v107, v108
	s_wait_alu 0xfffd
	v_cndmask_b32_e32 v68, 0, v68, vcc_lo
	v_cmp_ngt_f32_e32 vcc_lo, 0xc2ce8ed0, v67
	v_ldexp_f32 v88, v106, v121
	v_cvt_i32_f32_e32 v123, v125
	s_wait_alu 0xfffe
	s_ashr_i32 s27, s26, 31
	s_wait_alu 0xfffd
	v_cndmask_b32_e32 v6, 0, v6, vcc_lo
	v_cmp_ngt_f32_e32 vcc_lo, 0xc2ce8ed0, v70
	s_wait_dscnt 0x0
	v_max_num_f32_e32 v4, v4, v4
	v_ldexp_f32 v105, v107, v123
	s_wait_alu 0xfffe
	s_mul_u64 s[26:27], s[26:27], s[14:15]
	s_wait_alu 0xfffd
	v_cndmask_b32_e32 v87, 0, v87, vcc_lo
	v_cmp_ngt_f32_e32 vcc_lo, 0xc2ce8ed0, v71
	v_max_num_f32_e32 v4, v5, v4
	s_wait_alu 0xfffe
	s_lshl_b64 s[26:27], s[26:27], 2
	s_wait_alu 0xfffe
	s_add_nc_u64 s[26:27], s[8:9], s[26:27]
	s_wait_alu 0xfffd
	v_cndmask_b32_e32 v5, 0, v88, vcc_lo
	v_cmp_ngt_f32_e32 vcc_lo, 0xc2ce8ed0, v66
	s_wait_alu 0xfffd
	v_cndmask_b32_e32 v88, 0, v105, vcc_lo
	v_cmp_nlt_f32_e32 vcc_lo, 0x42b17218, v80
	s_wait_alu 0xfffd
	v_cndmask_b32_e32 v80, 0x7f800000, v83, vcc_lo
	v_cmp_nlt_f32_e32 vcc_lo, 0x42b17218, v81
	;; [unrolled: 3-line block ×4, first 2 shown]
	s_wait_alu 0xfffd
	v_cndmask_b32_e32 v69, 0x7f800000, v85, vcc_lo
	ds_bpermute_b32 v3, v3, v4
	v_cmp_nlt_f32_e32 vcc_lo, 0x42b17218, v82
	v_cvt_f16_f32_e32 v82, v69
	s_wait_alu 0xfffd
	v_cndmask_b32_e32 v73, 0x7f800000, v68, vcc_lo
	v_cmp_nlt_f32_e32 vcc_lo, 0x42b17218, v67
	s_delay_alu instid0(VALU_DEP_2) | instskip(SKIP_4) | instid1(VALU_DEP_2)
	v_add_f32_e32 v69, v69, v73
	s_wait_dscnt 0x0
	s_wait_alu 0xfffd
	v_dual_max_num_f32 v3, v3, v3 :: v_dual_cndmask_b32 v6, 0x7f800000, v6
	v_cmp_nlt_f32_e32 vcc_lo, 0x42b17218, v70
	v_max_num_f32_e32 v3, v4, v3
	s_delay_alu instid0(VALU_DEP_3)
	v_fmac_f32_e32 v69, v62, v6
	s_wait_alu 0xfffd
	v_cndmask_b32_e32 v67, 0x7f800000, v87, vcc_lo
	v_cmp_nlt_f32_e32 vcc_lo, 0x42b17218, v71
	v_cvt_f16_f32_e32 v71, v80
	v_sub_f32_e32 v79, v79, v3
	v_cvt_f16_f32_e32 v4, v6
	s_wait_alu 0xfffd
	v_cndmask_b32_e32 v5, 0x7f800000, v5, vcc_lo
	v_cmp_nlt_f32_e32 vcc_lo, 0x42b17218, v66
	s_delay_alu instid0(VALU_DEP_2)
	v_add_f32_e32 v70, v67, v5
	v_add_f32_e32 v68, v80, v81
	s_wait_alu 0xfffd
	v_cndmask_b32_e32 v66, 0x7f800000, v88, vcc_lo
	v_cvt_f16_f32_e32 v80, v81
	v_cvt_f16_f32_e32 v81, v65
	v_cmp_ngt_f32_e32 vcc_lo, 0xc2ce8ed0, v79
	v_fmac_f32_e32 v68, v63, v65
	v_cvt_f16_f32_e32 v83, v67
	v_cvt_f16_f32_e32 v67, v5
	v_sub_f32_e32 v5, v64, v3
	v_mul_f32_e32 v64, 0x3fb8aa3b, v79
	v_fmac_f32_e32 v70, v61, v66
	v_cvt_f16_f32_e32 v84, v66
	v_cvt_f16_f32_e32 v73, v73
	v_mul_f32_e32 v63, 0x3fb8aa3b, v5
	v_fma_f32 v65, 0x3fb8aa3b, v79, -v64
	v_rndne_f32_e32 v87, v64
	s_delay_alu instid0(VALU_DEP_3) | instskip(SKIP_2) | instid1(VALU_DEP_4)
	v_fma_f32 v106, 0x3fb8aa3b, v5, -v63
	v_rndne_f32_e32 v107, v63
	v_sub_f32_e32 v7, v7, v3
	v_sub_f32_e32 v64, v64, v87
	v_cvt_i32_f32_e32 v66, v87
	s_delay_alu instid0(VALU_DEP_4) | instskip(NEXT) | instid1(VALU_DEP_1)
	v_dual_fmac_f32 v106, 0x32a5705f, v5 :: v_dual_sub_f32 v63, v63, v107
	v_dual_fmac_f32 v65, 0x32a5705f, v79 :: v_dual_add_f32 v62, v63, v106
	s_delay_alu instid0(VALU_DEP_1) | instskip(SKIP_2) | instid1(VALU_DEP_4)
	v_dual_mul_f32 v85, 0x3fb8aa3b, v7 :: v_dual_add_f32 v64, v64, v65
	v_and_b32_e32 v63, 0xffff, v4
	v_pack_b32_f16 v4, v71, v82
	v_exp_f32_e32 v62, v62
	s_delay_alu instid0(VALU_DEP_3) | instskip(SKIP_4) | instid1(VALU_DEP_3)
	v_fma_f32 v88, 0x3fb8aa3b, v7, -v85
	v_rndne_f32_e32 v105, v85
	v_exp_f32_e32 v64, v64
	v_cvt_i32_f32_e32 v82, v107
	v_and_b32_e32 v65, 0xffff, v84
	v_dual_fmac_f32 v88, 0x32a5705f, v7 :: v_dual_sub_f32 v85, v85, v105
	v_cvt_i32_f32_e32 v71, v105
	s_delay_alu instid0(TRANS32_DEP_2) | instid1(VALU_DEP_4)
	v_ldexp_f32 v62, v62, v82
	s_delay_alu instid0(VALU_DEP_4) | instskip(NEXT) | instid1(VALU_DEP_4)
	v_mul_u32_u24_e32 v105, 0x10001, v65
	v_add_f32_e32 v6, v85, v88
	s_delay_alu instid0(TRANS32_DEP_1) | instskip(SKIP_1) | instid1(VALU_DEP_4)
	v_ldexp_f32 v64, v64, v66
	v_and_b32_e32 v81, 0xffff, v81
	v_pk_mul_f16 v52, v52, v105
	s_delay_alu instid0(VALU_DEP_4)
	v_exp_f32_e32 v61, v6
	s_wait_alu 0xfffd
	v_cndmask_b32_e32 v64, 0, v64, vcc_lo
	v_cmp_ngt_f32_e32 vcc_lo, 0xc2ce8ed0, v7
	v_pack_b32_f16 v6, v80, v73
	v_mul_u32_u24_e32 v66, 0x10001, v81
	v_pk_mul_f16 v50, v50, v105
	v_pk_mul_f16 v51, v51, v105
	s_delay_alu instid0(VALU_DEP_3) | instskip(NEXT) | instid1(TRANS32_DEP_1)
	v_pk_mul_f16 v106, v59, v66
	v_ldexp_f32 v61, v61, v71
	v_pk_mul_f16 v107, v58, v66
	s_wait_alu 0xfffd
	s_delay_alu instid0(VALU_DEP_2)
	v_cndmask_b32_e32 v61, 0, v61, vcc_lo
	v_cmp_ngt_f32_e32 vcc_lo, 0xc2ce8ed0, v5
	s_wait_alu 0xfffd
	v_cndmask_b32_e32 v62, 0, v62, vcc_lo
	v_cmp_nlt_f32_e32 vcc_lo, 0x42b17218, v79
	v_mul_u32_u24_e32 v73, 0x10001, v63
	s_wait_alu 0xfffd
	v_cndmask_b32_e32 v64, 0x7f800000, v64, vcc_lo
	v_cmp_nlt_f32_e32 vcc_lo, 0x42b17218, v7
	s_delay_alu instid0(VALU_DEP_3) | instskip(SKIP_4) | instid1(VALU_DEP_3)
	v_pk_mul_f16 v108, v56, v73
	s_wait_alu 0xfffd
	v_cndmask_b32_e32 v61, 0x7f800000, v61, vcc_lo
	v_cmp_nlt_f32_e32 vcc_lo, 0x42b17218, v5
	v_cvt_f16_f32_e32 v5, v64
	v_cvt_f16_f32_e32 v7, v61
	s_wait_alu 0xfffd
	v_dual_cndmask_b32 v62, 0x7f800000, v62 :: v_dual_add_f32 v71, v64, v61
	s_delay_alu instid0(VALU_DEP_3) | instskip(NEXT) | instid1(VALU_DEP_3)
	v_pack_b32_f16 v5, v83, v5
	v_pack_b32_f16 v7, v67, v7
	s_delay_alu instid0(VALU_DEP_3)
	v_cvt_f16_f32_e32 v59, v62
	ds_store_2addr_b64 v86, v[4:5], v[6:7] offset1:32
	s_wait_loadcnt 0x3
	ds_store_b128 v38, v[89:92]
	s_wait_loadcnt 0x2
	ds_store_b128 v40, v[93:96]
	;; [unrolled: 2-line block ×4, first 2 shown]
	s_wait_dscnt 0x0
	s_barrier_signal -1
	s_barrier_wait -1
	global_inv scope:SCOPE_SE
	ds_load_b128 v[4:7], v39
	v_and_b32_e32 v56, 0xffff, v59
	v_pk_mul_f16 v67, v57, v66
	v_pk_mul_f16 v95, v54, v73
	;; [unrolled: 1-line block ×3, first 2 shown]
	s_delay_alu instid0(VALU_DEP_4)
	v_mul_u32_u24_e32 v58, 0x10001, v56
	ds_load_b128 v[54:57], v39 offset:16
	v_fmac_f32_e32 v71, v60, v62
	v_pk_mul_f16 v47, v47, v58
	v_pk_mul_f16 v48, v48, v58
	;; [unrolled: 1-line block ×4, first 2 shown]
	ds_load_2addr_b64 v[58:61], v11 offset1:32
	ds_load_b128 v[62:65], v39 offset:32
	ds_load_b128 v[79:82], v39 offset:48
	ds_load_2addr_b64 v[83:86], v11 offset0:64 offset1:96
	ds_load_2addr_b64 v[87:90], v11 offset0:128 offset1:160
	;; [unrolled: 1-line block ×3, first 2 shown]
	s_wait_dscnt 0x7
	v_lshrrev_b32_e32 v97, 16, v4
	v_lshrrev_b32_e32 v98, 16, v5
	v_and_b32_e32 v4, 0xffff, v4
	v_and_b32_e32 v5, 0xffff, v5
	v_lshrrev_b32_e32 v99, 16, v6
	v_mul_u32_u24_e32 v97, 0x10001, v97
	v_lshrrev_b32_e32 v100, 16, v7
	v_mul_u32_u24_e32 v4, 0x10001, v4
	v_mul_u32_u24_e32 v5, 0x10001, v5
	v_and_b32_e32 v6, 0xffff, v6
	v_and_b32_e32 v7, 0xffff, v7
	v_mul_u32_u24_e32 v98, 0x10001, v98
	s_wait_dscnt 0x5
	v_pk_mul_f16 v109, v58, v4
	v_pk_mul_f16 v110, v58, v97
	;; [unrolled: 1-line block ×3, first 2 shown]
	v_lshrrev_b32_e32 v101, 16, v54
	v_lshrrev_b32_e32 v102, 16, v55
	v_and_b32_e32 v54, 0xffff, v54
	v_and_b32_e32 v55, 0xffff, v55
	v_mul_u32_u24_e32 v6, 0x10001, v6
	v_mul_u32_u24_e32 v99, 0x10001, v99
	;; [unrolled: 1-line block ×4, first 2 shown]
	v_pk_fma_f16 v47, v58, v98, v47
	v_pk_fma_f16 v58, v59, v4, v106
	;; [unrolled: 1-line block ×13, first 2 shown]
	v_lshrrev_b32_e32 v103, 16, v56
	v_lshrrev_b32_e32 v104, 16, v57
	v_and_b32_e32 v56, 0xffff, v56
	v_and_b32_e32 v57, 0xffff, v57
	v_mul_u32_u24_e32 v54, 0x10001, v54
	v_mul_u32_u24_e32 v101, 0x10001, v101
	;; [unrolled: 1-line block ×4, first 2 shown]
	v_pk_fma_f16 v46, v60, v98, v46
	v_pk_fma_f16 v60, v61, v97, v96
	;; [unrolled: 1-line block ×3, first 2 shown]
	s_wait_dscnt 0x2
	v_pk_fma_f16 v47, v83, v100, v47
	v_pk_fma_f16 v53, v84, v6, v58
	;; [unrolled: 1-line block ×13, first 2 shown]
	v_mul_u32_u24_e32 v56, 0x10001, v56
	v_mul_u32_u24_e32 v103, 0x10001, v103
	;; [unrolled: 1-line block ×3, first 2 shown]
	s_wait_dscnt 0x1
	v_pk_fma_f16 v45, v87, v102, v47
	v_pk_fma_f16 v47, v88, v54, v53
	;; [unrolled: 1-line block ×11, first 2 shown]
	v_add_nc_u32_e32 v48, 0x800, v11
	v_pk_fma_f16 v46, v85, v100, v46
	v_pk_fma_f16 v52, v88, v55, v52
	;; [unrolled: 1-line block ×3, first 2 shown]
	s_wait_dscnt 0x0
	v_pk_fma_f16 v49, v91, v56, v4
	v_pk_fma_f16 v55, v91, v103, v5
	;; [unrolled: 1-line block ×3, first 2 shown]
	ds_load_2addr_b64 v[4:7], v48 offset1:32
	v_mul_u32_u24_e32 v104, 0x10001, v104
	v_pk_fma_f16 v46, v89, v102, v46
	v_pk_fma_f16 v44, v86, v100, v44
	;; [unrolled: 1-line block ×6, first 2 shown]
	v_and_b32_e32 v46, 0xffff, v62
	v_lshrrev_b32_e32 v61, 16, v62
	v_and_b32_e32 v62, 0xffff, v63
	v_lshrrev_b32_e32 v63, 16, v63
	v_pk_fma_f16 v60, v86, v99, v60
	v_pk_fma_f16 v44, v90, v102, v44
	;; [unrolled: 1-line block ×6, first 2 shown]
	v_mul_u32_u24_e32 v57, 0x10001, v46
	v_mul_u32_u24_e32 v61, 0x10001, v61
	;; [unrolled: 1-line block ×4, first 2 shown]
	v_pk_fma_f16 v60, v90, v101, v60
	v_pk_fma_f16 v73, v94, v104, v44
	s_wait_dscnt 0x0
	v_pk_fma_f16 v49, v4, v57, v49
	v_pk_fma_f16 v55, v4, v61, v55
	;; [unrolled: 1-line block ×5, first 2 shown]
	ds_load_2addr_b64 v[44:47], v48 offset0:64 offset1:96
	v_pk_fma_f16 v51, v92, v103, v51
	v_pk_fma_f16 v53, v92, v104, v53
	;; [unrolled: 1-line block ×13, first 2 shown]
	v_and_b32_e32 v5, 0xffff, v64
	v_lshrrev_b32_e32 v6, 16, v64
	v_and_b32_e32 v60, 0xffff, v65
	v_lshrrev_b32_e32 v61, 16, v65
	v_pk_fma_f16 v54, v7, v62, v54
	v_mul_u32_u24_e32 v62, 0x10001, v5
	v_mul_u32_u24_e32 v64, 0x10001, v6
	;; [unrolled: 1-line block ×4, first 2 shown]
	v_pk_fma_f16 v63, v7, v63, v73
	s_wait_dscnt 0x0
	v_pk_fma_f16 v49, v44, v62, v49
	v_pk_fma_f16 v55, v44, v64, v55
	;; [unrolled: 1-line block ×4, first 2 shown]
	ds_load_2addr_b64 v[4:7], v48 offset0:128 offset1:160
	v_pk_fma_f16 v66, v45, v62, v83
	v_pk_fma_f16 v51, v45, v64, v51
	;; [unrolled: 1-line block ×8, first 2 shown]
	v_and_b32_e32 v50, 0xffff, v79
	v_lshrrev_b32_e32 v52, 16, v79
	v_and_b32_e32 v62, 0xffff, v80
	v_pk_fma_f16 v46, v46, v61, v67
	v_pk_fma_f16 v57, v47, v64, v57
	v_lshrrev_b32_e32 v64, 16, v80
	v_pk_fma_f16 v54, v47, v60, v54
	v_mul_u32_u24_e32 v60, 0x10001, v50
	v_mul_u32_u24_e32 v67, 0x10001, v52
	;; [unrolled: 1-line block ×4, first 2 shown]
	v_pk_fma_f16 v47, v47, v61, v63
	s_wait_dscnt 0x0
	v_pk_fma_f16 v61, v4, v60, v49
	v_pk_fma_f16 v55, v4, v67, v55
	;; [unrolled: 1-line block ×5, first 2 shown]
	ds_load_2addr_b64 v[49:52], v48 offset0:192 offset1:224
	v_pk_fma_f16 v44, v4, v64, v44
	v_pk_fma_f16 v73, v5, v62, v73
	;; [unrolled: 1-line block ×3, first 2 shown]
	v_and_b32_e32 v4, 0xffff, v81
	v_lshrrev_b32_e32 v5, 16, v81
	v_pk_fma_f16 v80, v6, v60, v53
	v_pk_fma_f16 v58, v6, v67, v58
	;; [unrolled: 1-line block ×8, first 2 shown]
	v_and_b32_e32 v45, 0xffff, v82
	v_mul_u32_u24_e32 v64, 0x10001, v4
	v_mul_u32_u24_e32 v67, 0x10001, v5
	ds_load_b128 v[4:7], v39 offset:64
	v_lshrrev_b32_e32 v53, 16, v82
	v_mul_u32_u24_e32 v81, 0x10001, v45
	v_add_nc_u32_e32 v45, 0x1000, v11
	s_wait_dscnt 0x1
	v_pk_fma_f16 v83, v49, v67, v55
	v_pk_fma_f16 v61, v49, v64, v61
	v_mul_u32_u24_e32 v82, 0x10001, v53
	v_pk_fma_f16 v63, v49, v81, v63
	ds_load_2addr_b64 v[53:56], v45 offset1:32
	v_pk_fma_f16 v84, v51, v81, v59
	v_pk_fma_f16 v62, v52, v81, v62
	v_pk_fma_f16 v44, v49, v82, v44
	v_pk_fma_f16 v49, v50, v64, v65
	v_pk_fma_f16 v65, v50, v67, v66
	v_pk_fma_f16 v66, v50, v81, v73
	v_pk_fma_f16 v73, v50, v82, v79
	v_pk_fma_f16 v79, v51, v64, v80
	v_pk_fma_f16 v80, v51, v67, v58
	v_pk_fma_f16 v46, v51, v82, v46
	v_pk_fma_f16 v64, v52, v64, v60
	v_pk_fma_f16 v67, v52, v67, v57
	ds_load_b128 v[57:60], v39 offset:80
	s_wait_dscnt 0x2
	v_and_b32_e32 v50, 0xffff, v4
	v_lshrrev_b32_e32 v4, 16, v4
	v_and_b32_e32 v51, 0xffff, v5
	v_lshrrev_b32_e32 v5, 16, v5
	v_pk_fma_f16 v47, v52, v82, v47
	v_mul_u32_u24_e32 v81, 0x10001, v50
	v_mul_u32_u24_e32 v4, 0x10001, v4
	;; [unrolled: 1-line block ×4, first 2 shown]
	s_wait_dscnt 0x1
	v_pk_fma_f16 v61, v53, v81, v61
	v_pk_fma_f16 v82, v53, v4, v83
	;; [unrolled: 1-line block ×5, first 2 shown]
	ds_load_2addr_b64 v[49:52], v45 offset0:64 offset1:96
	v_pk_fma_f16 v65, v54, v4, v65
	v_pk_fma_f16 v66, v54, v85, v66
	;; [unrolled: 1-line block ×9, first 2 shown]
	v_and_b32_e32 v4, 0xffff, v6
	v_lshrrev_b32_e32 v6, 16, v6
	v_and_b32_e32 v67, 0xffff, v7
	v_lshrrev_b32_e32 v7, 16, v7
	v_pk_fma_f16 v47, v56, v5, v47
	v_mul_u32_u24_e32 v81, 0x10001, v4
	v_mul_u32_u24_e32 v83, 0x10001, v6
	;; [unrolled: 1-line block ×4, first 2 shown]
	ds_load_2addr_b64 v[4:7], v45 offset0:128 offset1:160
	v_pk_fma_f16 v62, v56, v85, v62
	s_wait_dscnt 0x1
	v_pk_fma_f16 v56, v49, v81, v61
	v_pk_fma_f16 v61, v49, v83, v82
	;; [unrolled: 1-line block ×8, first 2 shown]
	v_and_b32_e32 v50, 0xffff, v57
	v_pk_fma_f16 v66, v51, v81, v73
	v_pk_fma_f16 v73, v51, v83, v79
	;; [unrolled: 1-line block ×4, first 2 shown]
	v_lshrrev_b32_e32 v51, 16, v57
	v_and_b32_e32 v57, 0xffff, v58
	v_lshrrev_b32_e32 v58, 16, v58
	v_pk_fma_f16 v62, v52, v67, v62
	v_mul_u32_u24_e32 v67, 0x10001, v50
	v_pk_fma_f16 v55, v52, v81, v55
	v_pk_fma_f16 v64, v52, v83, v64
	v_mul_u32_u24_e32 v80, 0x10001, v51
	v_mul_u32_u24_e32 v57, 0x10001, v57
	;; [unrolled: 1-line block ×3, first 2 shown]
	v_pk_fma_f16 v47, v52, v84, v47
	s_wait_dscnt 0x0
	v_pk_fma_f16 v81, v5, v67, v49
	ds_load_2addr_b64 v[49:52], v45 offset0:192 offset1:224
	v_pk_fma_f16 v56, v4, v67, v56
	v_pk_fma_f16 v61, v4, v80, v61
	;; [unrolled: 1-line block ×7, first 2 shown]
	v_and_b32_e32 v4, 0xffff, v59
	v_lshrrev_b32_e32 v5, 16, v59
	v_pk_fma_f16 v66, v6, v67, v66
	v_pk_fma_f16 v73, v6, v80, v73
	;; [unrolled: 1-line block ×8, first 2 shown]
	v_and_b32_e32 v46, 0xffff, v60
	v_lshrrev_b32_e32 v54, 16, v60
	v_mul_u32_u24_e32 v57, 0x10001, v4
	v_mul_u32_u24_e32 v58, 0x10001, v5
	ds_load_b128 v[4:7], v39 offset:96
	v_mul_u32_u24_e32 v80, 0x10001, v46
	v_mul_u32_u24_e32 v84, 0x10001, v54
	v_add_nc_u32_e32 v46, 0x1800, v11
	s_wait_dscnt 0x1
	v_pk_fma_f16 v85, v49, v57, v56
	v_pk_fma_f16 v61, v49, v58, v61
	;; [unrolled: 1-line block ×6, first 2 shown]
	ds_load_2addr_b64 v[53:56], v46 offset1:32
	v_pk_fma_f16 v65, v50, v80, v65
	v_pk_fma_f16 v82, v50, v84, v82
	;; [unrolled: 1-line block ×8, first 2 shown]
	ds_load_b128 v[57:60], v39 offset:112
	s_wait_dscnt 0x2
	v_and_b32_e32 v50, 0xffff, v4
	v_lshrrev_b32_e32 v4, 16, v4
	v_and_b32_e32 v51, 0xffff, v5
	v_lshrrev_b32_e32 v5, 16, v5
	v_pk_fma_f16 v62, v52, v80, v62
	v_mul_u32_u24_e32 v80, 0x10001, v50
	v_mul_u32_u24_e32 v4, 0x10001, v4
	;; [unrolled: 1-line block ×4, first 2 shown]
	v_pk_fma_f16 v47, v52, v84, v47
	s_wait_dscnt 0x1
	v_pk_fma_f16 v84, v53, v80, v85
	v_pk_fma_f16 v61, v53, v4, v61
	;; [unrolled: 1-line block ×5, first 2 shown]
	ds_load_2addr_b64 v[49:52], v46 offset0:64 offset1:96
	v_pk_fma_f16 v81, v54, v4, v81
	v_pk_fma_f16 v66, v55, v80, v66
	;; [unrolled: 1-line block ×5, first 2 shown]
	v_and_b32_e32 v4, 0xffff, v6
	v_lshrrev_b32_e32 v6, 16, v6
	v_and_b32_e32 v80, 0xffff, v7
	v_lshrrev_b32_e32 v7, 16, v7
	v_pk_fma_f16 v65, v54, v86, v65
	v_pk_fma_f16 v54, v54, v5, v82
	;; [unrolled: 1-line block ×4, first 2 shown]
	v_mul_u32_u24_e32 v82, 0x10001, v4
	v_mul_u32_u24_e32 v83, 0x10001, v6
	;; [unrolled: 1-line block ×3, first 2 shown]
	v_pk_fma_f16 v47, v56, v5, v47
	ds_load_2addr_b64 v[4:7], v46 offset0:128 offset1:160
	v_mul_u32_u24_e32 v80, 0x10001, v80
	v_pk_fma_f16 v62, v56, v86, v62
	s_wait_dscnt 0x1
	v_pk_fma_f16 v56, v49, v82, v84
	v_pk_fma_f16 v61, v49, v83, v61
	;; [unrolled: 1-line block ×12, first 2 shown]
	v_and_b32_e32 v50, 0xffff, v57
	v_lshrrev_b32_e32 v51, 16, v57
	v_and_b32_e32 v57, 0xffff, v58
	v_lshrrev_b32_e32 v58, 16, v58
	v_pk_fma_f16 v62, v52, v80, v62
	v_mul_u32_u24_e32 v80, 0x10001, v50
	v_mul_u32_u24_e32 v81, 0x10001, v51
	;; [unrolled: 1-line block ×4, first 2 shown]
	v_pk_fma_f16 v67, v52, v82, v67
	v_pk_fma_f16 v64, v52, v83, v64
	;; [unrolled: 1-line block ×3, first 2 shown]
	s_wait_dscnt 0x0
	v_pk_fma_f16 v82, v4, v80, v56
	v_pk_fma_f16 v61, v4, v81, v61
	v_pk_fma_f16 v63, v4, v57, v63
	v_pk_fma_f16 v4, v4, v58, v44
	v_pk_fma_f16 v44, v5, v80, v49
	v_pk_fma_f16 v83, v5, v81, v53
	v_pk_fma_f16 v65, v5, v57, v65
	v_pk_fma_f16 v5, v5, v58, v54
	v_and_b32_e32 v53, 0xffff, v59
	v_lshrrev_b32_e32 v54, 16, v59
	ds_load_2addr_b64 v[49:52], v46 offset0:192 offset1:224
	v_pk_fma_f16 v66, v6, v80, v66
	v_pk_fma_f16 v73, v6, v81, v73
	;; [unrolled: 1-line block ×7, first 2 shown]
	v_lshrrev_b32_e32 v47, 16, v60
	v_mul_u32_u24_e32 v81, 0x10001, v53
	v_mul_u32_u24_e32 v84, 0x10001, v54
	ds_load_b128 v[53:56], v39 offset:128
	v_pk_fma_f16 v62, v7, v57, v62
	v_mul_u32_u24_e32 v86, 0x10001, v47
	v_add_nc_u32_e32 v47, 0x2000, v11
	v_and_b32_e32 v7, 0xffff, v60
	ds_load_2addr_b64 v[57:60], v47 offset1:32
	v_mul_u32_u24_e32 v85, 0x10001, v7
	s_wait_dscnt 0x2
	v_pk_fma_f16 v82, v49, v81, v82
	v_pk_fma_f16 v61, v49, v84, v61
	;; [unrolled: 1-line block ×12, first 2 shown]
	ds_load_b128 v[4:7], v39 offset:144
	s_wait_dscnt 0x2
	v_and_b32_e32 v50, 0xffff, v53
	v_lshrrev_b32_e32 v51, 16, v53
	v_and_b32_e32 v53, 0xffff, v54
	v_lshrrev_b32_e32 v54, 16, v54
	v_pk_fma_f16 v67, v52, v81, v67
	v_pk_fma_f16 v64, v52, v84, v64
	v_mul_u32_u24_e32 v81, 0x10001, v50
	v_mul_u32_u24_e32 v84, 0x10001, v51
	;; [unrolled: 1-line block ×4, first 2 shown]
	v_pk_fma_f16 v62, v52, v85, v62
	v_pk_fma_f16 v80, v52, v86, v80
	s_wait_dscnt 0x1
	v_pk_fma_f16 v82, v57, v81, v82
	v_pk_fma_f16 v61, v57, v84, v61
	;; [unrolled: 1-line block ×4, first 2 shown]
	ds_load_2addr_b64 v[49:52], v47 offset0:64 offset1:96
	v_pk_fma_f16 v44, v58, v81, v44
	v_pk_fma_f16 v83, v58, v84, v83
	;; [unrolled: 1-line block ×6, first 2 shown]
	v_and_b32_e32 v81, 0xffff, v55
	v_lshrrev_b32_e32 v55, 16, v55
	v_and_b32_e32 v84, 0xffff, v56
	v_lshrrev_b32_e32 v56, 16, v56
	v_pk_fma_f16 v65, v58, v53, v65
	v_pk_fma_f16 v79, v59, v53, v79
	;; [unrolled: 1-line block ×3, first 2 shown]
	v_mul_u32_u24_e32 v53, 0x10001, v81
	v_mul_u32_u24_e32 v55, 0x10001, v55
	;; [unrolled: 1-line block ×4, first 2 shown]
	v_pk_fma_f16 v58, v58, v54, v87
	v_pk_fma_f16 v59, v59, v54, v88
	s_wait_dscnt 0x0
	v_pk_fma_f16 v167, v49, v53, v82
	v_pk_fma_f16 v168, v49, v55, v61
	;; [unrolled: 1-line block ×4, first 2 shown]
	s_wait_alu 0xfffe
	v_add_co_u32 v49, vcc_lo, s26, v20
	v_pk_fma_f16 v171, v50, v53, v44
	v_pk_fma_f16 v172, v50, v55, v83
	;; [unrolled: 1-line block ×4, first 2 shown]
	s_wait_alu 0xfffd
	v_add_co_ci_u32_e64 v50, null, s27, v21, vcc_lo
	v_add_co_u32 v65, vcc_lo, s26, v22
	v_pk_fma_f16 v175, v51, v53, v66
	s_wait_alu 0xfffd
	v_add_co_ci_u32_e64 v66, null, s27, v23, vcc_lo
	v_add_co_u32 v49, vcc_lo, v49, v72
	s_wait_alu 0xfffd
	v_add_co_ci_u32_e64 v50, null, 0, v50, vcc_lo
	v_add_co_u32 v65, vcc_lo, v65, v72
	v_pk_fma_f16 v176, v51, v55, v73
	s_wait_alu 0xfffd
	v_add_co_ci_u32_e64 v66, null, 0, v66, vcc_lo
	v_add_co_u32 v73, vcc_lo, s26, v24
	s_wait_alu 0xfffd
	v_add_co_ci_u32_e64 v147, null, s27, v25, vcc_lo
	v_add_co_u32 v148, vcc_lo, s26, v26
	;; [unrolled: 3-line block ×3, first 2 shown]
	v_lshrrev_b32_e32 v179, 16, v4
	v_add_nc_u32_e32 v44, 0x2800, v11
	v_lshrrev_b32_e32 v180, 16, v5
	v_and_b32_e32 v181, 0xffff, v4
	v_and_b32_e32 v182, 0xffff, v5
	v_add_nc_u32_e32 v5, 0x3000, v11
	v_add_nc_u32_e32 v4, 0x3800, v11
	s_wait_alu 0xfffd
	v_add_co_ci_u32_e64 v156, null, 0, v147, vcc_lo
	v_add_co_u32 v72, vcc_lo, v148, v72
	s_wait_alu 0xfffd
	v_add_co_ci_u32_e64 v73, null, 0, v149, vcc_lo
	v_pk_fma_f16 v166, v60, v54, v80
	v_pk_fma_f16 v177, v51, v164, v79
	;; [unrolled: 1-line block ×5, first 2 shown]
	ds_load_2addr_b64 v[53:56], v47 offset0:128 offset1:160
	ds_load_2addr_b64 v[57:60], v47 offset0:192 offset1:224
	ds_load_2addr_b64 v[61:64], v44 offset1:32
	ds_load_2addr_b64 v[79:82], v44 offset0:64 offset1:96
	ds_load_2addr_b64 v[83:86], v44 offset0:128 offset1:160
	ds_load_b128 v[87:90], v39 offset:160
	ds_load_b128 v[91:94], v39 offset:176
	ds_load_2addr_b64 v[95:98], v44 offset0:192 offset1:224
	ds_load_2addr_b64 v[99:102], v5 offset1:32
	ds_load_2addr_b64 v[103:106], v5 offset0:64 offset1:96
	ds_load_2addr_b64 v[107:110], v5 offset0:128 offset1:160
	ds_load_b128 v[111:114], v39 offset:192
	ds_load_b128 v[115:118], v39 offset:208
	;; [unrolled: 6-line block ×3, first 2 shown]
	ds_load_2addr_b64 v[143:146], v4 offset0:192 offset1:224
	s_wait_loadcnt_dscnt 0x0
	s_barrier_signal -1
	s_barrier_wait -1
	global_inv scope:SCOPE_SE
	s_clause 0x3
	global_load_b128 v[147:150], v[49:50], off
	global_load_b128 v[151:154], v[65:66], off
	;; [unrolled: 1-line block ×4, first 2 shown]
	v_mul_u32_u24_e32 v50, 0x10001, v181
	v_mul_u32_u24_e32 v65, 0x10001, v179
	v_mul_u32_u24_e32 v66, 0x10001, v182
	v_mul_u32_u24_e32 v72, 0x10001, v180
	v_pk_fma_f16 v49, v52, v164, v163
	v_pk_fma_f16 v52, v52, v165, v166
	s_wait_loadcnt 0x3
	ds_store_b128 v38, v[147:150]
	s_wait_loadcnt 0x2
	ds_store_b128 v40, v[151:154]
	s_wait_loadcnt 0x1
	ds_store_b128 v41, v[155:158]
	s_wait_loadcnt 0x0
	ds_store_b128 v42, v[159:162]
	v_pk_fma_f16 v73, v53, v50, v167
	v_pk_fma_f16 v163, v53, v65, v168
	v_pk_fma_f16 v164, v53, v66, v169
	v_pk_fma_f16 v53, v53, v72, v170
	v_pk_fma_f16 v165, v54, v50, v171
	v_pk_fma_f16 v166, v54, v65, v172
	v_pk_fma_f16 v168, v55, v50, v175
	v_pk_fma_f16 v169, v55, v65, v176
	v_pk_fma_f16 v170, v55, v66, v177
	v_pk_fma_f16 v51, v55, v72, v51
	v_pk_fma_f16 v50, v56, v50, v67
	v_pk_fma_f16 v55, v56, v65, v178
	v_and_b32_e32 v65, 0xffff, v6
	v_lshrrev_b32_e32 v6, 16, v6
	v_and_b32_e32 v67, 0xffff, v7
	v_pk_fma_f16 v167, v54, v66, v173
	v_lshrrev_b32_e32 v7, 16, v7
	v_pk_fma_f16 v49, v56, v66, v49
	v_mul_u32_u24_e32 v65, 0x10001, v65
	v_mul_u32_u24_e32 v6, 0x10001, v6
	;; [unrolled: 1-line block ×3, first 2 shown]
	v_pk_fma_f16 v54, v54, v72, v174
	v_mul_u32_u24_e32 v7, 0x10001, v7
	v_pk_fma_f16 v52, v56, v72, v52
	v_pk_fma_f16 v56, v57, v65, v73
	;; [unrolled: 1-line block ×7, first 2 shown]
	v_and_b32_e32 v55, 0xffff, v87
	v_pk_fma_f16 v53, v57, v7, v53
	v_pk_fma_f16 v57, v58, v65, v165
	;; [unrolled: 1-line block ×8, first 2 shown]
	v_lshrrev_b32_e32 v59, 16, v87
	v_and_b32_e32 v65, 0xffff, v88
	v_lshrrev_b32_e32 v87, 16, v88
	v_mul_u32_u24_e32 v55, 0x10001, v55
	v_pk_fma_f16 v49, v60, v66, v49
	v_mul_u32_u24_e32 v59, 0x10001, v59
	v_mul_u32_u24_e32 v65, 0x10001, v65
	;; [unrolled: 1-line block ×3, first 2 shown]
	v_pk_fma_f16 v7, v60, v7, v52
	v_pk_fma_f16 v52, v61, v55, v56
	;; [unrolled: 1-line block ×5, first 2 shown]
	v_and_b32_e32 v55, 0xffff, v89
	v_pk_fma_f16 v56, v61, v59, v67
	v_pk_fma_f16 v60, v61, v65, v72
	;; [unrolled: 1-line block ×8, first 2 shown]
	v_lshrrev_b32_e32 v59, 16, v89
	v_mul_u32_u24_e32 v55, 0x10001, v55
	v_pk_fma_f16 v72, v63, v65, v165
	v_pk_fma_f16 v51, v63, v66, v51
	v_and_b32_e32 v63, 0xffff, v90
	v_mul_u32_u24_e32 v59, 0x10001, v59
	v_pk_fma_f16 v52, v79, v55, v52
	v_pk_fma_f16 v57, v80, v55, v57
	;; [unrolled: 1-line block ×4, first 2 shown]
	v_and_b32_e32 v55, 0xffff, v91
	v_pk_fma_f16 v56, v79, v59, v56
	v_pk_fma_f16 v61, v80, v59, v61
	;; [unrolled: 1-line block ×4, first 2 shown]
	v_lshrrev_b32_e32 v59, 16, v91
	v_mul_u32_u24_e32 v55, 0x10001, v55
	v_mul_u32_u24_e32 v63, 0x10001, v63
	v_lshrrev_b32_e32 v73, 16, v90
	v_pk_fma_f16 v49, v64, v65, v49
	v_mul_u32_u24_e32 v59, 0x10001, v59
	v_pk_fma_f16 v52, v83, v55, v52
	v_pk_fma_f16 v57, v84, v55, v57
	;; [unrolled: 1-line block ×4, first 2 shown]
	v_and_b32_e32 v55, 0xffff, v93
	v_pk_fma_f16 v56, v83, v59, v56
	v_pk_fma_f16 v61, v84, v59, v61
	;; [unrolled: 1-line block ×4, first 2 shown]
	v_lshrrev_b32_e32 v59, 16, v93
	v_mul_u32_u24_e32 v55, 0x10001, v55
	v_pk_fma_f16 v7, v64, v66, v7
	v_pk_fma_f16 v64, v80, v63, v67
	v_and_b32_e32 v67, 0xffff, v92
	v_mul_u32_u24_e32 v59, 0x10001, v59
	v_pk_fma_f16 v52, v95, v55, v52
	v_pk_fma_f16 v57, v96, v55, v57
	;; [unrolled: 1-line block ×4, first 2 shown]
	v_and_b32_e32 v55, 0xffff, v111
	v_pk_fma_f16 v56, v95, v59, v56
	v_pk_fma_f16 v61, v96, v59, v61
	;; [unrolled: 1-line block ×4, first 2 shown]
	v_lshrrev_b32_e32 v59, 16, v111
	v_mul_u32_u24_e32 v55, 0x10001, v55
	v_mul_u32_u24_e32 v65, 0x10001, v73
	v_pk_fma_f16 v60, v79, v63, v60
	v_pk_fma_f16 v66, v81, v63, v72
	v_mul_u32_u24_e32 v59, 0x10001, v59
	v_pk_fma_f16 v52, v99, v55, v52
	v_pk_fma_f16 v57, v100, v55, v57
	;; [unrolled: 1-line block ×4, first 2 shown]
	v_and_b32_e32 v55, 0xffff, v113
	v_pk_fma_f16 v56, v99, v59, v56
	v_pk_fma_f16 v61, v100, v59, v61
	;; [unrolled: 1-line block ×4, first 2 shown]
	v_lshrrev_b32_e32 v59, 16, v113
	v_mul_u32_u24_e32 v55, 0x10001, v55
	v_lshrrev_b32_e32 v72, 16, v92
	v_pk_fma_f16 v49, v82, v63, v49
	v_mul_u32_u24_e32 v63, 0x10001, v67
	v_mul_u32_u24_e32 v59, 0x10001, v59
	v_pk_fma_f16 v52, v103, v55, v52
	v_pk_fma_f16 v57, v104, v55, v57
	;; [unrolled: 1-line block ×4, first 2 shown]
	v_and_b32_e32 v55, 0xffff, v115
	v_pk_fma_f16 v53, v79, v65, v53
	v_pk_fma_f16 v54, v80, v65, v54
	;; [unrolled: 1-line block ×3, first 2 shown]
	v_mul_u32_u24_e32 v67, 0x10001, v72
	v_pk_fma_f16 v7, v82, v65, v7
	v_pk_fma_f16 v65, v85, v63, v66
	v_and_b32_e32 v66, 0xffff, v94
	v_lshrrev_b32_e32 v72, 16, v94
	v_pk_fma_f16 v56, v103, v59, v56
	v_pk_fma_f16 v61, v104, v59, v61
	;; [unrolled: 1-line block ×4, first 2 shown]
	v_lshrrev_b32_e32 v59, 16, v115
	v_mul_u32_u24_e32 v55, 0x10001, v55
	v_pk_fma_f16 v60, v83, v63, v60
	v_pk_fma_f16 v53, v83, v67, v53
	;; [unrolled: 1-line block ×6, first 2 shown]
	v_mul_u32_u24_e32 v63, 0x10001, v66
	v_mul_u32_u24_e32 v66, 0x10001, v72
	v_pk_fma_f16 v7, v86, v67, v7
	v_and_b32_e32 v67, 0xffff, v112
	v_lshrrev_b32_e32 v72, 16, v112
	v_mul_u32_u24_e32 v59, 0x10001, v59
	v_pk_fma_f16 v52, v107, v55, v52
	v_pk_fma_f16 v57, v108, v55, v57
	;; [unrolled: 1-line block ×4, first 2 shown]
	v_and_b32_e32 v55, 0xffff, v117
	v_pk_fma_f16 v60, v95, v63, v60
	v_pk_fma_f16 v53, v95, v66, v53
	;; [unrolled: 1-line block ×7, first 2 shown]
	v_mul_u32_u24_e32 v63, 0x10001, v67
	v_mul_u32_u24_e32 v67, 0x10001, v72
	v_pk_fma_f16 v7, v98, v66, v7
	v_and_b32_e32 v66, 0xffff, v114
	v_lshrrev_b32_e32 v72, 16, v114
	v_pk_fma_f16 v56, v107, v59, v56
	v_pk_fma_f16 v61, v108, v59, v61
	;; [unrolled: 1-line block ×4, first 2 shown]
	v_lshrrev_b32_e32 v59, 16, v117
	v_mul_u32_u24_e32 v55, 0x10001, v55
	v_pk_fma_f16 v60, v99, v63, v60
	v_pk_fma_f16 v53, v99, v67, v53
	v_pk_fma_f16 v64, v100, v63, v64
	v_pk_fma_f16 v54, v100, v67, v54
	v_pk_fma_f16 v65, v101, v63, v65
	v_pk_fma_f16 v51, v101, v67, v51
	v_pk_fma_f16 v49, v102, v63, v49
	v_mul_u32_u24_e32 v63, 0x10001, v66
	v_mul_u32_u24_e32 v66, 0x10001, v72
	v_pk_fma_f16 v7, v102, v67, v7
	v_and_b32_e32 v67, 0xffff, v116
	v_lshrrev_b32_e32 v72, 16, v116
	v_mul_u32_u24_e32 v59, 0x10001, v59
	v_pk_fma_f16 v52, v119, v55, v52
	v_pk_fma_f16 v57, v120, v55, v57
	;; [unrolled: 1-line block ×4, first 2 shown]
	v_and_b32_e32 v55, 0xffff, v135
	v_pk_fma_f16 v60, v103, v63, v60
	v_pk_fma_f16 v53, v103, v66, v53
	;; [unrolled: 1-line block ×7, first 2 shown]
	v_mul_u32_u24_e32 v63, 0x10001, v67
	v_mul_u32_u24_e32 v67, 0x10001, v72
	v_pk_fma_f16 v7, v106, v66, v7
	v_and_b32_e32 v66, 0xffff, v118
	v_lshrrev_b32_e32 v72, 16, v118
	v_pk_fma_f16 v56, v119, v59, v56
	v_pk_fma_f16 v61, v120, v59, v61
	;; [unrolled: 1-line block ×4, first 2 shown]
	v_lshrrev_b32_e32 v59, 16, v135
	v_mul_u32_u24_e32 v55, 0x10001, v55
	v_pk_fma_f16 v60, v107, v63, v60
	v_pk_fma_f16 v53, v107, v67, v53
	v_pk_fma_f16 v64, v108, v63, v64
	v_pk_fma_f16 v54, v108, v67, v54
	v_pk_fma_f16 v65, v109, v63, v65
	v_pk_fma_f16 v51, v109, v67, v51
	v_pk_fma_f16 v49, v110, v63, v49
	v_mul_u32_u24_e32 v63, 0x10001, v66
	v_mul_u32_u24_e32 v66, 0x10001, v72
	v_pk_fma_f16 v7, v110, v67, v7
	v_and_b32_e32 v67, 0xffff, v136
	v_lshrrev_b32_e32 v72, 16, v136
	v_mul_u32_u24_e32 v59, 0x10001, v59
	v_pk_fma_f16 v52, v123, v55, v52
	v_pk_fma_f16 v57, v124, v55, v57
	;; [unrolled: 1-line block ×4, first 2 shown]
	v_and_b32_e32 v55, 0xffff, v137
	v_pk_fma_f16 v60, v119, v63, v60
	v_pk_fma_f16 v53, v119, v66, v53
	;; [unrolled: 1-line block ×7, first 2 shown]
	v_mul_u32_u24_e32 v63, 0x10001, v67
	v_mul_u32_u24_e32 v67, 0x10001, v72
	v_pk_fma_f16 v7, v122, v66, v7
	v_pk_fma_f16 v56, v123, v59, v56
	;; [unrolled: 1-line block ×5, first 2 shown]
	v_lshrrev_b32_e32 v59, 16, v137
	v_and_b32_e32 v66, 0xffff, v138
	v_lshrrev_b32_e32 v72, 16, v138
	v_mul_u32_u24_e32 v55, 0x10001, v55
	v_pk_fma_f16 v60, v123, v63, v60
	v_pk_fma_f16 v53, v123, v67, v53
	v_pk_fma_f16 v64, v124, v63, v64
	v_pk_fma_f16 v54, v124, v67, v54
	v_pk_fma_f16 v65, v125, v63, v65
	v_pk_fma_f16 v51, v125, v67, v51
	v_pk_fma_f16 v49, v126, v63, v49
	v_mul_u32_u24_e32 v59, 0x10001, v59
	v_mul_u32_u24_e32 v63, 0x10001, v66
	;; [unrolled: 1-line block ×3, first 2 shown]
	v_pk_fma_f16 v7, v126, v67, v7
	v_pk_fma_f16 v52, v127, v55, v52
	;; [unrolled: 1-line block ×5, first 2 shown]
	v_and_b32_e32 v55, 0xffff, v139
	v_and_b32_e32 v67, 0xffff, v140
	v_lshrrev_b32_e32 v72, 16, v140
	v_pk_fma_f16 v56, v127, v59, v56
	v_pk_fma_f16 v60, v127, v63, v60
	;; [unrolled: 1-line block ×8, first 2 shown]
	v_lshrrev_b32_e32 v59, 16, v139
	v_pk_fma_f16 v49, v130, v63, v49
	v_mul_u32_u24_e32 v55, 0x10001, v55
	v_mul_u32_u24_e32 v63, 0x10001, v67
	;; [unrolled: 1-line block ×3, first 2 shown]
	v_pk_fma_f16 v53, v127, v66, v53
	v_pk_fma_f16 v54, v128, v66, v54
	v_mul_u32_u24_e32 v59, 0x10001, v59
	v_pk_fma_f16 v7, v130, v66, v7
	v_pk_fma_f16 v66, v131, v55, v52
	;; [unrolled: 1-line block ×4, first 2 shown]
	v_and_b32_e32 v50, 0xffff, v141
	v_lshrrev_b32_e32 v51, 16, v141
	v_and_b32_e32 v52, 0xffff, v142
	v_pk_fma_f16 v56, v131, v59, v56
	v_pk_fma_f16 v60, v131, v63, v60
	v_pk_fma_f16 v57, v132, v55, v57
	v_pk_fma_f16 v61, v132, v59, v61
	v_pk_fma_f16 v64, v132, v63, v64
	v_pk_fma_f16 v58, v133, v55, v58
	v_pk_fma_f16 v62, v133, v59, v62
	v_pk_fma_f16 v65, v133, v63, v65
	v_pk_fma_f16 v6, v134, v59, v6
	v_pk_fma_f16 v59, v134, v63, v49
	v_lshrrev_b32_e32 v55, 16, v142
	v_mul_u32_u24_e32 v63, 0x10001, v50
	v_mul_u32_u24_e32 v79, 0x10001, v51
	v_mul_u32_u24_e32 v80, 0x10001, v52
	s_wait_dscnt 0x0
	s_barrier_signal -1
	s_barrier_wait -1
	global_inv scope:SCOPE_SE
	ds_load_b128 v[49:52], v39 offset:256
	v_pk_fma_f16 v53, v131, v67, v53
	v_pk_fma_f16 v54, v132, v67, v54
	v_mul_u32_u24_e32 v81, 0x10001, v55
	v_pk_fma_f16 v7, v134, v67, v7
	v_pk_fma_f16 v67, v143, v79, v56
	;; [unrolled: 1-line block ×6, first 2 shown]
	ds_load_2addr_b64 v[53:56], v11 offset1:32
	v_pk_fma_f16 v87, v144, v79, v61
	v_pk_fma_f16 v90, v145, v63, v58
	;; [unrolled: 1-line block ×4, first 2 shown]
	ds_load_b128 v[57:60], v39 offset:272
	v_pk_fma_f16 v66, v143, v63, v66
	v_pk_fma_f16 v88, v144, v80, v64
	;; [unrolled: 1-line block ×4, first 2 shown]
	s_wait_dscnt 0x2
	v_and_b32_e32 v61, 0xffff, v49
	v_lshrrev_b32_e32 v49, 16, v49
	v_and_b32_e32 v62, 0xffff, v50
	v_lshrrev_b32_e32 v50, 16, v50
	v_pk_fma_f16 v73, v146, v63, v73
	v_mul_u32_u24_e32 v93, 0x10001, v61
	v_mul_u32_u24_e32 v49, 0x10001, v49
	;; [unrolled: 1-line block ×4, first 2 shown]
	v_pk_fma_f16 v6, v146, v79, v6
	v_pk_fma_f16 v7, v146, v81, v7
	ds_load_b128 v[61:64], v39 offset:288
	ds_load_b128 v[79:82], v39 offset:304
	s_wait_dscnt 0x3
	v_pk_fma_f16 v66, v53, v93, v66
	v_pk_fma_f16 v67, v53, v49, v67
	;; [unrolled: 1-line block ×5, first 2 shown]
	ds_load_2addr_b64 v[83:86], v11 offset0:64 offset1:96
	v_pk_fma_f16 v87, v54, v49, v87
	v_pk_fma_f16 v88, v54, v94, v88
	;; [unrolled: 1-line block ×9, first 2 shown]
	v_and_b32_e32 v49, 0xffff, v51
	v_lshrrev_b32_e32 v51, 16, v51
	v_and_b32_e32 v73, 0xffff, v52
	v_lshrrev_b32_e32 v52, 16, v52
	v_pk_fma_f16 v91, v56, v94, v92
	v_mul_u32_u24_e32 v92, 0x10001, v49
	v_mul_u32_u24_e32 v93, 0x10001, v51
	v_pk_fma_f16 v7, v56, v50, v7
	v_mul_u32_u24_e32 v94, 0x10001, v52
	ds_load_2addr_b64 v[49:52], v11 offset0:128 offset1:160
	v_mul_u32_u24_e32 v73, 0x10001, v73
	s_wait_dscnt 0x1
	v_pk_fma_f16 v56, v83, v92, v66
	v_pk_fma_f16 v66, v83, v93, v67
	;; [unrolled: 1-line block ×12, first 2 shown]
	v_and_b32_e32 v54, 0xffff, v57
	v_lshrrev_b32_e32 v55, 16, v57
	v_and_b32_e32 v57, 0xffff, v58
	v_lshrrev_b32_e32 v58, 16, v58
	v_pk_fma_f16 v72, v86, v92, v72
	v_pk_fma_f16 v73, v86, v73, v91
	v_mul_u32_u24_e32 v91, 0x10001, v54
	v_mul_u32_u24_e32 v92, 0x10001, v55
	;; [unrolled: 1-line block ×4, first 2 shown]
	v_pk_fma_f16 v6, v86, v93, v6
	v_pk_fma_f16 v7, v86, v94, v7
	s_wait_dscnt 0x0
	v_pk_fma_f16 v86, v49, v91, v56
	v_pk_fma_f16 v66, v49, v92, v66
	;; [unrolled: 1-line block ×4, first 2 shown]
	ds_load_2addr_b64 v[53:56], v11 offset0:192 offset1:224
	v_pk_fma_f16 v83, v50, v91, v83
	v_pk_fma_f16 v87, v50, v92, v87
	;; [unrolled: 1-line block ×8, first 2 shown]
	v_and_b32_e32 v50, 0xffff, v59
	v_lshrrev_b32_e32 v51, 16, v59
	v_and_b32_e32 v59, 0xffff, v60
	v_lshrrev_b32_e32 v60, 16, v60
	v_pk_fma_f16 v72, v52, v91, v72
	v_pk_fma_f16 v57, v52, v57, v73
	v_mul_u32_u24_e32 v73, 0x10001, v50
	v_mul_u32_u24_e32 v91, 0x10001, v51
	;; [unrolled: 1-line block ×4, first 2 shown]
	v_pk_fma_f16 v6, v52, v92, v6
	v_pk_fma_f16 v7, v52, v58, v7
	s_wait_dscnt 0x0
	v_pk_fma_f16 v58, v53, v73, v86
	v_pk_fma_f16 v66, v53, v91, v66
	v_pk_fma_f16 v67, v53, v59, v67
	v_pk_fma_f16 v53, v53, v60, v49
	ds_load_2addr_b64 v[49:52], v48 offset1:32
	v_pk_fma_f16 v83, v54, v73, v83
	v_pk_fma_f16 v86, v54, v91, v87
	;; [unrolled: 1-line block ×8, first 2 shown]
	v_and_b32_e32 v54, 0xffff, v61
	v_lshrrev_b32_e32 v55, 16, v61
	v_and_b32_e32 v61, 0xffff, v62
	v_lshrrev_b32_e32 v62, 16, v62
	v_pk_fma_f16 v72, v56, v73, v72
	v_pk_fma_f16 v57, v56, v59, v57
	v_mul_u32_u24_e32 v59, 0x10001, v54
	v_mul_u32_u24_e32 v73, 0x10001, v55
	;; [unrolled: 1-line block ×4, first 2 shown]
	v_pk_fma_f16 v6, v56, v91, v6
	v_pk_fma_f16 v7, v56, v60, v7
	s_wait_dscnt 0x0
	v_pk_fma_f16 v58, v49, v59, v58
	v_pk_fma_f16 v60, v49, v73, v66
	;; [unrolled: 1-line block ×4, first 2 shown]
	ds_load_2addr_b64 v[53:56], v48 offset0:64 offset1:96
	v_pk_fma_f16 v67, v50, v59, v83
	v_pk_fma_f16 v83, v50, v73, v86
	;; [unrolled: 1-line block ×8, first 2 shown]
	v_and_b32_e32 v50, 0xffff, v63
	v_lshrrev_b32_e32 v51, 16, v63
	v_and_b32_e32 v63, 0xffff, v64
	v_lshrrev_b32_e32 v64, 16, v64
	v_pk_fma_f16 v59, v52, v59, v72
	v_pk_fma_f16 v57, v52, v61, v57
	v_mul_u32_u24_e32 v61, 0x10001, v50
	v_mul_u32_u24_e32 v72, 0x10001, v51
	;; [unrolled: 1-line block ×4, first 2 shown]
	v_pk_fma_f16 v6, v52, v73, v6
	v_pk_fma_f16 v7, v52, v62, v7
	s_wait_dscnt 0x0
	v_pk_fma_f16 v58, v53, v61, v58
	v_pk_fma_f16 v60, v53, v72, v60
	;; [unrolled: 1-line block ×4, first 2 shown]
	ds_load_2addr_b64 v[49:52], v48 offset0:128 offset1:160
	v_pk_fma_f16 v66, v54, v61, v67
	v_pk_fma_f16 v67, v54, v72, v83
	;; [unrolled: 1-line block ×5, first 2 shown]
	v_lshrrev_b32_e32 v72, 16, v80
	v_pk_fma_f16 v83, v54, v64, v84
	v_pk_fma_f16 v84, v55, v61, v87
	;; [unrolled: 1-line block ×5, first 2 shown]
	v_and_b32_e32 v54, 0xffff, v79
	v_lshrrev_b32_e32 v55, 16, v79
	v_and_b32_e32 v61, 0xffff, v80
	v_mul_u32_u24_e32 v72, 0x10001, v72
	v_pk_fma_f16 v57, v56, v63, v57
	v_mul_u32_u24_e32 v63, 0x10001, v54
	v_mul_u32_u24_e32 v79, 0x10001, v55
	;; [unrolled: 1-line block ×3, first 2 shown]
	v_pk_fma_f16 v7, v56, v64, v7
	s_wait_dscnt 0x0
	v_pk_fma_f16 v64, v49, v72, v53
	ds_load_2addr_b64 v[53:56], v48 offset0:192 offset1:224
	v_pk_fma_f16 v58, v49, v63, v58
	v_pk_fma_f16 v60, v49, v79, v60
	;; [unrolled: 1-line block ×3, first 2 shown]
	v_and_b32_e32 v48, 0xffff, v81
	v_lshrrev_b32_e32 v49, 16, v81
	v_pk_fma_f16 v66, v50, v63, v66
	v_pk_fma_f16 v67, v50, v79, v67
	;; [unrolled: 1-line block ×9, first 2 shown]
	v_mul_u32_u24_e32 v79, 0x10001, v48
	v_mul_u32_u24_e32 v81, 0x10001, v49
	ds_load_b128 v[48:51], v39 offset:320
	v_pk_fma_f16 v63, v52, v63, v59
	v_pk_fma_f16 v61, v52, v61, v57
	v_and_b32_e32 v57, 0xffff, v82
	v_lshrrev_b32_e32 v59, 16, v82
	v_pk_fma_f16 v7, v52, v72, v7
	s_wait_dscnt 0x1
	v_pk_fma_f16 v72, v53, v79, v58
	v_pk_fma_f16 v87, v53, v81, v60
	v_mul_u32_u24_e32 v82, 0x10001, v57
	v_mul_u32_u24_e32 v86, 0x10001, v59
	ds_load_2addr_b64 v[57:60], v45 offset1:32
	v_pk_fma_f16 v66, v54, v79, v66
	v_pk_fma_f16 v67, v54, v81, v67
	;; [unrolled: 1-line block ×12, first 2 shown]
	ds_load_b128 v[52:55], v39 offset:336
	s_wait_dscnt 0x2
	v_and_b32_e32 v63, 0xffff, v48
	v_lshrrev_b32_e32 v48, 16, v48
	v_and_b32_e32 v81, 0xffff, v49
	v_lshrrev_b32_e32 v49, 16, v49
	v_pk_fma_f16 v82, v56, v82, v61
	v_mul_u32_u24_e32 v88, 0x10001, v63
	v_mul_u32_u24_e32 v48, 0x10001, v48
	;; [unrolled: 1-line block ×4, first 2 shown]
	v_pk_fma_f16 v7, v56, v86, v7
	s_wait_dscnt 0x1
	v_pk_fma_f16 v56, v57, v88, v72
	v_pk_fma_f16 v72, v57, v48, v87
	;; [unrolled: 1-line block ×4, first 2 shown]
	ds_load_2addr_b64 v[61:64], v45 offset0:64 offset1:96
	v_pk_fma_f16 v66, v58, v88, v66
	v_pk_fma_f16 v67, v58, v48, v67
	;; [unrolled: 1-line block ×7, first 2 shown]
	v_and_b32_e32 v48, 0xffff, v50
	v_lshrrev_b32_e32 v50, 16, v50
	v_and_b32_e32 v84, 0xffff, v51
	v_lshrrev_b32_e32 v51, 16, v51
	v_pk_fma_f16 v65, v59, v81, v65
	v_pk_fma_f16 v59, v59, v49, v85
	;; [unrolled: 1-line block ×3, first 2 shown]
	v_mul_u32_u24_e32 v82, 0x10001, v48
	v_mul_u32_u24_e32 v85, 0x10001, v50
	;; [unrolled: 1-line block ×3, first 2 shown]
	v_pk_fma_f16 v7, v60, v49, v7
	ds_load_2addr_b64 v[48:51], v45 offset0:128 offset1:160
	v_mul_u32_u24_e32 v84, 0x10001, v84
	v_pk_fma_f16 v79, v60, v88, v79
	s_wait_dscnt 0x1
	v_pk_fma_f16 v56, v61, v82, v56
	v_pk_fma_f16 v60, v61, v85, v72
	;; [unrolled: 1-line block ×12, first 2 shown]
	v_and_b32_e32 v58, 0xffff, v52
	v_lshrrev_b32_e32 v52, 16, v52
	v_and_b32_e32 v59, 0xffff, v53
	v_lshrrev_b32_e32 v53, 16, v53
	v_pk_fma_f16 v79, v64, v82, v79
	v_pk_fma_f16 v81, v64, v84, v81
	v_mul_u32_u24_e32 v82, 0x10001, v58
	v_mul_u32_u24_e32 v52, 0x10001, v52
	;; [unrolled: 1-line block ×4, first 2 shown]
	v_pk_fma_f16 v6, v64, v85, v6
	v_pk_fma_f16 v7, v64, v87, v7
	s_wait_dscnt 0x0
	v_pk_fma_f16 v64, v48, v82, v56
	v_pk_fma_f16 v60, v48, v52, v60
	v_pk_fma_f16 v72, v48, v83, v72
	v_pk_fma_f16 v48, v48, v84, v57
	ds_load_2addr_b64 v[56:59], v45 offset0:192 offset1:224
	v_pk_fma_f16 v61, v49, v82, v61
	v_pk_fma_f16 v66, v49, v52, v66
	v_pk_fma_f16 v45, v49, v83, v67
	v_pk_fma_f16 v62, v49, v84, v62
	v_pk_fma_f16 v67, v50, v82, v73
	v_pk_fma_f16 v73, v50, v52, v80
	v_pk_fma_f16 v65, v50, v83, v65
	v_pk_fma_f16 v63, v50, v84, v63
	v_pk_fma_f16 v79, v51, v82, v79
	v_pk_fma_f16 v6, v51, v52, v6
	v_and_b32_e32 v49, 0xffff, v54
	v_lshrrev_b32_e32 v50, 16, v54
	v_pk_fma_f16 v80, v51, v83, v81
	v_and_b32_e32 v81, 0xffff, v55
	v_lshrrev_b32_e32 v82, 16, v55
	ds_load_b128 v[52:55], v39 offset:352
	v_mul_u32_u24_e32 v83, 0x10001, v49
	v_mul_u32_u24_e32 v85, 0x10001, v50
	;; [unrolled: 1-line block ×4, first 2 shown]
	v_pk_fma_f16 v7, v51, v84, v7
	s_wait_dscnt 0x1
	v_pk_fma_f16 v64, v56, v83, v64
	v_pk_fma_f16 v84, v56, v85, v60
	;; [unrolled: 1-line block ×4, first 2 shown]
	ds_load_2addr_b64 v[48:51], v46 offset1:32
	v_pk_fma_f16 v86, v57, v83, v61
	v_pk_fma_f16 v66, v57, v85, v66
	;; [unrolled: 1-line block ×8, first 2 shown]
	ds_load_b128 v[60:63], v39 offset:368
	s_wait_dscnt 0x2
	v_and_b32_e32 v57, 0xffff, v52
	v_lshrrev_b32_e32 v52, 16, v52
	v_and_b32_e32 v58, 0xffff, v53
	v_lshrrev_b32_e32 v53, 16, v53
	v_pk_fma_f16 v79, v59, v83, v79
	v_pk_fma_f16 v80, v59, v81, v80
	v_mul_u32_u24_e32 v81, 0x10001, v57
	v_mul_u32_u24_e32 v52, 0x10001, v52
	;; [unrolled: 1-line block ×4, first 2 shown]
	v_pk_fma_f16 v6, v59, v85, v6
	v_pk_fma_f16 v7, v59, v82, v7
	s_wait_dscnt 0x1
	v_pk_fma_f16 v64, v48, v81, v64
	v_pk_fma_f16 v82, v48, v52, v84
	;; [unrolled: 1-line block ×4, first 2 shown]
	ds_load_2addr_b64 v[56:59], v46 offset0:64 offset1:96
	v_pk_fma_f16 v84, v49, v81, v86
	v_pk_fma_f16 v66, v49, v52, v66
	v_pk_fma_f16 v45, v49, v83, v45
	v_pk_fma_f16 v85, v49, v53, v87
	v_pk_fma_f16 v67, v50, v81, v67
	v_pk_fma_f16 v73, v50, v52, v73
	v_pk_fma_f16 v65, v50, v83, v65
	v_pk_fma_f16 v86, v50, v53, v88
	v_pk_fma_f16 v6, v51, v52, v6
	v_and_b32_e32 v49, 0xffff, v54
	v_lshrrev_b32_e32 v50, 16, v54
	v_and_b32_e32 v52, 0xffff, v55
	v_lshrrev_b32_e32 v54, 16, v55
	v_pk_fma_f16 v79, v51, v81, v79
	v_pk_fma_f16 v55, v51, v83, v80
	v_mul_u32_u24_e32 v80, 0x10001, v49
	v_mul_u32_u24_e32 v81, 0x10001, v50
	;; [unrolled: 1-line block ×4, first 2 shown]
	v_pk_fma_f16 v7, v51, v53, v7
	s_wait_dscnt 0x0
	v_pk_fma_f16 v53, v56, v80, v64
	v_pk_fma_f16 v64, v56, v81, v82
	;; [unrolled: 1-line block ×4, first 2 shown]
	ds_load_2addr_b64 v[48:51], v46 offset0:128 offset1:160
	v_pk_fma_f16 v82, v57, v80, v84
	v_pk_fma_f16 v67, v58, v80, v67
	;; [unrolled: 1-line block ×3, first 2 shown]
	v_and_b32_e32 v80, 0xffff, v60
	v_pk_fma_f16 v66, v57, v81, v66
	v_pk_fma_f16 v45, v57, v52, v45
	;; [unrolled: 1-line block ×4, first 2 shown]
	v_mul_u32_u24_e32 v80, 0x10001, v80
	v_pk_fma_f16 v65, v58, v52, v65
	v_pk_fma_f16 v58, v58, v54, v86
	;; [unrolled: 1-line block ×3, first 2 shown]
	v_lshrrev_b32_e32 v60, 16, v60
	v_and_b32_e32 v81, 0xffff, v61
	v_lshrrev_b32_e32 v61, 16, v61
	v_pk_fma_f16 v83, v59, v52, v55
	v_pk_fma_f16 v7, v59, v54, v7
	v_mul_u32_u24_e32 v60, 0x10001, v60
	v_mul_u32_u24_e32 v81, 0x10001, v81
	s_wait_dscnt 0x0
	v_pk_fma_f16 v84, v48, v80, v53
	ds_load_2addr_b64 v[52:55], v46 offset0:192 offset1:224
	v_mul_u32_u24_e32 v61, 0x10001, v61
	v_pk_fma_f16 v64, v48, v60, v64
	v_pk_fma_f16 v72, v48, v81, v72
	;; [unrolled: 1-line block ×12, first 2 shown]
	v_and_b32_e32 v49, 0xffff, v62
	v_lshrrev_b32_e32 v50, 16, v62
	v_and_b32_e32 v60, 0xffff, v63
	v_lshrrev_b32_e32 v62, 16, v63
	ds_load_b128 v[56:59], v39 offset:384
	v_pk_fma_f16 v79, v51, v80, v79
	v_pk_fma_f16 v80, v51, v81, v83
	v_mul_u32_u24_e32 v63, 0x10001, v49
	v_mul_u32_u24_e32 v81, 0x10001, v50
	;; [unrolled: 1-line block ×4, first 2 shown]
	v_pk_fma_f16 v7, v51, v61, v7
	s_wait_dscnt 0x1
	v_pk_fma_f16 v84, v52, v63, v84
	v_pk_fma_f16 v64, v52, v81, v64
	;; [unrolled: 1-line block ×4, first 2 shown]
	ds_load_2addr_b64 v[48:51], v47 offset1:32
	v_pk_fma_f16 v82, v53, v63, v82
	v_pk_fma_f16 v66, v53, v81, v66
	;; [unrolled: 1-line block ×9, first 2 shown]
	ds_load_b128 v[60:63], v39 offset:400
	s_wait_dscnt 0x2
	v_and_b32_e32 v53, 0xffff, v56
	v_lshrrev_b32_e32 v54, 16, v56
	v_and_b32_e32 v56, 0xffff, v57
	v_lshrrev_b32_e32 v57, 16, v57
	v_pk_fma_f16 v6, v55, v81, v6
	v_pk_fma_f16 v80, v55, v83, v80
	v_mul_u32_u24_e32 v81, 0x10001, v53
	v_mul_u32_u24_e32 v83, 0x10001, v54
	v_mul_u32_u24_e32 v56, 0x10001, v56
	v_mul_u32_u24_e32 v57, 0x10001, v57
	v_pk_fma_f16 v7, v55, v86, v7
	s_wait_dscnt 0x1
	v_pk_fma_f16 v84, v48, v81, v84
	v_pk_fma_f16 v64, v48, v83, v64
	v_pk_fma_f16 v72, v48, v56, v72
	v_pk_fma_f16 v48, v48, v57, v52
	ds_load_2addr_b64 v[52:55], v47 offset0:64 offset1:96
	v_pk_fma_f16 v82, v49, v81, v82
	v_pk_fma_f16 v66, v49, v83, v66
	;; [unrolled: 1-line block ×8, first 2 shown]
	v_and_b32_e32 v49, 0xffff, v58
	v_lshrrev_b32_e32 v50, 16, v58
	v_and_b32_e32 v58, 0xffff, v59
	v_lshrrev_b32_e32 v59, 16, v59
	v_pk_fma_f16 v79, v51, v81, v79
	v_pk_fma_f16 v56, v51, v56, v80
	v_mul_u32_u24_e32 v80, 0x10001, v49
	v_mul_u32_u24_e32 v81, 0x10001, v50
	;; [unrolled: 1-line block ×4, first 2 shown]
	v_pk_fma_f16 v6, v51, v83, v6
	v_pk_fma_f16 v7, v51, v57, v7
	s_wait_dscnt 0x0
	v_pk_fma_f16 v57, v52, v80, v84
	v_pk_fma_f16 v64, v52, v81, v64
	v_pk_fma_f16 v72, v52, v58, v72
	v_pk_fma_f16 v52, v52, v59, v48
	ds_load_2addr_b64 v[48:51], v47 offset0:128 offset1:160
	v_pk_fma_f16 v82, v53, v80, v82
	v_pk_fma_f16 v66, v53, v81, v66
	;; [unrolled: 1-line block ×4, first 2 shown]
	v_and_b32_e32 v45, 0xffff, v60
	v_lshrrev_b32_e32 v46, 16, v60
	v_and_b32_e32 v60, 0xffff, v61
	v_lshrrev_b32_e32 v61, 16, v61
	v_pk_fma_f16 v67, v54, v80, v67
	v_pk_fma_f16 v65, v54, v58, v65
	;; [unrolled: 1-line block ×4, first 2 shown]
	v_mul_u32_u24_e32 v58, 0x10001, v45
	v_mul_u32_u24_e32 v80, 0x10001, v46
	;; [unrolled: 1-line block ×4, first 2 shown]
	v_pk_fma_f16 v73, v54, v81, v73
	v_pk_fma_f16 v54, v54, v59, v85
	;; [unrolled: 1-line block ×3, first 2 shown]
	s_wait_dscnt 0x0
	v_pk_fma_f16 v57, v48, v58, v57
	v_pk_fma_f16 v59, v48, v80, v64
	;; [unrolled: 1-line block ×4, first 2 shown]
	ds_load_2addr_b64 v[45:48], v47 offset0:192 offset1:224
	v_pk_fma_f16 v6, v55, v81, v6
	v_pk_fma_f16 v81, v49, v58, v82
	;; [unrolled: 1-line block ×5, first 2 shown]
	v_and_b32_e32 v52, 0xffff, v62
	v_lshrrev_b32_e32 v53, 16, v62
	v_pk_fma_f16 v67, v50, v58, v67
	v_pk_fma_f16 v73, v50, v80, v73
	v_pk_fma_f16 v65, v50, v60, v65
	v_pk_fma_f16 v50, v50, v61, v54
	v_pk_fma_f16 v6, v51, v80, v6
	v_pk_fma_f16 v80, v51, v60, v56
	v_mul_u32_u24_e32 v60, 0x10001, v52
	v_mul_u32_u24_e32 v62, 0x10001, v53
	ds_load_b128 v[52:55], v39 offset:416
	v_pk_fma_f16 v79, v51, v58, v79
	v_and_b32_e32 v56, 0xffff, v63
	v_lshrrev_b32_e32 v58, 16, v63
	v_pk_fma_f16 v7, v51, v61, v7
	s_wait_dscnt 0x1
	v_pk_fma_f16 v51, v45, v60, v57
	v_pk_fma_f16 v85, v45, v62, v59
	v_mul_u32_u24_e32 v83, 0x10001, v56
	v_mul_u32_u24_e32 v84, 0x10001, v58
	ds_load_2addr_b64 v[56:59], v44 offset1:32
	v_pk_fma_f16 v66, v46, v62, v66
	v_pk_fma_f16 v67, v47, v60, v67
	;; [unrolled: 1-line block ×12, first 2 shown]
	ds_load_b128 v[60:63], v39 offset:432
	s_wait_dscnt 0x2
	v_and_b32_e32 v46, 0xffff, v52
	v_lshrrev_b32_e32 v47, 16, v52
	v_and_b32_e32 v52, 0xffff, v53
	v_lshrrev_b32_e32 v53, 16, v53
	v_pk_fma_f16 v80, v48, v83, v80
	v_mul_u32_u24_e32 v82, 0x10001, v46
	v_mul_u32_u24_e32 v83, 0x10001, v47
	;; [unrolled: 1-line block ×4, first 2 shown]
	v_pk_fma_f16 v7, v48, v84, v7
	s_wait_dscnt 0x1
	v_pk_fma_f16 v51, v56, v82, v51
	v_pk_fma_f16 v84, v56, v83, v85
	;; [unrolled: 1-line block ×4, first 2 shown]
	ds_load_2addr_b64 v[45:48], v44 offset0:64 offset1:96
	v_pk_fma_f16 v72, v57, v82, v72
	v_pk_fma_f16 v66, v57, v83, v66
	;; [unrolled: 1-line block ×4, first 2 shown]
	v_and_b32_e32 v49, 0xffff, v54
	v_pk_fma_f16 v67, v58, v82, v67
	v_pk_fma_f16 v73, v58, v83, v73
	;; [unrolled: 1-line block ×5, first 2 shown]
	v_lshrrev_b32_e32 v50, 16, v54
	v_mul_u32_u24_e32 v82, 0x10001, v49
	v_pk_fma_f16 v6, v59, v83, v6
	v_and_b32_e32 v54, 0xffff, v55
	v_lshrrev_b32_e32 v55, 16, v55
	v_pk_fma_f16 v80, v59, v52, v80
	v_mul_u32_u24_e32 v83, 0x10001, v50
	v_pk_fma_f16 v7, v59, v53, v7
	v_mul_u32_u24_e32 v54, 0x10001, v54
	s_wait_dscnt 0x0
	v_pk_fma_f16 v53, v45, v82, v51
	ds_load_2addr_b64 v[49:52], v44 offset0:128 offset1:160
	v_mul_u32_u24_e32 v55, 0x10001, v55
	v_pk_fma_f16 v59, v45, v83, v84
	v_pk_fma_f16 v64, v45, v54, v64
	;; [unrolled: 1-line block ×11, first 2 shown]
	v_and_b32_e32 v46, 0xffff, v60
	v_lshrrev_b32_e32 v47, 16, v60
	v_and_b32_e32 v60, 0xffff, v61
	v_lshrrev_b32_e32 v61, 16, v61
	v_pk_fma_f16 v54, v48, v54, v80
	v_mul_u32_u24_e32 v80, 0x10001, v46
	v_mul_u32_u24_e32 v81, 0x10001, v47
	;; [unrolled: 1-line block ×4, first 2 shown]
	v_pk_fma_f16 v7, v48, v55, v7
	v_pk_fma_f16 v79, v48, v82, v79
	s_wait_dscnt 0x0
	v_pk_fma_f16 v55, v49, v81, v59
	v_pk_fma_f16 v59, v49, v60, v64
	;; [unrolled: 1-line block ×3, first 2 shown]
	ds_load_2addr_b64 v[44:47], v44 offset0:192 offset1:224
	v_pk_fma_f16 v6, v48, v83, v6
	v_pk_fma_f16 v53, v49, v80, v53
	v_and_b32_e32 v48, 0xffff, v62
	v_lshrrev_b32_e32 v49, 16, v62
	v_pk_fma_f16 v56, v50, v80, v56
	v_pk_fma_f16 v66, v50, v81, v66
	;; [unrolled: 1-line block ×10, first 2 shown]
	v_and_b32_e32 v54, 0xffff, v63
	v_lshrrev_b32_e32 v62, 16, v63
	v_mul_u32_u24_e32 v63, 0x10001, v48
	v_mul_u32_u24_e32 v80, 0x10001, v49
	ds_load_b128 v[48:51], v39 offset:448
	v_pk_fma_f16 v6, v52, v81, v6
	v_mul_u32_u24_e32 v81, 0x10001, v54
	v_pk_fma_f16 v7, v52, v61, v7
	s_wait_dscnt 0x1
	v_pk_fma_f16 v61, v44, v63, v53
	v_pk_fma_f16 v82, v44, v80, v55
	ds_load_2addr_b64 v[52:55], v5 offset1:32
	v_mul_u32_u24_e32 v62, 0x10001, v62
	v_pk_fma_f16 v83, v44, v81, v59
	v_pk_fma_f16 v66, v45, v80, v66
	v_pk_fma_f16 v72, v45, v81, v72
	v_pk_fma_f16 v67, v46, v63, v67
	v_pk_fma_f16 v44, v44, v62, v64
	v_pk_fma_f16 v64, v45, v63, v56
	v_pk_fma_f16 v84, v45, v62, v57
	v_pk_fma_f16 v73, v46, v80, v73
	v_pk_fma_f16 v65, v46, v81, v65
	v_pk_fma_f16 v85, v46, v62, v58
	ds_load_b128 v[56:59], v39 offset:464
	v_pk_fma_f16 v63, v47, v63, v79
	s_wait_dscnt 0x2
	v_and_b32_e32 v45, 0xffff, v48
	v_lshrrev_b32_e32 v46, 16, v48
	v_and_b32_e32 v48, 0xffff, v49
	v_lshrrev_b32_e32 v49, 16, v49
	v_pk_fma_f16 v6, v47, v80, v6
	v_mul_u32_u24_e32 v79, 0x10001, v45
	v_mul_u32_u24_e32 v80, 0x10001, v46
	;; [unrolled: 1-line block ×4, first 2 shown]
	v_pk_fma_f16 v60, v47, v81, v60
	v_pk_fma_f16 v7, v47, v62, v7
	s_wait_dscnt 0x1
	v_pk_fma_f16 v61, v52, v79, v61
	v_pk_fma_f16 v62, v52, v80, v82
	v_pk_fma_f16 v81, v52, v48, v83
	v_pk_fma_f16 v52, v52, v49, v44
	ds_load_2addr_b64 v[44:47], v5 offset0:64 offset1:96
	v_pk_fma_f16 v64, v53, v79, v64
	v_pk_fma_f16 v66, v53, v80, v66
	;; [unrolled: 1-line block ×6, first 2 shown]
	v_and_b32_e32 v79, 0xffff, v50
	v_lshrrev_b32_e32 v50, 16, v50
	v_and_b32_e32 v80, 0xffff, v51
	v_lshrrev_b32_e32 v51, 16, v51
	v_pk_fma_f16 v72, v53, v48, v72
	v_pk_fma_f16 v53, v53, v49, v84
	;; [unrolled: 1-line block ×5, first 2 shown]
	v_mul_u32_u24_e32 v82, 0x10001, v50
	v_mul_u32_u24_e32 v83, 0x10001, v51
	v_pk_fma_f16 v7, v55, v49, v7
	ds_load_2addr_b64 v[48:51], v5 offset0:128 offset1:160
	v_mul_u32_u24_e32 v79, 0x10001, v79
	v_mul_u32_u24_e32 v80, 0x10001, v80
	s_wait_dscnt 0x1
	v_pk_fma_f16 v53, v45, v83, v53
	v_pk_fma_f16 v54, v46, v83, v54
	;; [unrolled: 1-line block ×13, first 2 shown]
	v_and_b32_e32 v45, 0xffff, v56
	v_lshrrev_b32_e32 v46, 16, v56
	v_and_b32_e32 v56, 0xffff, v57
	v_lshrrev_b32_e32 v57, 16, v57
	v_pk_fma_f16 v63, v47, v79, v63
	v_mul_u32_u24_e32 v73, 0x10001, v45
	v_mul_u32_u24_e32 v79, 0x10001, v46
	;; [unrolled: 1-line block ×4, first 2 shown]
	v_pk_fma_f16 v60, v47, v80, v60
	v_pk_fma_f16 v7, v47, v83, v7
	s_wait_dscnt 0x0
	v_pk_fma_f16 v80, v48, v73, v55
	v_pk_fma_f16 v61, v48, v79, v61
	;; [unrolled: 1-line block ×4, first 2 shown]
	ds_load_2addr_b64 v[44:47], v5 offset0:192 offset1:224
	v_pk_fma_f16 v81, v49, v73, v52
	v_pk_fma_f16 v64, v49, v79, v64
	;; [unrolled: 1-line block ×8, first 2 shown]
	v_and_b32_e32 v49, 0xffff, v58
	v_lshrrev_b32_e32 v50, 16, v58
	v_pk_fma_f16 v60, v51, v56, v60
	v_and_b32_e32 v56, 0xffff, v59
	v_lshrrev_b32_e32 v58, 16, v59
	ds_load_b128 v[52:55], v39 offset:480
	v_pk_fma_f16 v63, v51, v73, v63
	v_pk_fma_f16 v6, v51, v79, v6
	v_mul_u32_u24_e32 v59, 0x10001, v49
	v_mul_u32_u24_e32 v73, 0x10001, v50
	;; [unrolled: 1-line block ×4, first 2 shown]
	v_pk_fma_f16 v7, v51, v57, v7
	s_wait_dscnt 0x1
	v_pk_fma_f16 v80, v44, v59, v80
	v_pk_fma_f16 v61, v44, v73, v61
	;; [unrolled: 1-line block ×4, first 2 shown]
	ds_load_2addr_b64 v[48:51], v4 offset1:32
	v_pk_fma_f16 v81, v45, v59, v81
	v_pk_fma_f16 v64, v45, v73, v64
	;; [unrolled: 1-line block ×9, first 2 shown]
	ds_load_b128 v[56:59], v39 offset:496
	s_wait_dscnt 0x2
	v_and_b32_e32 v45, 0xffff, v52
	v_lshrrev_b32_e32 v46, 16, v52
	v_and_b32_e32 v52, 0xffff, v53
	v_lshrrev_b32_e32 v53, 16, v53
	v_pk_fma_f16 v6, v47, v73, v6
	v_pk_fma_f16 v60, v47, v79, v60
	v_mul_u32_u24_e32 v73, 0x10001, v45
	v_mul_u32_u24_e32 v79, 0x10001, v46
	;; [unrolled: 1-line block ×4, first 2 shown]
	v_pk_fma_f16 v7, v47, v83, v7
	s_wait_dscnt 0x1
	v_pk_fma_f16 v80, v48, v73, v80
	v_pk_fma_f16 v61, v48, v79, v61
	;; [unrolled: 1-line block ×4, first 2 shown]
	ds_load_2addr_b64 v[44:47], v4 offset0:64 offset1:96
	v_pk_fma_f16 v81, v49, v73, v81
	v_pk_fma_f16 v64, v49, v79, v64
	;; [unrolled: 1-line block ×8, first 2 shown]
	v_and_b32_e32 v49, 0xffff, v54
	v_lshrrev_b32_e32 v50, 16, v54
	v_and_b32_e32 v54, 0xffff, v55
	v_lshrrev_b32_e32 v55, 16, v55
	v_pk_fma_f16 v63, v51, v73, v63
	v_pk_fma_f16 v52, v51, v52, v60
	v_mul_u32_u24_e32 v60, 0x10001, v49
	v_mul_u32_u24_e32 v73, 0x10001, v50
	;; [unrolled: 1-line block ×4, first 2 shown]
	v_pk_fma_f16 v6, v51, v79, v6
	v_pk_fma_f16 v7, v51, v53, v7
	s_wait_dscnt 0x0
	v_pk_fma_f16 v53, v44, v60, v80
	v_pk_fma_f16 v61, v44, v73, v61
	v_pk_fma_f16 v62, v44, v54, v62
	v_pk_fma_f16 v44, v44, v55, v48
	ds_load_2addr_b64 v[48:51], v4 offset0:128 offset1:160
	v_pk_fma_f16 v79, v45, v60, v81
	v_pk_fma_f16 v64, v45, v73, v64
	v_pk_fma_f16 v5, v45, v54, v5
	v_pk_fma_f16 v45, v45, v55, v66
	v_pk_fma_f16 v66, v46, v60, v67
	v_pk_fma_f16 v67, v46, v73, v72
	v_pk_fma_f16 v60, v47, v60, v63
	v_pk_fma_f16 v63, v47, v73, v6
	v_and_b32_e32 v6, 0xffff, v56
	v_lshrrev_b32_e32 v56, 16, v56
	v_and_b32_e32 v72, 0xffff, v57
	v_lshrrev_b32_e32 v57, 16, v57
	v_pk_fma_f16 v65, v46, v54, v65
	v_pk_fma_f16 v46, v46, v55, v82
	v_mul_u32_u24_e32 v56, 0x10001, v56
	v_mul_u32_u24_e32 v72, 0x10001, v72
	v_pk_fma_f16 v52, v47, v54, v52
	v_mul_u32_u24_e32 v54, 0x10001, v6
	v_pk_fma_f16 v47, v47, v55, v7
	s_wait_dscnt 0x0
	v_pk_fma_f16 v55, v48, v56, v61
	v_pk_fma_f16 v61, v48, v72, v62
	;; [unrolled: 1-line block ×4, first 2 shown]
	ds_load_2addr_b64 v[4:7], v4 offset0:192 offset1:224
	s_wait_loadcnt_dscnt 0x0
	s_barrier_signal -1
	s_barrier_wait -1
	global_inv scope:SCOPE_SE
	s_load_b32 s11, s[24:25], 0x4
	v_mul_u32_u24_e32 v57, 0x10001, v57
	v_pk_fma_f16 v53, v48, v54, v53
	v_pk_fma_f16 v66, v50, v54, v66
	v_pk_fma_f16 v67, v50, v56, v67
	v_pk_fma_f16 v65, v50, v72, v65
	v_pk_fma_f16 v73, v49, v57, v45
	v_and_b32_e32 v45, 0xffff, v58
	v_pk_fma_f16 v44, v48, v57, v44
	v_pk_fma_f16 v48, v49, v54, v79
	;; [unrolled: 1-line block ×3, first 2 shown]
	v_lshrrev_b32_e32 v49, 16, v58
	v_lshrrev_b32_e32 v50, 16, v59
	v_mul_u32_u24_e32 v58, 0x10001, v45
	v_and_b32_e32 v45, 0xffff, v59
	v_pk_fma_f16 v60, v51, v54, v60
	v_pk_fma_f16 v63, v51, v56, v63
	;; [unrolled: 1-line block ×3, first 2 shown]
	v_mul_u32_u24_e32 v79, 0x10001, v49
	v_mul_u32_u24_e32 v80, 0x10001, v45
	v_mul_u32_u24_e32 v81, 0x10001, v50
	v_pk_fma_f16 v82, v51, v57, v47
	s_wait_kmcnt 0x0
	s_lshl_b32 s11, s11, 6
	v_pk_fma_f16 v53, v4, v58, v53
	v_pk_fma_f16 v49, v4, v79, v55
	v_pk_fma_f16 v45, v4, v80, v61
	v_pk_fma_f16 v47, v4, v81, v44
	v_pk_fma_f16 v59, v5, v58, v48
	v_pk_fma_f16 v56, v5, v79, v62
	v_pk_fma_f16 v52, v5, v80, v64
	v_pk_fma_f16 v48, v5, v81, v73
	v_pk_fma_f16 v57, v6, v58, v66
	v_pk_fma_f16 v54, v6, v79, v67
	v_pk_fma_f16 v50, v6, v80, v65
	v_pk_fma_f16 v46, v6, v81, v46
	v_pk_fma_f16 v58, v7, v58, v60
	v_pk_fma_f16 v55, v7, v79, v63
	v_pk_fma_f16 v51, v7, v80, v72
	v_pk_fma_f16 v44, v7, v81, v82
	s_wait_alu 0xfffe
	s_add_co_i32 s10, s11, s10
	s_wait_alu 0xfffe
	s_cmp_ge_i32 s10, s28
	s_cbranch_scc1 .LBB58_43
; %bb.42:                               ;   in Loop: Header=BB58_9 Depth=1
	v_dual_mov_b32 v65, v0 :: v_dual_mov_b32 v66, v2
	v_dual_mov_b32 v67, v1 :: v_dual_mov_b32 v64, v3
	;; [unrolled: 1-line block ×4, first 2 shown]
	s_branch .LBB58_9
.LBB58_43:
	v_mov_b32_e32 v4, v30
.LBB58_44:
	v_cmp_lt_i32_e32 vcc_lo, v78, v31
	s_cmp_lg_u64 s[12:13], 0
	s_cselect_b32 s3, -1, 0
	s_cmp_eq_u32 s4, 0
	s_wait_alu 0xfffd
	v_cndmask_b32_e32 v5, v4, v78, vcc_lo
	v_cmp_lt_i32_e32 vcc_lo, v77, v31
	s_cselect_b32 s5, -1, 0
	s_wait_alu 0xfffe
	s_and_b32 s3, s5, s3
	v_lshlrev_b32_e32 v5, 2, v5
	ds_bpermute_b32 v6, v5, v68
	s_wait_dscnt 0x0
	v_add_f32_e32 v6, v68, v6
	ds_bpermute_b32 v8, v5, v70
	s_wait_alu 0xfffd
	v_cndmask_b32_e32 v9, v4, v77, vcc_lo
	ds_bpermute_b32 v7, v5, v69
	ds_bpermute_b32 v5, v5, v71
	v_cmp_lt_i32_e32 vcc_lo, v76, v31
	s_wait_alu 0xfffd
	v_cndmask_b32_e32 v15, v4, v76, vcc_lo
	v_cmp_lt_i32_e32 vcc_lo, v75, v31
	s_wait_dscnt 0x2
	s_delay_alu instid0(VALU_DEP_2)
	v_dual_add_f32 v8, v70, v8 :: v_dual_lshlrev_b32 v15, 2, v15
	v_lshlrev_b32_e32 v9, 2, v9
	ds_bpermute_b32 v14, v9, v8
	s_wait_dscnt 0x0
	v_add_f32_e32 v8, v8, v14
	ds_bpermute_b32 v10, v9, v6
	s_wait_dscnt 0x0
	v_dual_add_f32 v5, v71, v5 :: v_dual_add_f32 v6, v6, v10
	v_add_f32_e32 v7, v69, v7
	ds_bpermute_b32 v11, v9, v7
	ds_bpermute_b32 v9, v9, v5
	s_wait_dscnt 0x0
	v_add_f32_e32 v5, v5, v9
	ds_bpermute_b32 v9, v15, v6
	ds_bpermute_b32 v14, v15, v5
	s_wait_dscnt 0x1
	v_dual_add_f32 v6, v6, v9 :: v_dual_add_f32 v7, v7, v11
	ds_bpermute_b32 v11, v15, v8
	ds_bpermute_b32 v10, v15, v7
	s_wait_alu 0xfffd
	v_cndmask_b32_e32 v15, v4, v75, vcc_lo
	v_cmp_lt_i32_e32 vcc_lo, v74, v31
	s_wait_alu 0xfffd
	s_delay_alu instid0(VALU_DEP_2)
	v_dual_cndmask_b32 v4, v4, v74 :: v_dual_lshlrev_b32 v15, 2, v15
	s_wait_alu 0xfffe
	s_and_b32 vcc_lo, exec_lo, s3
	ds_bpermute_b32 v9, v15, v6
	v_lshlrev_b32_e32 v4, 2, v4
	s_wait_dscnt 0x2
	v_add_f32_e32 v8, v8, v11
	ds_bpermute_b32 v11, v15, v8
	s_wait_dscnt 0x1
	v_add_f32_e32 v6, v6, v9
	s_wait_dscnt 0x0
	v_dual_add_f32 v8, v8, v11 :: v_dual_add_f32 v5, v5, v14
	ds_bpermute_b32 v11, v4, v8
	v_add_f32_e32 v7, v7, v10
	ds_bpermute_b32 v14, v15, v5
	ds_bpermute_b32 v10, v15, v7
	s_wait_dscnt 0x1
	v_add_f32_e32 v9, v5, v14
	ds_bpermute_b32 v5, v4, v6
	s_wait_dscnt 0x1
	v_add_f32_e32 v7, v7, v10
	ds_bpermute_b32 v14, v4, v9
	ds_bpermute_b32 v10, v4, v7
	s_wait_dscnt 0x2
	v_add_f32_e32 v4, v6, v5
	s_wait_dscnt 0x0
	v_dual_add_f32 v6, v8, v11 :: v_dual_add_f32 v5, v7, v10
	v_add_f32_e32 v7, v9, v14
	s_wait_alu 0xfffe
	s_cbranch_vccz .LBB58_47
; %bb.45:
	v_add_nc_u32_e32 v8, s33, v29
	v_dual_max_num_f32 v14, v0, v0 :: v_dual_max_num_f32 v15, v1, v1
	s_delay_alu instid0(VALU_DEP_2) | instskip(NEXT) | instid1(VALU_DEP_1)
	v_ashrrev_i32_e32 v9, 31, v8
	v_lshlrev_b64_e32 v[8:9], 2, v[8:9]
	s_delay_alu instid0(VALU_DEP_1) | instskip(SKIP_1) | instid1(VALU_DEP_2)
	v_add_co_u32 v8, vcc_lo, s12, v8
	s_wait_alu 0xfffd
	v_add_co_ci_u32_e64 v9, null, s13, v9, vcc_lo
	global_load_b128 v[8:11], v[8:9], off
	v_max_num_f32_e32 v16, v2, v2
	s_wait_loadcnt 0x0
	v_dual_max_num_f32 v18, v3, v3 :: v_dual_max_num_f32 v19, v9, v9
	v_dual_max_num_f32 v17, v8, v8 :: v_dual_max_num_f32 v20, v10, v10
	v_max_num_f32_e32 v21, v11, v11
	s_delay_alu instid0(VALU_DEP_2) | instskip(NEXT) | instid1(VALU_DEP_2)
	v_dual_max_num_f32 v15, v15, v19 :: v_dual_max_num_f32 v14, v14, v17
	v_dual_max_num_f32 v16, v16, v20 :: v_dual_max_num_f32 v17, v18, v21
	s_delay_alu instid0(VALU_DEP_2) | instskip(SKIP_1) | instid1(VALU_DEP_3)
	v_dual_sub_f32 v19, v1, v15 :: v_dual_sub_f32 v18, v0, v14
	v_dual_sub_f32 v9, v9, v15 :: v_dual_sub_f32 v8, v8, v14
	;; [unrolled: 1-line block ×4, first 2 shown]
	v_dual_mov_b32 v0, v14 :: v_dual_mov_b32 v3, v17
	v_dual_mov_b32 v1, v15 :: v_dual_mov_b32 v2, v16
	v_dual_mul_f32 v15, 0x3fb8aa3b, v8 :: v_dual_mul_f32 v14, 0x3fb8aa3b, v18
	v_dual_mul_f32 v17, 0x3fb8aa3b, v9 :: v_dual_mul_f32 v16, 0x3fb8aa3b, v19
	v_mul_f32_e32 v23, 0x3fb8aa3b, v10
	s_delay_alu instid0(VALU_DEP_3) | instskip(NEXT) | instid1(VALU_DEP_4)
	v_fma_f32 v30, 0x3fb8aa3b, v8, -v15
	v_fma_f32 v26, 0x3fb8aa3b, v18, -v14
	v_rndne_f32_e32 v27, v14
	v_rndne_f32_e32 v31, v15
	v_rndne_f32_e32 v39, v23
	v_mul_f32_e32 v24, 0x3fb8aa3b, v21
	v_rndne_f32_e32 v35, v17
	v_fma_f32 v38, 0x3fb8aa3b, v10, -v23
	v_fmac_f32_e32 v26, 0x32a5705f, v18
	v_dual_fmac_f32 v30, 0x32a5705f, v8 :: v_dual_sub_f32 v23, v23, v39
	v_sub_f32_e32 v15, v15, v31
	v_sub_f32_e32 v14, v14, v27
	v_fma_f32 v34, 0x3fb8aa3b, v9, -v17
	v_dual_sub_f32 v17, v17, v35 :: v_dual_mul_f32 v22, 0x3fb8aa3b, v20
	v_mul_f32_e32 v25, 0x3fb8aa3b, v11
	v_add_f32_e32 v15, v15, v30
	v_add_f32_e32 v14, v14, v26
	v_fma_f32 v32, 0x3fb8aa3b, v19, -v16
	v_rndne_f32_e32 v33, v16
	v_fmac_f32_e32 v38, 0x32a5705f, v10
	v_rndne_f32_e32 v43, v25
	v_exp_f32_e32 v14, v14
	v_cvt_i32_f32_e32 v27, v27
	v_sub_f32_e32 v16, v16, v33
	v_dual_fmac_f32 v34, 0x32a5705f, v9 :: v_dual_add_f32 v23, v23, v38
	v_fmac_f32_e32 v32, 0x32a5705f, v19
	v_exp_f32_e32 v15, v15
	v_fma_f32 v36, 0x3fb8aa3b, v20, -v22
	v_rndne_f32_e32 v37, v22
	v_fma_f32 v42, 0x3fb8aa3b, v11, -v25
	v_cvt_i32_f32_e32 v31, v31
	v_sub_f32_e32 v25, v25, v43
	v_dual_add_f32 v17, v17, v34 :: v_dual_add_f32 v16, v16, v32
	v_ldexp_f32 v14, v14, v27
	v_cmp_ngt_f32_e32 vcc_lo, 0xc2ce8ed0, v18
	v_fmac_f32_e32 v42, 0x32a5705f, v11
	v_fmac_f32_e32 v36, 0x32a5705f, v20
	v_exp_f32_e32 v16, v16
	v_ldexp_f32 v15, v15, v31
	s_wait_alu 0xfffd
	v_cndmask_b32_e32 v14, 0, v14, vcc_lo
	v_cmp_ngt_f32_e32 vcc_lo, 0xc2ce8ed0, v8
	v_sub_f32_e32 v22, v22, v37
	v_cvt_i32_f32_e32 v33, v33
	v_add_f32_e32 v25, v25, v42
	v_exp_f32_e32 v17, v17
	s_wait_alu 0xfffd
	v_dual_cndmask_b32 v15, 0, v15 :: v_dual_add_f32 v22, v22, v36
	v_cvt_i32_f32_e32 v35, v35
	v_ldexp_f32 v16, v16, v33
	v_cmp_ngt_f32_e32 vcc_lo, 0xc2ce8ed0, v19
	v_cvt_i32_f32_e32 v37, v37
	v_exp_f32_e32 v22, v22
	v_exp_f32_e32 v23, v23
	v_fma_f32 v40, 0x3fb8aa3b, v21, -v24
	v_ldexp_f32 v17, v17, v35
	s_wait_alu 0xfffd
	v_cndmask_b32_e32 v16, 0, v16, vcc_lo
	v_cmp_ngt_f32_e32 vcc_lo, 0xc2ce8ed0, v9
	v_rndne_f32_e32 v41, v24
	v_cvt_i32_f32_e32 v39, v39
	v_exp_f32_e32 v25, v25
	v_cvt_i32_f32_e32 v30, v43
	v_ldexp_f32 v22, v22, v37
	s_wait_alu 0xfffd
	v_cndmask_b32_e32 v17, 0, v17, vcc_lo
	v_cmp_ngt_f32_e32 vcc_lo, 0xc2ce8ed0, v20
	v_sub_f32_e32 v24, v24, v41
	v_ldexp_f32 v23, v23, v39
	v_cvt_i32_f32_e32 v26, v41
	s_wait_alu 0xfffd
	v_cndmask_b32_e32 v22, 0, v22, vcc_lo
	v_cmp_ngt_f32_e32 vcc_lo, 0xc2ce8ed0, v10
	v_fmac_f32_e32 v40, 0x32a5705f, v21
	v_ldexp_f32 v25, v25, v30
	s_wait_alu 0xfffd
	s_delay_alu instid0(VALU_DEP_2) | instskip(SKIP_1) | instid1(VALU_DEP_2)
	v_dual_cndmask_b32 v23, 0, v23 :: v_dual_add_f32 v24, v24, v40
	v_cmp_ngt_f32_e32 vcc_lo, 0xc2ce8ed0, v21
	v_exp_f32_e32 v24, v24
	s_delay_alu instid0(TRANS32_DEP_1) | instskip(SKIP_1) | instid1(VALU_DEP_1)
	v_ldexp_f32 v24, v24, v26
	s_wait_alu 0xfffd
	v_cndmask_b32_e32 v24, 0, v24, vcc_lo
	v_cmp_ngt_f32_e32 vcc_lo, 0xc2ce8ed0, v11
	s_wait_alu 0xfffd
	v_cndmask_b32_e32 v25, 0, v25, vcc_lo
	v_cmp_nlt_f32_e32 vcc_lo, 0x42b17218, v18
	s_wait_alu 0xfffd
	v_cndmask_b32_e32 v14, 0x7f800000, v14, vcc_lo
	v_cmp_nlt_f32_e32 vcc_lo, 0x42b17218, v8
	;; [unrolled: 3-line block ×3, first 2 shown]
	s_wait_alu 0xfffd
	s_delay_alu instid0(VALU_DEP_2)
	v_dual_fmac_f32 v8, v4, v14 :: v_dual_cndmask_b32 v15, 0x7f800000, v16
	v_cmp_nlt_f32_e32 vcc_lo, 0x42b17218, v9
	v_cvt_f16_f32_e32 v4, v14
	s_wait_alu 0xfffd
	v_cndmask_b32_e32 v9, 0x7f800000, v17, vcc_lo
	v_cmp_nlt_f32_e32 vcc_lo, 0x42b17218, v20
	s_delay_alu instid0(VALU_DEP_2) | instskip(SKIP_1) | instid1(VALU_DEP_1)
	v_fmac_f32_e32 v9, v5, v15
	v_cvt_f16_f32_e32 v5, v15
	v_and_b32_e32 v15, 0xffff, v5
	s_wait_alu 0xfffd
	s_delay_alu instid0(VALU_DEP_3) | instskip(SKIP_1) | instid1(VALU_DEP_3)
	v_dual_mov_b32 v5, v9 :: v_dual_cndmask_b32 v16, 0x7f800000, v22
	v_cmp_nlt_f32_e32 vcc_lo, 0x42b17218, v10
	v_mul_u32_u24_e32 v15, 0x10001, v15
	s_wait_alu 0xfffd
	v_cndmask_b32_e32 v10, 0x7f800000, v23, vcc_lo
	v_cmp_nlt_f32_e32 vcc_lo, 0x42b17218, v21
	s_delay_alu instid0(VALU_DEP_3)
	v_pk_mul_f16 v49, v49, v15
	v_pk_mul_f16 v56, v56, v15
	;; [unrolled: 1-line block ×3, first 2 shown]
	v_fmac_f32_e32 v10, v6, v16
	s_wait_alu 0xfffd
	v_cndmask_b32_e32 v17, 0x7f800000, v24, vcc_lo
	v_cmp_nlt_f32_e32 vcc_lo, 0x42b17218, v11
	v_cvt_f16_f32_e32 v6, v16
	v_pk_mul_f16 v55, v55, v15
	s_delay_alu instid0(VALU_DEP_4) | instskip(SKIP_4) | instid1(VALU_DEP_3)
	v_cvt_f16_f32_e32 v14, v17
	s_wait_alu 0xfffd
	v_cndmask_b32_e32 v11, 0x7f800000, v25, vcc_lo
	v_and_b32_e32 v16, 0xffff, v6
	v_mov_b32_e32 v6, v10
	v_dual_fmac_f32 v11, v7, v17 :: v_dual_and_b32 v14, 0xffff, v14
	v_and_b32_e32 v7, 0xffff, v4
	s_delay_alu instid0(VALU_DEP_4) | instskip(SKIP_1) | instid1(VALU_DEP_4)
	v_mul_u32_u24_e32 v16, 0x10001, v16
	v_mov_b32_e32 v4, v8
	v_mul_u32_u24_e32 v14, 0x10001, v14
	s_delay_alu instid0(VALU_DEP_4) | instskip(NEXT) | instid1(VALU_DEP_4)
	v_mul_u32_u24_e32 v7, 0x10001, v7
	v_pk_mul_f16 v45, v45, v16
	v_pk_mul_f16 v52, v52, v16
	;; [unrolled: 1-line block ×12, first 2 shown]
	v_mov_b32_e32 v7, v11
	s_mov_b32 s3, exec_lo
	v_cmpx_gt_i32_e64 s22, v12
	s_cbranch_execnz .LBB58_48
.LBB58_46:
	s_nop 0
	s_sendmsg sendmsg(MSG_DEALLOC_VGPRS)
	s_endpgm
.LBB58_47:
	s_delay_alu instid0(VALU_DEP_1)
	v_dual_mov_b32 v11, v7 :: v_dual_mov_b32 v10, v6
	v_dual_mov_b32 v9, v5 :: v_dual_mov_b32 v8, v4
	s_mov_b32 s3, exec_lo
	v_cmpx_gt_i32_e64 s22, v12
	s_cbranch_execz .LBB58_46
.LBB58_48:
	s_load_b32 s1, s[0:1], 0xd4
	v_mov_b32_e32 v14, 1.0
	s_wait_kmcnt 0x0
	s_cmp_lg_u32 s1, 1
	s_cselect_b32 s5, -1, 0
	s_cmp_eq_u32 s1, 1
	s_cselect_b32 s3, -1, 0
	s_wait_alu 0xfffe
	s_and_b32 vcc_lo, exec_lo, s5
	s_wait_alu 0xfffe
	s_cbranch_vccnz .LBB58_50
; %bb.49:
	v_div_scale_f32 v14, null, v4, v4, 1.0
	s_delay_alu instid0(VALU_DEP_1) | instskip(NEXT) | instid1(TRANS32_DEP_1)
	v_rcp_f32_e32 v15, v14
	v_fma_f32 v16, -v14, v15, 1.0
	s_delay_alu instid0(VALU_DEP_1) | instskip(SKIP_1) | instid1(VALU_DEP_1)
	v_fmac_f32_e32 v15, v16, v15
	v_div_scale_f32 v16, vcc_lo, 1.0, v4, 1.0
	v_mul_f32_e32 v17, v16, v15
	s_delay_alu instid0(VALU_DEP_1) | instskip(NEXT) | instid1(VALU_DEP_1)
	v_fma_f32 v18, -v14, v17, v16
	v_fmac_f32_e32 v17, v18, v15
	s_delay_alu instid0(VALU_DEP_1) | instskip(SKIP_1) | instid1(VALU_DEP_1)
	v_fma_f32 v14, -v14, v17, v16
	s_wait_alu 0xfffd
	v_div_fmas_f32 v14, v14, v15, v17
	s_delay_alu instid0(VALU_DEP_1)
	v_div_fixup_f32 v14, v14, v4, 1.0
.LBB58_50:
	v_mad_co_u64_u32 v[15:16], null, s2, s22, v[12:13]
	v_cmp_eq_u32_e32 vcc_lo, 0, v13
	v_cvt_f32_f16_e32 v16, v59
	v_lshrrev_b32_e32 v18, 16, v53
	v_mov_b32_e32 v24, 0
	v_lshrrev_b32_e32 v20, 16, v58
	v_cvt_f32_f16_e32 v19, v53
	v_mul_lo_u32 v4, v15, s23
	v_lshrrev_b32_e32 v15, 16, v59
	v_cvt_f32_f16_e32 v22, v57
	v_mul_f32_e32 v17, v14, v16
	v_cvt_f32_f16_e32 v16, v18
	v_cvt_f32_f16_e32 v20, v20
	;; [unrolled: 1-line block ×3, first 2 shown]
	v_mul_f32_e32 v15, v14, v19
	v_add3_u32 v4, s33, v29, v4
	v_mul_f32_e32 v19, v14, v22
	v_mul_f32_e32 v22, v14, v20
	;; [unrolled: 1-line block ×4, first 2 shown]
	v_mad_co_u64_u32 v[12:13], null, s1, v4, s[4:5]
	v_cvt_f32_f16_e32 v4, v58
	v_lshrrev_b32_e32 v13, 16, v57
	s_delay_alu instid0(VALU_DEP_2) | instskip(NEXT) | instid1(VALU_DEP_4)
	v_mul_f32_e32 v21, v14, v4
	v_lshl_add_u32 v23, v12, 8, v28
	s_delay_alu instid0(VALU_DEP_3) | instskip(NEXT) | instid1(VALU_DEP_2)
	v_cvt_f32_f16_e32 v4, v13
	v_lshlrev_b64_e32 v[25:26], 2, v[23:24]
	s_delay_alu instid0(VALU_DEP_2) | instskip(NEXT) | instid1(VALU_DEP_1)
	v_dual_mul_f32 v20, v14, v4 :: v_dual_add_nc_u32 v23, 0x80, v23
	v_lshlrev_b64_e32 v[13:14], 2, v[23:24]
	s_delay_alu instid0(VALU_DEP_3) | instskip(SKIP_1) | instid1(VALU_DEP_4)
	v_add_co_u32 v23, s0, s16, v25
	s_wait_alu 0xf1ff
	v_add_co_ci_u32_e64 v24, null, s17, v26, s0
	s_delay_alu instid0(VALU_DEP_3)
	v_add_co_u32 v13, s0, s16, v13
	s_wait_alu 0xf1ff
	v_add_co_ci_u32_e64 v14, null, s17, v14, s0
	s_and_b32 s0, vcc_lo, s5
	s_clause 0x1
	global_store_b128 v[23:24], v[15:18], off
	global_store_b128 v[13:14], v[19:22], off
	s_wait_alu 0xfffe
	s_and_saveexec_b32 s2, s0
	s_cbranch_execz .LBB58_52
; %bb.51:
	v_ashrrev_i32_e32 v13, 31, v12
	v_dual_mov_b32 v15, v0 :: v_dual_mov_b32 v16, v8
	s_delay_alu instid0(VALU_DEP_2) | instskip(NEXT) | instid1(VALU_DEP_1)
	v_lshlrev_b64_e32 v[13:14], 3, v[12:13]
	v_add_co_u32 v13, vcc_lo, s18, v13
	s_wait_alu 0xfffd
	s_delay_alu instid0(VALU_DEP_2)
	v_add_co_ci_u32_e64 v14, null, s19, v14, vcc_lo
	global_store_b64 v[13:14], v[15:16], off
.LBB58_52:
	s_wait_alu 0xfffe
	s_or_b32 exec_lo, exec_lo, s2
	v_cndmask_b32_e64 v13, 0, 1, s3
	v_mov_b32_e32 v0, 1.0
	s_and_not1_b32 vcc_lo, exec_lo, s3
	s_wait_alu 0xfffe
	s_cbranch_vccnz .LBB58_54
; %bb.53:
	v_div_scale_f32 v0, null, v5, v5, 1.0
	s_delay_alu instid0(VALU_DEP_1) | instskip(NEXT) | instid1(TRANS32_DEP_1)
	v_rcp_f32_e32 v4, v0
	v_fma_f32 v8, -v0, v4, 1.0
	s_delay_alu instid0(VALU_DEP_1) | instskip(SKIP_1) | instid1(VALU_DEP_1)
	v_fmac_f32_e32 v4, v8, v4
	v_div_scale_f32 v8, vcc_lo, 1.0, v5, 1.0
	v_mul_f32_e32 v14, v8, v4
	s_delay_alu instid0(VALU_DEP_1) | instskip(NEXT) | instid1(VALU_DEP_1)
	v_fma_f32 v15, -v0, v14, v8
	v_fmac_f32_e32 v14, v15, v4
	s_delay_alu instid0(VALU_DEP_1) | instskip(SKIP_1) | instid1(VALU_DEP_1)
	v_fma_f32 v0, -v0, v14, v8
	s_wait_alu 0xfffd
	v_div_fmas_f32 v0, v0, v4, v14
	s_delay_alu instid0(VALU_DEP_1)
	v_div_fixup_f32 v0, v0, v5, 1.0
.LBB58_54:
	v_lshrrev_b32_e32 v5, 16, v56
	v_dual_mov_b32 v19, 0 :: v_dual_add_nc_u32 v4, s1, v12
	v_lshrrev_b32_e32 v8, 16, v49
	v_cvt_f32_f16_e32 v12, v56
	s_delay_alu instid0(VALU_DEP_4) | instskip(NEXT) | instid1(VALU_DEP_4)
	v_cvt_f32_f16_e32 v5, v5
	v_lshl_add_u32 v18, v4, 8, v28
	v_cvt_f32_f16_e32 v14, v49
	v_cvt_f32_f16_e32 v8, v8
	v_mul_f32_e32 v16, v0, v12
	v_mul_f32_e32 v17, v0, v5
	v_lshlrev_b64_e32 v[20:21], 2, v[18:19]
	s_delay_alu instid0(VALU_DEP_4) | instskip(SKIP_3) | instid1(VALU_DEP_4)
	v_dual_mul_f32 v15, v0, v8 :: v_dual_add_nc_u32 v18, 0x80, v18
	v_lshrrev_b32_e32 v5, 16, v55
	v_lshrrev_b32_e32 v8, 16, v54
	v_cvt_f32_f16_e32 v12, v55
	v_lshlrev_b64_e32 v[24:25], 2, v[18:19]
	v_cvt_f32_f16_e32 v26, v54
	v_cvt_f32_f16_e32 v5, v5
	;; [unrolled: 1-line block ×3, first 2 shown]
	v_add_co_u32 v22, vcc_lo, s16, v20
	s_wait_alu 0xfffd
	v_add_co_ci_u32_e64 v23, null, s17, v21, vcc_lo
	v_add_co_u32 v24, vcc_lo, s16, v24
	v_mul_f32_e32 v14, v0, v14
	v_mul_f32_e32 v21, v0, v5
	;; [unrolled: 1-line block ×5, first 2 shown]
	s_wait_alu 0xfffd
	v_add_co_ci_u32_e64 v25, null, s17, v25, vcc_lo
	s_clause 0x1
	global_store_b128 v[22:23], v[14:17], off
	global_store_b128 v[24:25], v[18:21], off
	s_and_saveexec_b32 s2, s0
	s_cbranch_execz .LBB58_56
; %bb.55:
	v_ashrrev_i32_e32 v5, 31, v4
	v_mov_b32_e32 v8, v1
	s_delay_alu instid0(VALU_DEP_2) | instskip(NEXT) | instid1(VALU_DEP_1)
	v_lshlrev_b64_e32 v[14:15], 3, v[4:5]
	v_add_co_u32 v14, vcc_lo, s18, v14
	s_wait_alu 0xfffd
	s_delay_alu instid0(VALU_DEP_2)
	v_add_co_ci_u32_e64 v15, null, s19, v15, vcc_lo
	global_store_b64 v[14:15], v[8:9], off
.LBB58_56:
	s_wait_alu 0xfffe
	s_or_b32 exec_lo, exec_lo, s2
	v_cmp_ne_u32_e32 vcc_lo, 1, v13
	v_mov_b32_e32 v1, 1.0
	s_cbranch_vccnz .LBB58_58
; %bb.57:
	v_div_scale_f32 v0, null, v6, v6, 1.0
	s_delay_alu instid0(VALU_DEP_1) | instskip(NEXT) | instid1(TRANS32_DEP_1)
	v_rcp_f32_e32 v1, v0
	v_fma_f32 v5, -v0, v1, 1.0
	s_delay_alu instid0(VALU_DEP_1) | instskip(SKIP_1) | instid1(VALU_DEP_1)
	v_fmac_f32_e32 v1, v5, v1
	v_div_scale_f32 v5, vcc_lo, 1.0, v6, 1.0
	v_mul_f32_e32 v8, v5, v1
	s_delay_alu instid0(VALU_DEP_1) | instskip(NEXT) | instid1(VALU_DEP_1)
	v_fma_f32 v9, -v0, v8, v5
	v_fmac_f32_e32 v8, v9, v1
	s_delay_alu instid0(VALU_DEP_1) | instskip(SKIP_1) | instid1(VALU_DEP_1)
	v_fma_f32 v0, -v0, v8, v5
	s_wait_alu 0xfffd
	v_div_fmas_f32 v0, v0, v1, v8
	s_delay_alu instid0(VALU_DEP_1)
	v_div_fixup_f32 v1, v0, v6, 1.0
.LBB58_58:
	v_lshrrev_b32_e32 v6, 16, v52
	v_dual_mov_b32 v5, 0 :: v_dual_add_nc_u32 v0, s1, v4
	v_lshrrev_b32_e32 v8, 16, v45
	v_cvt_f32_f16_e32 v9, v52
	s_delay_alu instid0(VALU_DEP_4) | instskip(NEXT) | instid1(VALU_DEP_4)
	v_cvt_f32_f16_e32 v6, v6
	v_lshl_add_u32 v4, v0, 8, v28
	v_cvt_f32_f16_e32 v14, v45
	v_cvt_f32_f16_e32 v12, v8
	v_mul_f32_e32 v16, v1, v9
	v_mul_f32_e32 v17, v1, v6
	v_lshlrev_b64_e32 v[8:9], 2, v[4:5]
	v_add_nc_u32_e32 v4, 0x80, v4
	v_mul_f32_e32 v15, v1, v12
	v_lshrrev_b32_e32 v6, 16, v51
	v_lshrrev_b32_e32 v12, 16, v50
	v_cvt_f32_f16_e32 v18, v51
	v_lshlrev_b64_e32 v[4:5], 2, v[4:5]
	v_cvt_f32_f16_e32 v22, v50
	v_cvt_f32_f16_e32 v6, v6
	;; [unrolled: 1-line block ×3, first 2 shown]
	v_add_co_u32 v8, vcc_lo, s16, v8
	s_wait_alu 0xfffd
	v_add_co_ci_u32_e64 v9, null, s17, v9, vcc_lo
	v_add_co_u32 v4, vcc_lo, s16, v4
	v_mul_f32_e32 v14, v1, v14
	v_mul_f32_e32 v21, v1, v6
	;; [unrolled: 1-line block ×5, first 2 shown]
	s_wait_alu 0xfffd
	v_add_co_ci_u32_e64 v5, null, s17, v5, vcc_lo
	s_clause 0x1
	global_store_b128 v[8:9], v[14:17], off
	global_store_b128 v[4:5], v[18:21], off
	s_and_saveexec_b32 s2, s0
	s_cbranch_execz .LBB58_60
; %bb.59:
	v_ashrrev_i32_e32 v1, 31, v0
	v_mov_b32_e32 v9, v2
	s_delay_alu instid0(VALU_DEP_2) | instskip(NEXT) | instid1(VALU_DEP_1)
	v_lshlrev_b64_e32 v[4:5], 3, v[0:1]
	v_add_co_u32 v4, vcc_lo, s18, v4
	s_wait_alu 0xfffd
	s_delay_alu instid0(VALU_DEP_2)
	v_add_co_ci_u32_e64 v5, null, s19, v5, vcc_lo
	global_store_b64 v[4:5], v[9:10], off
.LBB58_60:
	s_wait_alu 0xfffe
	s_or_b32 exec_lo, exec_lo, s2
	v_cmp_ne_u32_e32 vcc_lo, 1, v13
	v_mov_b32_e32 v1, 1.0
	s_cbranch_vccnz .LBB58_62
; %bb.61:
	v_div_scale_f32 v1, null, v7, v7, 1.0
	s_delay_alu instid0(VALU_DEP_1) | instskip(NEXT) | instid1(TRANS32_DEP_1)
	v_rcp_f32_e32 v2, v1
	v_fma_f32 v4, -v1, v2, 1.0
	s_delay_alu instid0(VALU_DEP_1) | instskip(SKIP_1) | instid1(VALU_DEP_1)
	v_fmac_f32_e32 v2, v4, v2
	v_div_scale_f32 v4, vcc_lo, 1.0, v7, 1.0
	v_mul_f32_e32 v5, v4, v2
	s_delay_alu instid0(VALU_DEP_1) | instskip(NEXT) | instid1(VALU_DEP_1)
	v_fma_f32 v6, -v1, v5, v4
	v_fmac_f32_e32 v5, v6, v2
	s_delay_alu instid0(VALU_DEP_1) | instskip(SKIP_1) | instid1(VALU_DEP_1)
	v_fma_f32 v1, -v1, v5, v4
	s_wait_alu 0xfffd
	v_div_fmas_f32 v1, v1, v2, v5
	s_delay_alu instid0(VALU_DEP_1)
	v_div_fixup_f32 v1, v1, v7, 1.0
.LBB58_62:
	v_lshrrev_b32_e32 v2, 16, v48
	v_dual_mov_b32 v9, 0 :: v_dual_add_nc_u32 v0, s1, v0
	v_lshrrev_b32_e32 v4, 16, v47
	v_cvt_f32_f16_e32 v5, v48
	s_delay_alu instid0(VALU_DEP_4) | instskip(NEXT) | instid1(VALU_DEP_4)
	v_cvt_f32_f16_e32 v2, v2
	v_lshl_add_u32 v8, v0, 8, v28
	v_cvt_f32_f16_e32 v10, v47
	v_cvt_f32_f16_e32 v4, v4
	v_mul_f32_e32 v6, v1, v5
	v_mul_f32_e32 v7, v1, v2
	v_lshlrev_b64_e32 v[12:13], 2, v[8:9]
	v_add_nc_u32_e32 v8, 0x80, v8
	v_mul_f32_e32 v5, v1, v4
	v_mul_f32_e32 v4, v1, v10
	v_lshrrev_b32_e32 v2, 16, v44
	v_lshrrev_b32_e32 v10, 16, v46
	v_lshlrev_b64_e32 v[8:9], 2, v[8:9]
	v_add_co_u32 v16, vcc_lo, s16, v12
	s_delay_alu instid0(VALU_DEP_4)
	v_cvt_f32_f16_e32 v2, v2
	v_cvt_f32_f16_e32 v12, v44
	;; [unrolled: 1-line block ×4, first 2 shown]
	s_wait_alu 0xfffd
	v_add_co_ci_u32_e64 v17, null, s17, v13, vcc_lo
	v_mul_f32_e32 v15, v1, v2
	v_mul_f32_e32 v14, v1, v12
	;; [unrolled: 1-line block ×4, first 2 shown]
	v_add_co_u32 v1, vcc_lo, s16, v8
	s_wait_alu 0xfffd
	v_add_co_ci_u32_e64 v2, null, s17, v9, vcc_lo
	s_clause 0x1
	global_store_b128 v[16:17], v[4:7], off
	global_store_b128 v[1:2], v[12:15], off
	s_and_b32 exec_lo, exec_lo, s0
	s_cbranch_execz .LBB58_46
; %bb.63:
	v_ashrrev_i32_e32 v1, 31, v0
	v_mov_b32_e32 v10, v3
	s_delay_alu instid0(VALU_DEP_2) | instskip(NEXT) | instid1(VALU_DEP_1)
	v_lshlrev_b64_e32 v[0:1], 3, v[0:1]
	v_add_co_u32 v0, vcc_lo, s18, v0
	s_wait_alu 0xfffd
	s_delay_alu instid0(VALU_DEP_2)
	v_add_co_ci_u32_e64 v1, null, s19, v1, vcc_lo
	global_store_b64 v[0:1], v[10:11], off
	s_nop 0
	s_sendmsg sendmsg(MSG_DEALLOC_VGPRS)
	s_endpgm
	.section	.rodata,"a",@progbits
	.p2align	6, 0x0
	.amdhsa_kernel _ZL15flash_attn_tileILi256ELi256ELi4ELi8ELb1EEvPKcS1_S1_S1_S1_PKiPfP15HIP_vector_typeIfLj2EEffffjfiS5_IjLj3EEiiiiiiiiiiiliiliiiiil
		.amdhsa_group_segment_fixed_size 37888
		.amdhsa_private_segment_fixed_size 0
		.amdhsa_kernarg_size 464
		.amdhsa_user_sgpr_count 2
		.amdhsa_user_sgpr_dispatch_ptr 0
		.amdhsa_user_sgpr_queue_ptr 0
		.amdhsa_user_sgpr_kernarg_segment_ptr 1
		.amdhsa_user_sgpr_dispatch_id 0
		.amdhsa_user_sgpr_private_segment_size 0
		.amdhsa_wavefront_size32 1
		.amdhsa_uses_dynamic_stack 0
		.amdhsa_enable_private_segment 0
		.amdhsa_system_sgpr_workgroup_id_x 1
		.amdhsa_system_sgpr_workgroup_id_y 1
		.amdhsa_system_sgpr_workgroup_id_z 1
		.amdhsa_system_sgpr_workgroup_info 0
		.amdhsa_system_vgpr_workitem_id 1
		.amdhsa_next_free_vgpr 217
		.amdhsa_next_free_sgpr 44
		.amdhsa_reserve_vcc 1
		.amdhsa_float_round_mode_32 0
		.amdhsa_float_round_mode_16_64 0
		.amdhsa_float_denorm_mode_32 3
		.amdhsa_float_denorm_mode_16_64 3
		.amdhsa_fp16_overflow 0
		.amdhsa_workgroup_processor_mode 1
		.amdhsa_memory_ordered 1
		.amdhsa_forward_progress 1
		.amdhsa_inst_pref_size 209
		.amdhsa_round_robin_scheduling 0
		.amdhsa_exception_fp_ieee_invalid_op 0
		.amdhsa_exception_fp_denorm_src 0
		.amdhsa_exception_fp_ieee_div_zero 0
		.amdhsa_exception_fp_ieee_overflow 0
		.amdhsa_exception_fp_ieee_underflow 0
		.amdhsa_exception_fp_ieee_inexact 0
		.amdhsa_exception_int_div_zero 0
	.end_amdhsa_kernel
	.section	.text._ZL15flash_attn_tileILi256ELi256ELi4ELi8ELb1EEvPKcS1_S1_S1_S1_PKiPfP15HIP_vector_typeIfLj2EEffffjfiS5_IjLj3EEiiiiiiiiiiiliiliiiiil,"axG",@progbits,_ZL15flash_attn_tileILi256ELi256ELi4ELi8ELb1EEvPKcS1_S1_S1_S1_PKiPfP15HIP_vector_typeIfLj2EEffffjfiS5_IjLj3EEiiiiiiiiiiiliiliiiiil,comdat
.Lfunc_end58:
	.size	_ZL15flash_attn_tileILi256ELi256ELi4ELi8ELb1EEvPKcS1_S1_S1_S1_PKiPfP15HIP_vector_typeIfLj2EEffffjfiS5_IjLj3EEiiiiiiiiiiiliiliiiiil, .Lfunc_end58-_ZL15flash_attn_tileILi256ELi256ELi4ELi8ELb1EEvPKcS1_S1_S1_S1_PKiPfP15HIP_vector_typeIfLj2EEffffjfiS5_IjLj3EEiiiiiiiiiiiliiliiiiil
                                        ; -- End function
	.set _ZL15flash_attn_tileILi256ELi256ELi4ELi8ELb1EEvPKcS1_S1_S1_S1_PKiPfP15HIP_vector_typeIfLj2EEffffjfiS5_IjLj3EEiiiiiiiiiiiliiliiiiil.num_vgpr, 183
	.set _ZL15flash_attn_tileILi256ELi256ELi4ELi8ELb1EEvPKcS1_S1_S1_S1_PKiPfP15HIP_vector_typeIfLj2EEffffjfiS5_IjLj3EEiiiiiiiiiiiliiliiiiil.num_agpr, 0
	.set _ZL15flash_attn_tileILi256ELi256ELi4ELi8ELb1EEvPKcS1_S1_S1_S1_PKiPfP15HIP_vector_typeIfLj2EEffffjfiS5_IjLj3EEiiiiiiiiiiiliiliiiiil.numbered_sgpr, 44
	.set _ZL15flash_attn_tileILi256ELi256ELi4ELi8ELb1EEvPKcS1_S1_S1_S1_PKiPfP15HIP_vector_typeIfLj2EEffffjfiS5_IjLj3EEiiiiiiiiiiiliiliiiiil.num_named_barrier, 0
	.set _ZL15flash_attn_tileILi256ELi256ELi4ELi8ELb1EEvPKcS1_S1_S1_S1_PKiPfP15HIP_vector_typeIfLj2EEffffjfiS5_IjLj3EEiiiiiiiiiiiliiliiiiil.private_seg_size, 0
	.set _ZL15flash_attn_tileILi256ELi256ELi4ELi8ELb1EEvPKcS1_S1_S1_S1_PKiPfP15HIP_vector_typeIfLj2EEffffjfiS5_IjLj3EEiiiiiiiiiiiliiliiiiil.uses_vcc, 1
	.set _ZL15flash_attn_tileILi256ELi256ELi4ELi8ELb1EEvPKcS1_S1_S1_S1_PKiPfP15HIP_vector_typeIfLj2EEffffjfiS5_IjLj3EEiiiiiiiiiiiliiliiiiil.uses_flat_scratch, 0
	.set _ZL15flash_attn_tileILi256ELi256ELi4ELi8ELb1EEvPKcS1_S1_S1_S1_PKiPfP15HIP_vector_typeIfLj2EEffffjfiS5_IjLj3EEiiiiiiiiiiiliiliiiiil.has_dyn_sized_stack, 0
	.set _ZL15flash_attn_tileILi256ELi256ELi4ELi8ELb1EEvPKcS1_S1_S1_S1_PKiPfP15HIP_vector_typeIfLj2EEffffjfiS5_IjLj3EEiiiiiiiiiiiliiliiiiil.has_recursion, 0
	.set _ZL15flash_attn_tileILi256ELi256ELi4ELi8ELb1EEvPKcS1_S1_S1_S1_PKiPfP15HIP_vector_typeIfLj2EEffffjfiS5_IjLj3EEiiiiiiiiiiiliiliiiiil.has_indirect_call, 0
	.section	.AMDGPU.csdata,"",@progbits
; Kernel info:
; codeLenInByte = 26704
; TotalNumSgprs: 46
; NumVgprs: 183
; ScratchSize: 0
; MemoryBound: 0
; FloatMode: 240
; IeeeMode: 1
; LDSByteSize: 37888 bytes/workgroup (compile time only)
; SGPRBlocks: 0
; VGPRBlocks: 27
; NumSGPRsForWavesPerEU: 46
; NumVGPRsForWavesPerEU: 217
; Occupancy: 6
; WaveLimiterHint : 1
; COMPUTE_PGM_RSRC2:SCRATCH_EN: 0
; COMPUTE_PGM_RSRC2:USER_SGPR: 2
; COMPUTE_PGM_RSRC2:TRAP_HANDLER: 0
; COMPUTE_PGM_RSRC2:TGID_X_EN: 1
; COMPUTE_PGM_RSRC2:TGID_Y_EN: 1
; COMPUTE_PGM_RSRC2:TGID_Z_EN: 1
; COMPUTE_PGM_RSRC2:TIDIG_COMP_CNT: 1
	.section	.text._ZL15flash_attn_tileILi256ELi256ELi2ELi8ELb1EEvPKcS1_S1_S1_S1_PKiPfP15HIP_vector_typeIfLj2EEffffjfiS5_IjLj3EEiiiiiiiiiiiliiliiiiil,"axG",@progbits,_ZL15flash_attn_tileILi256ELi256ELi2ELi8ELb1EEvPKcS1_S1_S1_S1_PKiPfP15HIP_vector_typeIfLj2EEffffjfiS5_IjLj3EEiiiiiiiiiiiliiliiiiil,comdat
	.globl	_ZL15flash_attn_tileILi256ELi256ELi2ELi8ELb1EEvPKcS1_S1_S1_S1_PKiPfP15HIP_vector_typeIfLj2EEffffjfiS5_IjLj3EEiiiiiiiiiiiliiliiiiil ; -- Begin function _ZL15flash_attn_tileILi256ELi256ELi2ELi8ELb1EEvPKcS1_S1_S1_S1_PKiPfP15HIP_vector_typeIfLj2EEffffjfiS5_IjLj3EEiiiiiiiiiiiliiliiiiil
	.p2align	8
	.type	_ZL15flash_attn_tileILi256ELi256ELi2ELi8ELb1EEvPKcS1_S1_S1_S1_PKiPfP15HIP_vector_typeIfLj2EEffffjfiS5_IjLj3EEiiiiiiiiiiiliiliiiiil,@function
_ZL15flash_attn_tileILi256ELi256ELi2ELi8ELb1EEvPKcS1_S1_S1_S1_PKiPfP15HIP_vector_typeIfLj2EEffffjfiS5_IjLj3EEiiiiiiiiiiiliiliiiiil: ; @_ZL15flash_attn_tileILi256ELi256ELi2ELi8ELb1EEvPKcS1_S1_S1_S1_PKiPfP15HIP_vector_typeIfLj2EEffffjfiS5_IjLj3EEiiiiiiiiiiiliiliiiiil
; %bb.0:
	s_clause 0x1
	s_load_b128 s[20:23], s[0:1], 0x5c
	s_load_b64 s[28:29], s[0:1], 0x80
	s_lshr_b32 s5, ttmp7, 16
	s_load_b64 s[36:37], s[0:1], 0xb8
	s_mov_b32 s35, 0
	s_mov_b64 s[30:31], 0
	s_wait_kmcnt 0x0
	s_ashr_i32 s2, s23, 31
	s_delay_alu instid0(SALU_CYCLE_1) | instskip(NEXT) | instid1(SALU_CYCLE_1)
	s_lshr_b32 s2, s2, 29
	s_add_co_i32 s2, s23, s2
	s_delay_alu instid0(SALU_CYCLE_1) | instskip(NEXT) | instid1(SALU_CYCLE_1)
	s_ashr_i32 s2, s2, 3
	s_cvt_f32_u32 s3, s2
	s_sub_co_i32 s4, 0, s2
	s_delay_alu instid0(SALU_CYCLE_2) | instskip(NEXT) | instid1(TRANS32_DEP_1)
	v_rcp_iflag_f32_e32 v1, s3
	v_readfirstlane_b32 s3, v1
	s_mul_f32 s3, s3, 0x4f7ffffe
	s_wait_alu 0xfffe
	s_delay_alu instid0(SALU_CYCLE_2) | instskip(SKIP_1) | instid1(SALU_CYCLE_2)
	s_cvt_u32_f32 s3, s3
	s_wait_alu 0xfffe
	s_mul_i32 s4, s4, s3
	s_delay_alu instid0(SALU_CYCLE_1) | instskip(NEXT) | instid1(SALU_CYCLE_1)
	s_mul_hi_u32 s4, s3, s4
	s_add_co_i32 s3, s3, s4
	s_wait_alu 0xfffe
	s_mul_hi_u32 s3, s5, s3
	s_wait_alu 0xfffe
	s_mul_i32 s4, s3, s2
	s_add_co_i32 s6, s3, 1
	s_sub_co_i32 s4, s5, s4
	s_delay_alu instid0(SALU_CYCLE_1)
	s_sub_co_i32 s7, s4, s2
	s_cmp_ge_u32 s4, s2
	s_cselect_b32 s3, s6, s3
	s_cselect_b32 s4, s7, s4
	s_wait_alu 0xfffe
	s_add_co_i32 s6, s3, 1
	s_cmp_ge_u32 s4, s2
	s_cselect_b32 s2, s6, s3
	s_abs_i32 s3, s29
	s_abs_i32 s8, s23
	s_wait_alu 0xfffe
	s_cvt_f32_u32 s4, s3
	s_sub_co_i32 s6, 0, s3
	s_lshl_b32 s5, s5, 3
	s_mul_i32 s7, s2, s23
	v_rcp_iflag_f32_e32 v1, s4
	s_sub_co_i32 s33, s5, s7
	s_xor_b32 s5, s23, s29
	s_wait_alu 0xfffe
	s_ashr_i32 s24, s5, 31
	s_delay_alu instid0(TRANS32_DEP_1) | instskip(SKIP_2) | instid1(SALU_CYCLE_2)
	v_readfirstlane_b32 s4, v1
	s_mul_f32 s4, s4, 0x4f7ffffe
	s_wait_alu 0xfffe
	s_cvt_u32_f32 s4, s4
	s_wait_alu 0xfffe
	s_delay_alu instid0(SALU_CYCLE_2) | instskip(NEXT) | instid1(SALU_CYCLE_1)
	s_mul_i32 s6, s6, s4
	s_mul_hi_u32 s6, s4, s6
	s_delay_alu instid0(SALU_CYCLE_1) | instskip(SKIP_4) | instid1(SALU_CYCLE_1)
	s_add_co_i32 s4, s4, s6
	s_wait_alu 0xfffe
	s_mul_hi_u32 s4, s8, s4
	s_wait_alu 0xfffe
	s_mul_i32 s6, s4, s3
	s_sub_co_i32 s5, s8, s6
	s_add_co_i32 s6, s4, 1
	s_wait_alu 0xfffe
	s_sub_co_i32 s7, s5, s3
	s_cmp_ge_u32 s5, s3
	s_cselect_b32 s4, s6, s4
	s_cselect_b32 s5, s7, s5
	s_wait_alu 0xfffe
	s_add_co_i32 s6, s4, 1
	s_cmp_ge_u32 s5, s3
	s_cselect_b32 s3, s6, s4
	s_load_b512 s[4:19], s[0:1], 0x0
	s_xor_b32 s3, s3, s24
	s_wait_alu 0xfffe
	s_sub_co_i32 s38, s3, s24
	s_delay_alu instid0(SALU_CYCLE_1) | instskip(NEXT) | instid1(SALU_CYCLE_1)
	s_abs_i32 s29, s38
	s_cvt_f32_u32 s3, s29
	s_wait_alu 0xfffe
	s_delay_alu instid0(SALU_CYCLE_2) | instskip(SKIP_2) | instid1(TRANS32_DEP_1)
	v_rcp_iflag_f32_e32 v1, s3
	s_wait_kmcnt 0x0
	s_cmp_eq_u64 s[10:11], 0
	v_readfirstlane_b32 s27, v1
	s_cbranch_scc1 .LBB59_2
; %bb.1:
	s_abs_i32 s3, s36
	s_wait_alu 0xfffe
	s_cvt_f32_u32 s24, s3
	s_delay_alu instid0(SALU_CYCLE_3) | instskip(NEXT) | instid1(TRANS32_DEP_1)
	v_rcp_iflag_f32_e32 v1, s24
	v_readfirstlane_b32 s24, v1
	s_mul_f32 s24, s24, 0x4f7ffffe
	s_wait_alu 0xfffe
	s_delay_alu instid0(SALU_CYCLE_2) | instskip(SKIP_2) | instid1(SALU_CYCLE_1)
	s_cvt_u32_f32 s26, s24
	s_sub_co_i32 s24, 0, s3
	s_wait_alu 0xfffe
	s_mul_i32 s24, s24, s26
	s_wait_alu 0xfffe
	s_mul_hi_u32 s30, s26, s24
	s_load_b64 s[24:25], s[0:1], 0xc8
	s_add_co_i32 s26, s26, s30
	s_delay_alu instid0(SALU_CYCLE_1) | instskip(NEXT) | instid1(SALU_CYCLE_1)
	s_mul_hi_u32 s26, s2, s26
	s_mul_i32 s26, s26, s3
	s_delay_alu instid0(SALU_CYCLE_1) | instskip(NEXT) | instid1(SALU_CYCLE_1)
	s_sub_co_i32 s26, s2, s26
	s_sub_co_i32 s30, s26, s3
	s_cmp_ge_u32 s26, s3
	s_cselect_b32 s26, s30, s26
	s_delay_alu instid0(SALU_CYCLE_1) | instskip(SKIP_2) | instid1(SALU_CYCLE_1)
	s_sub_co_i32 s30, s26, s3
	s_cmp_ge_u32 s26, s3
	s_cselect_b32 s30, s30, s26
	s_ashr_i32 s31, s30, 31
	s_wait_kmcnt 0x0
	s_mul_u64 s[24:25], s[24:25], s[30:31]
	s_wait_alu 0xfffe
	s_add_nc_u64 s[30:31], s[10:11], s[24:25]
.LBB59_2:
	v_lshrrev_b32_e32 v1, 10, v0
	s_load_b96 s[24:26], s[0:1], 0x70
	v_and_b32_e32 v77, 0x3ff, v0
	s_delay_alu instid0(VALU_DEP_2) | instskip(NEXT) | instid1(VALU_DEP_1)
	v_bfe_u32 v1, v1, 2, 8
	v_lshl_add_u32 v76, ttmp9, 1, v1
	s_delay_alu instid0(VALU_DEP_1) | instskip(SKIP_3) | instid1(VALU_DEP_1)
	v_mul_hi_u32 v1, s20, v76
	s_wait_kmcnt 0x0
	s_mul_i32 s10, s33, s25
	s_mov_b32 s20, s25
	v_add_nc_u32_e32 v1, v76, v1
	s_ashr_i32 s11, s10, 31
	s_delay_alu instid0(VALU_DEP_1)
	v_lshrrev_b32_e32 v2, s21, v1
	s_ashr_i32 s21, s25, 31
	s_ashr_i32 s25, s24, 31
	v_bfe_u32 v1, v0, 10, 10
	s_wait_alu 0xfffe
	s_lshr_b64 s[40:41], s[24:25], 2
	v_mul_lo_u32 v2, v2, s22
	s_lshr_b32 s3, s25, 2
	s_mul_i32 s24, s2, s26
	s_wait_alu 0xfffe
	s_ashr_i32 s25, s24, 31
	s_wait_alu 0xfffe
	s_add_nc_u64 s[4:5], s[4:5], s[24:25]
	s_wait_alu 0xfffe
	s_add_nc_u64 s[4:5], s[4:5], s[10:11]
	v_sub_nc_u32_e32 v2, v76, v2
	s_delay_alu instid0(VALU_DEP_1) | instskip(SKIP_2) | instid1(VALU_DEP_2)
	v_mad_co_u64_u32 v[3:4], null, s40, v2, 0
	v_lshlrev_b32_e32 v5, 1, v1
	s_lshr_b64 s[40:41], s[20:21], 2
	v_mov_b32_e32 v0, v4
	s_delay_alu instid0(VALU_DEP_2) | instskip(NEXT) | instid1(VALU_DEP_2)
	v_or_b32_e32 v19, 1, v5
	v_mad_co_u64_u32 v[7:8], null, s3, v2, v[0:1]
	s_delay_alu instid0(VALU_DEP_2) | instskip(SKIP_3) | instid1(VALU_DEP_1)
	v_and_b32_e32 v10, 7, v19
	s_lshr_b32 s3, s21, 2
	s_cmp_eq_u64 s[14:15], 0
	s_wait_alu 0xfffe
	v_mad_co_u64_u32 v[8:9], null, s40, v10, 0
	s_delay_alu instid0(VALU_DEP_3) | instskip(SKIP_2) | instid1(VALU_DEP_3)
	v_dual_mov_b32 v4, v7 :: v_dual_and_b32 v97, 6, v5
	v_lshlrev_b32_e32 v11, 4, v77
	v_lshlrev_b32_e32 v99, 3, v77
	v_mad_co_u64_u32 v[5:6], null, s40, v97, 0
	s_delay_alu instid0(VALU_DEP_4) | instskip(NEXT) | instid1(VALU_DEP_3)
	v_lshlrev_b64_e32 v[3:4], 2, v[3:4]
	v_add_nc_u32_e32 v20, 0x4200, v99
	s_delay_alu instid0(VALU_DEP_3) | instskip(NEXT) | instid1(VALU_DEP_2)
	v_mov_b32_e32 v0, v6
	v_lshl_add_u32 v19, v19, 9, v20
	s_delay_alu instid0(VALU_DEP_2) | instskip(SKIP_1) | instid1(VALU_DEP_1)
	v_mad_co_u64_u32 v[6:7], null, s3, v97, v[0:1]
	v_mov_b32_e32 v0, v9
	v_mad_co_u64_u32 v[9:10], null, s3, v10, v[0:1]
	v_add_co_u32 v0, vcc_lo, s4, v3
	s_delay_alu instid0(VALU_DEP_1) | instskip(SKIP_1) | instid1(VALU_DEP_3)
	v_add_co_ci_u32_e64 v7, null, s5, v4, vcc_lo
	v_lshlrev_b64_e32 v[3:4], 2, v[5:6]
	v_add_co_u32 v0, vcc_lo, v0, v11
	s_wait_alu 0xfffd
	s_delay_alu instid0(VALU_DEP_3) | instskip(SKIP_1) | instid1(VALU_DEP_3)
	v_add_co_ci_u32_e64 v12, null, 0, v7, vcc_lo
	v_lshlrev_b64_e32 v[7:8], 2, v[8:9]
	v_add_co_u32 v10, vcc_lo, v0, v3
	s_wait_alu 0xfffd
	s_delay_alu instid0(VALU_DEP_3)
	v_add_co_ci_u32_e64 v11, null, v12, v4, vcc_lo
	s_load_b32 s3, s[0:1], 0x40
	v_add_co_u32 v15, vcc_lo, v0, v7
	s_wait_alu 0xfffd
	v_add_co_ci_u32_e64 v16, null, v12, v8, vcc_lo
	s_clause 0x3
	global_load_b128 v[3:6], v[10:11], off
	global_load_b128 v[7:10], v[10:11], off offset:512
	global_load_b128 v[11:14], v[15:16], off
	global_load_b128 v[15:18], v[15:16], off offset:512
	v_lshlrev_b32_e32 v0, 10, v1
	s_delay_alu instid0(VALU_DEP_1)
	v_add_nc_u32_e32 v21, v20, v0
	s_wait_loadcnt 0x3
	s_wait_kmcnt 0x0
	v_fma_mixlo_f16 v3, s3, v3, 0
	v_fma_mixlo_f16 v4, s3, v4, 0
	;; [unrolled: 1-line block ×4, first 2 shown]
	s_wait_loadcnt 0x2
	v_fma_mixlo_f16 v7, s3, v7, 0
	v_fma_mixlo_f16 v8, s3, v8, 0
	;; [unrolled: 1-line block ×4, first 2 shown]
	s_wait_loadcnt 0x1
	v_fma_mixlo_f16 v11, s3, v11, 0
	v_fma_mixlo_f16 v12, s3, v12, 0
	s_wait_loadcnt 0x0
	v_fma_mixlo_f16 v15, s3, v15, 0
	v_fma_mixlo_f16 v16, s3, v16, 0
	v_lshlrev_b32_e32 v4, 16, v4
	v_and_b32_e32 v3, 0xffff, v3
	v_lshlrev_b32_e32 v6, 16, v6
	v_and_b32_e32 v5, 0xffff, v5
	;; [unrolled: 2-line block ×3, first 2 shown]
	v_fma_mixlo_f16 v13, s3, v13, 0
	v_fma_mixlo_f16 v14, s3, v14, 0
	;; [unrolled: 1-line block ×4, first 2 shown]
	v_lshlrev_b32_e32 v10, 16, v10
	v_and_b32_e32 v9, 0xffff, v9
	v_lshlrev_b32_e32 v12, 16, v12
	v_and_b32_e32 v11, 0xffff, v11
	v_lshlrev_b32_e32 v16, 16, v16
	v_and_b32_e32 v15, 0xffff, v15
	v_or_b32_e32 v3, v4, v3
	v_or3_b32 v4, v6, v5, 0
	v_or_b32_e32 v5, v8, v7
	v_lshlrev_b32_e32 v14, 16, v14
	v_and_b32_e32 v13, 0xffff, v13
	v_lshlrev_b32_e32 v18, 16, v18
	v_and_b32_e32 v17, 0xffff, v17
	v_or3_b32 v6, v10, v9, 0
	v_or_b32_e32 v7, v12, v11
	v_or_b32_e32 v9, v16, v15
	v_or3_b32 v3, 0, 0, v3
	v_or3_b32 v5, 0, 0, v5
	v_or3_b32 v8, v14, v13, 0
	v_or3_b32 v10, v18, v17, 0
	v_or3_b32 v7, 0, 0, v7
	v_or3_b32 v9, 0, 0, v9
	ds_store_2addr_b64 v21, v[3:4], v[5:6] offset1:32
	ds_store_2addr_b64 v19, v[7:8], v[9:10] offset1:32
	s_wait_dscnt 0x0
	s_barrier_signal -1
	s_barrier_wait -1
	global_inv scope:SCOPE_SE
	s_cbranch_scc1 .LBB59_4
; %bb.3:
	s_load_b32 s3, s[0:1], 0xd0
	s_mov_b32 s5, 0
	s_wait_kmcnt 0x0
	s_mul_i32 s3, s3, s2
	s_wait_alu 0xfffe
	s_add_co_i32 s4, s3, ttmp9
	s_wait_alu 0xfffe
	s_lshl_b64 s[4:5], s[4:5], 2
	s_wait_alu 0xfffe
	s_add_nc_u64 s[4:5], s[14:15], s[4:5]
	s_load_b32 s28, s[4:5], 0x0
.LBB59_4:
	s_and_b32 s4, ttmp7, 0xffff
	v_lshlrev_b32_e32 v98, 2, v77
	v_mbcnt_lo_u32_b32 v100, -1, 0
	s_wait_alu 0xfffe
	s_lshl_b32 s10, s4, 5
	s_wait_kmcnt 0x0
	s_cmp_lt_i32 s10, s28
	s_cbranch_scc1 .LBB59_7
; %bb.5:
	v_mbcnt_lo_u32_b32 v3, -1, 0
	v_mov_b32_e32 v101, 32
	s_delay_alu instid0(VALU_DEP_2)
	v_xor_b32_e32 v118, 16, v3
	v_xor_b32_e32 v114, 8, v3
	;; [unrolled: 1-line block ×5, first 2 shown]
	s_mov_b32 s3, 0
	s_cbranch_execz .LBB59_8
; %bb.6:
	v_dual_mov_b32 v69, 0 :: v_dual_mov_b32 v96, 0xfeffffff
	v_dual_mov_b32 v119, 0 :: v_dual_mov_b32 v120, 0
	;; [unrolled: 1-line block ×6, first 2 shown]
	s_branch .LBB59_20
.LBB59_7:
                                        ; implicit-def: $vgpr3
                                        ; implicit-def: $vgpr101
                                        ; implicit-def: $vgpr118
                                        ; implicit-def: $vgpr114
                                        ; implicit-def: $vgpr115
                                        ; implicit-def: $vgpr116
                                        ; implicit-def: $vgpr117
	s_mov_b32 s3, 0
.LBB59_8:
	s_mul_f32 s5, s27, 0x4f7ffffe
	s_clause 0x1
	s_load_b128 s[24:27], s[0:1], 0x98
	s_load_b64 s[20:21], s[0:1], 0x8c
	s_sub_co_i32 s14, 0, s29
	s_abs_i32 s34, s33
	s_cvt_u32_f32 s11, s5
	s_clause 0x1
	s_load_b32 s5, s[0:1], 0x54
	s_load_b64 s[40:41], s[0:1], 0xa8
	s_mov_b32 s15, s35
	s_mul_i32 s14, s14, s11
	s_ashr_i32 s36, s37, 1
	s_mul_hi_u32 s14, s11, s14
	v_dual_mov_b32 v19, 0 :: v_dual_add_nc_u32 v108, 0x4200, v0
	s_add_co_i32 s14, s11, s14
	s_ashr_i32 s11, s33, 31
	s_mul_u64 s[14:15], s[34:35], s[14:15]
	s_ashr_i32 s14, s38, 31
	s_mul_i32 s35, s15, s29
	s_xor_b32 s11, s11, s14
	s_add_co_i32 s37, s15, 1
	s_wait_kmcnt 0x0
	s_ashr_i32 s14, s26, 2
	s_sub_co_i32 s26, s34, s35
	s_ashr_i32 s20, s20, 2
	s_sub_co_i32 s34, s26, s29
	s_cmp_ge_u32 s26, s29
	s_mul_u64 s[24:25], s[24:25], s[2:3]
	s_cselect_b32 s15, s37, s15
	s_cselect_b32 s26, s34, s26
	s_add_co_i32 s37, s15, 1
	s_cmp_ge_u32 s26, s29
	s_mul_u64 s[34:35], s[40:41], s[2:3]
	s_cselect_b32 s3, s37, s15
	s_wait_alu 0xfffe
	v_mul_lo_u32 v3, s20, v1
	v_mul_lo_u32 v9, s14, v1
	s_xor_b32 s3, s3, s11
	s_add_nc_u64 s[6:7], s[6:7], s[24:25]
	s_wait_alu 0xfffe
	s_sub_co_i32 s3, s3, s11
	s_lshl_b32 s11, s20, 3
	s_wait_alu 0xfffe
	s_mul_i32 s24, s3, s21
	s_mul_i32 s26, s3, s27
	s_lshl_b32 s3, s14, 3
	v_dual_mov_b32 v22, 0 :: v_dual_add_nc_u32 v5, s11, v3
	s_wait_alu 0xfffe
	v_dual_mov_b32 v20, 0 :: v_dual_add_nc_u32 v13, s3, v9
	v_dual_mov_b32 v25, 0xfeffffff :: v_dual_lshlrev_b32 v102, 2, v98
	s_delay_alu instid0(VALU_DEP_3) | instskip(NEXT) | instid1(VALU_DEP_3)
	v_dual_mov_b32 v16, 0 :: v_dual_add_nc_u32 v7, s11, v5
	v_dual_mov_b32 v21, 0 :: v_dual_add_nc_u32 v0, s3, v13
	s_delay_alu instid0(VALU_DEP_3) | instskip(NEXT) | instid1(VALU_DEP_3)
	v_mad_u32_u24 v103, 0x210, v1, v102
	v_dual_mov_b32 v68, 0 :: v_dual_add_nc_u32 v11, s11, v7
	s_delay_alu instid0(VALU_DEP_3)
	v_dual_mov_b32 v24, 0xfeffffff :: v_dual_add_nc_u32 v17, s3, v0
	v_ashrrev_i32_e32 v4, 31, v3
	v_ashrrev_i32_e32 v6, 31, v5
	;; [unrolled: 1-line block ×4, first 2 shown]
	v_lshl_add_u32 v109, v1, 9, v102
	v_lshl_add_u32 v110, v1, 7, 0x6200
	v_ashrrev_i32_e32 v10, 31, v9
	v_ashrrev_i32_e32 v14, 31, v13
	;; [unrolled: 1-line block ×4, first 2 shown]
	v_mad_co_u64_u32 v[78:79], null, v2, s36, v[77:78]
	v_lshlrev_b64_e32 v[79:80], 2, v[3:4]
	v_lshlrev_b64_e32 v[81:82], 2, v[5:6]
	v_lshlrev_b64_e32 v[83:84], 2, v[7:8]
	v_lshlrev_b64_e32 v[85:86], 2, v[11:12]
	v_lshlrev_b64_e32 v[87:88], 2, v[9:10]
	v_lshlrev_b64_e32 v[89:90], 2, v[13:14]
	v_lshlrev_b64_e32 v[91:92], 2, v[0:1]
	v_lshlrev_b64_e32 v[93:94], 2, v[17:18]
	v_dual_mov_b32 v101, 32 :: v_dual_add_nc_u32 v104, 0x1080, v103
	v_dual_mov_b32 v18, 0 :: v_dual_add_nc_u32 v105, 0x2100, v103
	;; [unrolled: 1-line block ×3, first 2 shown]
	v_mul_u32_u24_e32 v107, 0x210, v77
	v_add_nc_u32_e32 v111, 0x1000, v109
	v_dual_mov_b32 v69, 0 :: v_dual_add_nc_u32 v112, 0x2000, v109
	v_add_nc_u32_e32 v113, 0x3000, v109
	v_mov_b32_e32 v23, 0
	s_add_nc_u64 s[8:9], s[8:9], s[34:35]
	s_ashr_i32 s25, s24, 31
	s_ashr_i32 s27, s26, 31
	s_wait_alu 0xfffe
	s_add_nc_u64 s[6:7], s[6:7], s[24:25]
	s_add_nc_u64 s[8:9], s[8:9], s[26:27]
	s_ashr_i32 s21, s20, 31
	s_ashr_i32 s15, s14, 31
	s_add_nc_u64 s[24:25], s[0:1], 0xd0
	s_mov_b32 s3, 0xbbbac73d
.LBB59_9:                               ; =>This Inner Loop Header: Depth=1
	s_ashr_i32 s11, s10, 31
	v_mov_b32_e32 v26, 0
	s_wait_alu 0xfffe
	s_mul_u64 s[26:27], s[10:11], s[20:21]
	s_wait_alu 0xfffe
	s_lshl_b64 s[26:27], s[26:27], 2
	s_wait_alu 0xfffe
	s_add_nc_u64 s[26:27], s[6:7], s[26:27]
	s_wait_alu 0xfffe
	v_add_co_u32 v0, vcc_lo, s26, v79
	s_wait_alu 0xfffd
	v_add_co_ci_u32_e64 v1, null, s27, v80, vcc_lo
	v_add_co_u32 v2, vcc_lo, s26, v81
	s_wait_alu 0xfffd
	v_add_co_ci_u32_e64 v3, null, s27, v82, vcc_lo
	;; [unrolled: 3-line block ×8, first 2 shown]
	s_clause 0x3
	global_load_b128 v[0:3], v[0:1], off
	global_load_b128 v[4:7], v[4:5], off
	;; [unrolled: 1-line block ×4, first 2 shown]
	s_wait_loadcnt 0x3
	ds_store_b128 v103, v[0:3]
	s_wait_loadcnt 0x2
	ds_store_b128 v104, v[4:7]
	;; [unrolled: 2-line block ×4, first 2 shown]
	s_wait_dscnt 0x0
	s_barrier_signal -1
	s_barrier_wait -1
	global_inv scope:SCOPE_SE
	ds_load_b128 v[1:4], v107
	ds_load_b128 v[5:8], v108
	ds_load_b128 v[9:12], v108 offset:512
	v_dual_mov_b32 v0, 0 :: v_dual_add_nc_u32 v13, s10, v78
	s_wait_dscnt 0x1
	;;#ASMSTART
	v_dot2_f32_f16 v0, v1, v5, v0
	;;#ASMEND
	;;#ASMSTART
	v_dot2_f32_f16 v0, v2, v6, v0
	;;#ASMEND
	;;#ASMSTART
	v_dot2_f32_f16 v0, v3, v7, v0
	;;#ASMEND
	;;#ASMSTART
	v_dot2_f32_f16 v0, v4, v8, v0
	;;#ASMEND
	s_wait_dscnt 0x0
	;;#ASMSTART
	v_dot2_f32_f16 v26, v1, v9, v26
	;;#ASMEND
	;;#ASMSTART
	v_dot2_f32_f16 v26, v2, v10, v26
	;;#ASMEND
	;;#ASMSTART
	v_dot2_f32_f16 v26, v3, v11, v26
	;;#ASMEND
	;;#ASMSTART
	v_dot2_f32_f16 v26, v4, v12, v26
	;;#ASMEND
	ds_load_b128 v[1:4], v107 offset:16
	ds_load_b128 v[5:8], v108 offset:16
	ds_load_b128 v[9:12], v108 offset:528
	s_wait_dscnt 0x1
	;;#ASMSTART
	v_dot2_f32_f16 v0, v1, v5, v0
	;;#ASMEND
	;;#ASMSTART
	v_dot2_f32_f16 v0, v2, v6, v0
	;;#ASMEND
	;;#ASMSTART
	v_dot2_f32_f16 v0, v3, v7, v0
	;;#ASMEND
	;;#ASMSTART
	v_dot2_f32_f16 v0, v4, v8, v0
	;;#ASMEND
	s_wait_dscnt 0x0
	;;#ASMSTART
	v_dot2_f32_f16 v26, v1, v9, v26
	;;#ASMEND
	;;#ASMSTART
	v_dot2_f32_f16 v26, v2, v10, v26
	;;#ASMEND
	;;#ASMSTART
	v_dot2_f32_f16 v26, v3, v11, v26
	;;#ASMEND
	;;#ASMSTART
	v_dot2_f32_f16 v26, v4, v12, v26
	;;#ASMEND
	ds_load_b128 v[1:4], v107 offset:32
	ds_load_b128 v[5:8], v108 offset:32
	ds_load_b128 v[9:12], v108 offset:544
	s_wait_dscnt 0x1
	;;#ASMSTART
	v_dot2_f32_f16 v0, v1, v5, v0
	;;#ASMEND
	;;#ASMSTART
	v_dot2_f32_f16 v0, v2, v6, v0
	;;#ASMEND
	;;#ASMSTART
	v_dot2_f32_f16 v0, v3, v7, v0
	;;#ASMEND
	;;#ASMSTART
	v_dot2_f32_f16 v0, v4, v8, v0
	;;#ASMEND
	s_wait_dscnt 0x0
	;;#ASMSTART
	v_dot2_f32_f16 v26, v1, v9, v26
	;;#ASMEND
	;;#ASMSTART
	v_dot2_f32_f16 v26, v2, v10, v26
	;;#ASMEND
	;;#ASMSTART
	v_dot2_f32_f16 v26, v3, v11, v26
	;;#ASMEND
	;;#ASMSTART
	v_dot2_f32_f16 v26, v4, v12, v26
	;;#ASMEND
	ds_load_b128 v[1:4], v107 offset:48
	ds_load_b128 v[5:8], v108 offset:48
	ds_load_b128 v[9:12], v108 offset:560
	s_wait_dscnt 0x1
	;;#ASMSTART
	v_dot2_f32_f16 v0, v1, v5, v0
	;;#ASMEND
	;;#ASMSTART
	v_dot2_f32_f16 v0, v2, v6, v0
	;;#ASMEND
	;;#ASMSTART
	v_dot2_f32_f16 v0, v3, v7, v0
	;;#ASMEND
	;;#ASMSTART
	v_dot2_f32_f16 v0, v4, v8, v0
	;;#ASMEND
	s_wait_dscnt 0x0
	;;#ASMSTART
	v_dot2_f32_f16 v26, v1, v9, v26
	;;#ASMEND
	;;#ASMSTART
	v_dot2_f32_f16 v26, v2, v10, v26
	;;#ASMEND
	;;#ASMSTART
	v_dot2_f32_f16 v26, v3, v11, v26
	;;#ASMEND
	;;#ASMSTART
	v_dot2_f32_f16 v26, v4, v12, v26
	;;#ASMEND
	ds_load_b128 v[1:4], v107 offset:64
	ds_load_b128 v[5:8], v108 offset:64
	ds_load_b128 v[9:12], v108 offset:576
	s_wait_dscnt 0x1
	;;#ASMSTART
	v_dot2_f32_f16 v0, v1, v5, v0
	;;#ASMEND
	;;#ASMSTART
	v_dot2_f32_f16 v0, v2, v6, v0
	;;#ASMEND
	;;#ASMSTART
	v_dot2_f32_f16 v0, v3, v7, v0
	;;#ASMEND
	;;#ASMSTART
	v_dot2_f32_f16 v0, v4, v8, v0
	;;#ASMEND
	s_wait_dscnt 0x0
	;;#ASMSTART
	v_dot2_f32_f16 v26, v1, v9, v26
	;;#ASMEND
	;;#ASMSTART
	v_dot2_f32_f16 v26, v2, v10, v26
	;;#ASMEND
	;;#ASMSTART
	v_dot2_f32_f16 v26, v3, v11, v26
	;;#ASMEND
	;;#ASMSTART
	v_dot2_f32_f16 v26, v4, v12, v26
	;;#ASMEND
	ds_load_b128 v[1:4], v107 offset:80
	ds_load_b128 v[5:8], v108 offset:80
	ds_load_b128 v[9:12], v108 offset:592
	s_wait_dscnt 0x1
	;;#ASMSTART
	v_dot2_f32_f16 v0, v1, v5, v0
	;;#ASMEND
	;;#ASMSTART
	v_dot2_f32_f16 v0, v2, v6, v0
	;;#ASMEND
	;;#ASMSTART
	v_dot2_f32_f16 v0, v3, v7, v0
	;;#ASMEND
	;;#ASMSTART
	v_dot2_f32_f16 v0, v4, v8, v0
	;;#ASMEND
	s_wait_dscnt 0x0
	;;#ASMSTART
	v_dot2_f32_f16 v26, v1, v9, v26
	;;#ASMEND
	;;#ASMSTART
	v_dot2_f32_f16 v26, v2, v10, v26
	;;#ASMEND
	;;#ASMSTART
	v_dot2_f32_f16 v26, v3, v11, v26
	;;#ASMEND
	;;#ASMSTART
	v_dot2_f32_f16 v26, v4, v12, v26
	;;#ASMEND
	ds_load_b128 v[1:4], v107 offset:96
	ds_load_b128 v[5:8], v108 offset:96
	ds_load_b128 v[9:12], v108 offset:608
	s_wait_dscnt 0x1
	;;#ASMSTART
	v_dot2_f32_f16 v0, v1, v5, v0
	;;#ASMEND
	;;#ASMSTART
	v_dot2_f32_f16 v0, v2, v6, v0
	;;#ASMEND
	;;#ASMSTART
	v_dot2_f32_f16 v0, v3, v7, v0
	;;#ASMEND
	;;#ASMSTART
	v_dot2_f32_f16 v0, v4, v8, v0
	;;#ASMEND
	s_wait_dscnt 0x0
	;;#ASMSTART
	v_dot2_f32_f16 v26, v1, v9, v26
	;;#ASMEND
	;;#ASMSTART
	v_dot2_f32_f16 v26, v2, v10, v26
	;;#ASMEND
	;;#ASMSTART
	v_dot2_f32_f16 v26, v3, v11, v26
	;;#ASMEND
	;;#ASMSTART
	v_dot2_f32_f16 v26, v4, v12, v26
	;;#ASMEND
	ds_load_b128 v[1:4], v107 offset:112
	ds_load_b128 v[5:8], v108 offset:112
	ds_load_b128 v[9:12], v108 offset:624
	s_wait_dscnt 0x1
	;;#ASMSTART
	v_dot2_f32_f16 v0, v1, v5, v0
	;;#ASMEND
	;;#ASMSTART
	v_dot2_f32_f16 v0, v2, v6, v0
	;;#ASMEND
	;;#ASMSTART
	v_dot2_f32_f16 v0, v3, v7, v0
	;;#ASMEND
	;;#ASMSTART
	v_dot2_f32_f16 v0, v4, v8, v0
	;;#ASMEND
	s_wait_dscnt 0x0
	;;#ASMSTART
	v_dot2_f32_f16 v26, v1, v9, v26
	;;#ASMEND
	;;#ASMSTART
	v_dot2_f32_f16 v26, v2, v10, v26
	;;#ASMEND
	;;#ASMSTART
	v_dot2_f32_f16 v26, v3, v11, v26
	;;#ASMEND
	;;#ASMSTART
	v_dot2_f32_f16 v26, v4, v12, v26
	;;#ASMEND
	ds_load_b128 v[1:4], v107 offset:128
	ds_load_b128 v[5:8], v108 offset:128
	ds_load_b128 v[9:12], v108 offset:640
	s_wait_dscnt 0x1
	;;#ASMSTART
	v_dot2_f32_f16 v0, v1, v5, v0
	;;#ASMEND
	;;#ASMSTART
	v_dot2_f32_f16 v0, v2, v6, v0
	;;#ASMEND
	;;#ASMSTART
	v_dot2_f32_f16 v0, v3, v7, v0
	;;#ASMEND
	;;#ASMSTART
	v_dot2_f32_f16 v0, v4, v8, v0
	;;#ASMEND
	s_wait_dscnt 0x0
	;;#ASMSTART
	v_dot2_f32_f16 v26, v1, v9, v26
	;;#ASMEND
	;;#ASMSTART
	v_dot2_f32_f16 v26, v2, v10, v26
	;;#ASMEND
	;;#ASMSTART
	v_dot2_f32_f16 v26, v3, v11, v26
	;;#ASMEND
	;;#ASMSTART
	v_dot2_f32_f16 v26, v4, v12, v26
	;;#ASMEND
	ds_load_b128 v[1:4], v107 offset:144
	ds_load_b128 v[5:8], v108 offset:144
	ds_load_b128 v[9:12], v108 offset:656
	s_wait_dscnt 0x1
	;;#ASMSTART
	v_dot2_f32_f16 v0, v1, v5, v0
	;;#ASMEND
	;;#ASMSTART
	v_dot2_f32_f16 v0, v2, v6, v0
	;;#ASMEND
	;;#ASMSTART
	v_dot2_f32_f16 v0, v3, v7, v0
	;;#ASMEND
	;;#ASMSTART
	v_dot2_f32_f16 v0, v4, v8, v0
	;;#ASMEND
	s_wait_dscnt 0x0
	;;#ASMSTART
	v_dot2_f32_f16 v26, v1, v9, v26
	;;#ASMEND
	;;#ASMSTART
	v_dot2_f32_f16 v26, v2, v10, v26
	;;#ASMEND
	;;#ASMSTART
	v_dot2_f32_f16 v26, v3, v11, v26
	;;#ASMEND
	;;#ASMSTART
	v_dot2_f32_f16 v26, v4, v12, v26
	;;#ASMEND
	ds_load_b128 v[1:4], v107 offset:160
	ds_load_b128 v[5:8], v108 offset:160
	ds_load_b128 v[9:12], v108 offset:672
	s_wait_dscnt 0x1
	;;#ASMSTART
	v_dot2_f32_f16 v0, v1, v5, v0
	;;#ASMEND
	;;#ASMSTART
	v_dot2_f32_f16 v0, v2, v6, v0
	;;#ASMEND
	;;#ASMSTART
	v_dot2_f32_f16 v0, v3, v7, v0
	;;#ASMEND
	;;#ASMSTART
	v_dot2_f32_f16 v0, v4, v8, v0
	;;#ASMEND
	s_wait_dscnt 0x0
	;;#ASMSTART
	v_dot2_f32_f16 v26, v1, v9, v26
	;;#ASMEND
	;;#ASMSTART
	v_dot2_f32_f16 v26, v2, v10, v26
	;;#ASMEND
	;;#ASMSTART
	v_dot2_f32_f16 v26, v3, v11, v26
	;;#ASMEND
	;;#ASMSTART
	v_dot2_f32_f16 v26, v4, v12, v26
	;;#ASMEND
	ds_load_b128 v[1:4], v107 offset:176
	ds_load_b128 v[5:8], v108 offset:176
	ds_load_b128 v[9:12], v108 offset:688
	s_wait_dscnt 0x1
	;;#ASMSTART
	v_dot2_f32_f16 v0, v1, v5, v0
	;;#ASMEND
	;;#ASMSTART
	v_dot2_f32_f16 v0, v2, v6, v0
	;;#ASMEND
	;;#ASMSTART
	v_dot2_f32_f16 v0, v3, v7, v0
	;;#ASMEND
	;;#ASMSTART
	v_dot2_f32_f16 v0, v4, v8, v0
	;;#ASMEND
	s_wait_dscnt 0x0
	;;#ASMSTART
	v_dot2_f32_f16 v26, v1, v9, v26
	;;#ASMEND
	;;#ASMSTART
	v_dot2_f32_f16 v26, v2, v10, v26
	;;#ASMEND
	;;#ASMSTART
	v_dot2_f32_f16 v26, v3, v11, v26
	;;#ASMEND
	;;#ASMSTART
	v_dot2_f32_f16 v26, v4, v12, v26
	;;#ASMEND
	ds_load_b128 v[1:4], v107 offset:192
	ds_load_b128 v[5:8], v108 offset:192
	ds_load_b128 v[9:12], v108 offset:704
	s_wait_dscnt 0x1
	;;#ASMSTART
	v_dot2_f32_f16 v0, v1, v5, v0
	;;#ASMEND
	;;#ASMSTART
	v_dot2_f32_f16 v0, v2, v6, v0
	;;#ASMEND
	;;#ASMSTART
	v_dot2_f32_f16 v0, v3, v7, v0
	;;#ASMEND
	;;#ASMSTART
	v_dot2_f32_f16 v0, v4, v8, v0
	;;#ASMEND
	s_wait_dscnt 0x0
	;;#ASMSTART
	v_dot2_f32_f16 v26, v1, v9, v26
	;;#ASMEND
	;;#ASMSTART
	v_dot2_f32_f16 v26, v2, v10, v26
	;;#ASMEND
	;;#ASMSTART
	v_dot2_f32_f16 v26, v3, v11, v26
	;;#ASMEND
	;;#ASMSTART
	v_dot2_f32_f16 v26, v4, v12, v26
	;;#ASMEND
	ds_load_b128 v[1:4], v107 offset:208
	ds_load_b128 v[5:8], v108 offset:208
	ds_load_b128 v[9:12], v108 offset:720
	s_wait_dscnt 0x1
	;;#ASMSTART
	v_dot2_f32_f16 v0, v1, v5, v0
	;;#ASMEND
	;;#ASMSTART
	v_dot2_f32_f16 v0, v2, v6, v0
	;;#ASMEND
	;;#ASMSTART
	v_dot2_f32_f16 v0, v3, v7, v0
	;;#ASMEND
	;;#ASMSTART
	v_dot2_f32_f16 v0, v4, v8, v0
	;;#ASMEND
	s_wait_dscnt 0x0
	;;#ASMSTART
	v_dot2_f32_f16 v26, v1, v9, v26
	;;#ASMEND
	;;#ASMSTART
	v_dot2_f32_f16 v26, v2, v10, v26
	;;#ASMEND
	;;#ASMSTART
	v_dot2_f32_f16 v26, v3, v11, v26
	;;#ASMEND
	;;#ASMSTART
	v_dot2_f32_f16 v26, v4, v12, v26
	;;#ASMEND
	ds_load_b128 v[1:4], v107 offset:224
	ds_load_b128 v[5:8], v108 offset:224
	ds_load_b128 v[9:12], v108 offset:736
	s_wait_dscnt 0x1
	;;#ASMSTART
	v_dot2_f32_f16 v0, v1, v5, v0
	;;#ASMEND
	;;#ASMSTART
	v_dot2_f32_f16 v0, v2, v6, v0
	;;#ASMEND
	;;#ASMSTART
	v_dot2_f32_f16 v0, v3, v7, v0
	;;#ASMEND
	;;#ASMSTART
	v_dot2_f32_f16 v0, v4, v8, v0
	;;#ASMEND
	s_wait_dscnt 0x0
	;;#ASMSTART
	v_dot2_f32_f16 v26, v1, v9, v26
	;;#ASMEND
	;;#ASMSTART
	v_dot2_f32_f16 v26, v2, v10, v26
	;;#ASMEND
	;;#ASMSTART
	v_dot2_f32_f16 v26, v3, v11, v26
	;;#ASMEND
	;;#ASMSTART
	v_dot2_f32_f16 v26, v4, v12, v26
	;;#ASMEND
	ds_load_b128 v[1:4], v107 offset:240
	ds_load_b128 v[5:8], v108 offset:240
	ds_load_b128 v[9:12], v108 offset:752
	s_wait_dscnt 0x1
	;;#ASMSTART
	v_dot2_f32_f16 v0, v1, v5, v0
	;;#ASMEND
	;;#ASMSTART
	v_dot2_f32_f16 v0, v2, v6, v0
	;;#ASMEND
	;;#ASMSTART
	v_dot2_f32_f16 v0, v3, v7, v0
	;;#ASMEND
	;;#ASMSTART
	v_dot2_f32_f16 v0, v4, v8, v0
	;;#ASMEND
	s_wait_dscnt 0x0
	;;#ASMSTART
	v_dot2_f32_f16 v26, v1, v9, v26
	;;#ASMEND
	;;#ASMSTART
	v_dot2_f32_f16 v26, v2, v10, v26
	;;#ASMEND
	;;#ASMSTART
	v_dot2_f32_f16 v26, v3, v11, v26
	;;#ASMEND
	;;#ASMSTART
	v_dot2_f32_f16 v26, v4, v12, v26
	;;#ASMEND
	ds_load_b128 v[1:4], v107 offset:256
	ds_load_b128 v[5:8], v108 offset:256
	ds_load_b128 v[9:12], v108 offset:768
	s_wait_dscnt 0x1
	;;#ASMSTART
	v_dot2_f32_f16 v0, v1, v5, v0
	;;#ASMEND
	;;#ASMSTART
	v_dot2_f32_f16 v0, v2, v6, v0
	;;#ASMEND
	;;#ASMSTART
	v_dot2_f32_f16 v0, v3, v7, v0
	;;#ASMEND
	;;#ASMSTART
	v_dot2_f32_f16 v0, v4, v8, v0
	;;#ASMEND
	s_wait_dscnt 0x0
	;;#ASMSTART
	v_dot2_f32_f16 v26, v1, v9, v26
	;;#ASMEND
	;;#ASMSTART
	v_dot2_f32_f16 v26, v2, v10, v26
	;;#ASMEND
	;;#ASMSTART
	v_dot2_f32_f16 v26, v3, v11, v26
	;;#ASMEND
	;;#ASMSTART
	v_dot2_f32_f16 v26, v4, v12, v26
	;;#ASMEND
	ds_load_b128 v[1:4], v107 offset:272
	ds_load_b128 v[5:8], v108 offset:272
	ds_load_b128 v[9:12], v108 offset:784
	s_wait_dscnt 0x1
	;;#ASMSTART
	v_dot2_f32_f16 v0, v1, v5, v0
	;;#ASMEND
	;;#ASMSTART
	v_dot2_f32_f16 v0, v2, v6, v0
	;;#ASMEND
	;;#ASMSTART
	v_dot2_f32_f16 v0, v3, v7, v0
	;;#ASMEND
	;;#ASMSTART
	v_dot2_f32_f16 v0, v4, v8, v0
	;;#ASMEND
	s_wait_dscnt 0x0
	;;#ASMSTART
	v_dot2_f32_f16 v26, v1, v9, v26
	;;#ASMEND
	;;#ASMSTART
	v_dot2_f32_f16 v26, v2, v10, v26
	;;#ASMEND
	;;#ASMSTART
	v_dot2_f32_f16 v26, v3, v11, v26
	;;#ASMEND
	;;#ASMSTART
	v_dot2_f32_f16 v26, v4, v12, v26
	;;#ASMEND
	ds_load_b128 v[1:4], v107 offset:288
	ds_load_b128 v[5:8], v108 offset:288
	ds_load_b128 v[9:12], v108 offset:800
	s_wait_dscnt 0x1
	;;#ASMSTART
	v_dot2_f32_f16 v0, v1, v5, v0
	;;#ASMEND
	;;#ASMSTART
	v_dot2_f32_f16 v0, v2, v6, v0
	;;#ASMEND
	;;#ASMSTART
	v_dot2_f32_f16 v0, v3, v7, v0
	;;#ASMEND
	;;#ASMSTART
	v_dot2_f32_f16 v0, v4, v8, v0
	;;#ASMEND
	s_wait_dscnt 0x0
	;;#ASMSTART
	v_dot2_f32_f16 v26, v1, v9, v26
	;;#ASMEND
	;;#ASMSTART
	v_dot2_f32_f16 v26, v2, v10, v26
	;;#ASMEND
	;;#ASMSTART
	v_dot2_f32_f16 v26, v3, v11, v26
	;;#ASMEND
	;;#ASMSTART
	v_dot2_f32_f16 v26, v4, v12, v26
	;;#ASMEND
	ds_load_b128 v[1:4], v107 offset:304
	ds_load_b128 v[5:8], v108 offset:304
	ds_load_b128 v[9:12], v108 offset:816
	s_wait_dscnt 0x1
	;;#ASMSTART
	v_dot2_f32_f16 v0, v1, v5, v0
	;;#ASMEND
	;;#ASMSTART
	v_dot2_f32_f16 v0, v2, v6, v0
	;;#ASMEND
	;;#ASMSTART
	v_dot2_f32_f16 v0, v3, v7, v0
	;;#ASMEND
	;;#ASMSTART
	v_dot2_f32_f16 v0, v4, v8, v0
	;;#ASMEND
	s_wait_dscnt 0x0
	;;#ASMSTART
	v_dot2_f32_f16 v26, v1, v9, v26
	;;#ASMEND
	;;#ASMSTART
	v_dot2_f32_f16 v26, v2, v10, v26
	;;#ASMEND
	;;#ASMSTART
	v_dot2_f32_f16 v26, v3, v11, v26
	;;#ASMEND
	;;#ASMSTART
	v_dot2_f32_f16 v26, v4, v12, v26
	;;#ASMEND
	ds_load_b128 v[1:4], v107 offset:320
	ds_load_b128 v[5:8], v108 offset:320
	ds_load_b128 v[9:12], v108 offset:832
	s_wait_dscnt 0x1
	;;#ASMSTART
	v_dot2_f32_f16 v0, v1, v5, v0
	;;#ASMEND
	;;#ASMSTART
	v_dot2_f32_f16 v0, v2, v6, v0
	;;#ASMEND
	;;#ASMSTART
	v_dot2_f32_f16 v0, v3, v7, v0
	;;#ASMEND
	;;#ASMSTART
	v_dot2_f32_f16 v0, v4, v8, v0
	;;#ASMEND
	s_wait_dscnt 0x0
	;;#ASMSTART
	v_dot2_f32_f16 v26, v1, v9, v26
	;;#ASMEND
	;;#ASMSTART
	v_dot2_f32_f16 v26, v2, v10, v26
	;;#ASMEND
	;;#ASMSTART
	v_dot2_f32_f16 v26, v3, v11, v26
	;;#ASMEND
	;;#ASMSTART
	v_dot2_f32_f16 v26, v4, v12, v26
	;;#ASMEND
	ds_load_b128 v[1:4], v107 offset:336
	ds_load_b128 v[5:8], v108 offset:336
	ds_load_b128 v[9:12], v108 offset:848
	s_wait_dscnt 0x1
	;;#ASMSTART
	v_dot2_f32_f16 v0, v1, v5, v0
	;;#ASMEND
	;;#ASMSTART
	v_dot2_f32_f16 v0, v2, v6, v0
	;;#ASMEND
	;;#ASMSTART
	v_dot2_f32_f16 v0, v3, v7, v0
	;;#ASMEND
	;;#ASMSTART
	v_dot2_f32_f16 v0, v4, v8, v0
	;;#ASMEND
	s_wait_dscnt 0x0
	;;#ASMSTART
	v_dot2_f32_f16 v26, v1, v9, v26
	;;#ASMEND
	;;#ASMSTART
	v_dot2_f32_f16 v26, v2, v10, v26
	;;#ASMEND
	;;#ASMSTART
	v_dot2_f32_f16 v26, v3, v11, v26
	;;#ASMEND
	;;#ASMSTART
	v_dot2_f32_f16 v26, v4, v12, v26
	;;#ASMEND
	ds_load_b128 v[1:4], v107 offset:352
	ds_load_b128 v[5:8], v108 offset:352
	ds_load_b128 v[9:12], v108 offset:864
	s_wait_dscnt 0x1
	;;#ASMSTART
	v_dot2_f32_f16 v0, v1, v5, v0
	;;#ASMEND
	;;#ASMSTART
	v_dot2_f32_f16 v0, v2, v6, v0
	;;#ASMEND
	;;#ASMSTART
	v_dot2_f32_f16 v0, v3, v7, v0
	;;#ASMEND
	;;#ASMSTART
	v_dot2_f32_f16 v0, v4, v8, v0
	;;#ASMEND
	s_wait_dscnt 0x0
	;;#ASMSTART
	v_dot2_f32_f16 v26, v1, v9, v26
	;;#ASMEND
	;;#ASMSTART
	v_dot2_f32_f16 v26, v2, v10, v26
	;;#ASMEND
	;;#ASMSTART
	v_dot2_f32_f16 v26, v3, v11, v26
	;;#ASMEND
	;;#ASMSTART
	v_dot2_f32_f16 v26, v4, v12, v26
	;;#ASMEND
	ds_load_b128 v[1:4], v107 offset:368
	ds_load_b128 v[5:8], v108 offset:368
	ds_load_b128 v[9:12], v108 offset:880
	s_wait_dscnt 0x1
	;;#ASMSTART
	v_dot2_f32_f16 v0, v1, v5, v0
	;;#ASMEND
	;;#ASMSTART
	v_dot2_f32_f16 v0, v2, v6, v0
	;;#ASMEND
	;;#ASMSTART
	v_dot2_f32_f16 v0, v3, v7, v0
	;;#ASMEND
	;;#ASMSTART
	v_dot2_f32_f16 v0, v4, v8, v0
	;;#ASMEND
	s_wait_dscnt 0x0
	;;#ASMSTART
	v_dot2_f32_f16 v26, v1, v9, v26
	;;#ASMEND
	;;#ASMSTART
	v_dot2_f32_f16 v26, v2, v10, v26
	;;#ASMEND
	;;#ASMSTART
	v_dot2_f32_f16 v26, v3, v11, v26
	;;#ASMEND
	;;#ASMSTART
	v_dot2_f32_f16 v26, v4, v12, v26
	;;#ASMEND
	ds_load_b128 v[1:4], v107 offset:384
	ds_load_b128 v[5:8], v108 offset:384
	ds_load_b128 v[9:12], v108 offset:896
	s_wait_dscnt 0x1
	;;#ASMSTART
	v_dot2_f32_f16 v0, v1, v5, v0
	;;#ASMEND
	;;#ASMSTART
	v_dot2_f32_f16 v0, v2, v6, v0
	;;#ASMEND
	;;#ASMSTART
	v_dot2_f32_f16 v0, v3, v7, v0
	;;#ASMEND
	;;#ASMSTART
	v_dot2_f32_f16 v0, v4, v8, v0
	;;#ASMEND
	s_wait_dscnt 0x0
	;;#ASMSTART
	v_dot2_f32_f16 v26, v1, v9, v26
	;;#ASMEND
	;;#ASMSTART
	v_dot2_f32_f16 v26, v2, v10, v26
	;;#ASMEND
	;;#ASMSTART
	v_dot2_f32_f16 v26, v3, v11, v26
	;;#ASMEND
	;;#ASMSTART
	v_dot2_f32_f16 v26, v4, v12, v26
	;;#ASMEND
	ds_load_b128 v[1:4], v107 offset:400
	ds_load_b128 v[5:8], v108 offset:400
	ds_load_b128 v[9:12], v108 offset:912
	s_wait_dscnt 0x1
	;;#ASMSTART
	v_dot2_f32_f16 v0, v1, v5, v0
	;;#ASMEND
	;;#ASMSTART
	v_dot2_f32_f16 v0, v2, v6, v0
	;;#ASMEND
	;;#ASMSTART
	v_dot2_f32_f16 v0, v3, v7, v0
	;;#ASMEND
	;;#ASMSTART
	v_dot2_f32_f16 v0, v4, v8, v0
	;;#ASMEND
	s_wait_dscnt 0x0
	;;#ASMSTART
	v_dot2_f32_f16 v26, v1, v9, v26
	;;#ASMEND
	;;#ASMSTART
	v_dot2_f32_f16 v26, v2, v10, v26
	;;#ASMEND
	;;#ASMSTART
	v_dot2_f32_f16 v26, v3, v11, v26
	;;#ASMEND
	;;#ASMSTART
	v_dot2_f32_f16 v26, v4, v12, v26
	;;#ASMEND
	ds_load_b128 v[1:4], v107 offset:416
	ds_load_b128 v[5:8], v108 offset:416
	ds_load_b128 v[9:12], v108 offset:928
	s_wait_dscnt 0x1
	;;#ASMSTART
	v_dot2_f32_f16 v0, v1, v5, v0
	;;#ASMEND
	;;#ASMSTART
	v_dot2_f32_f16 v0, v2, v6, v0
	;;#ASMEND
	;;#ASMSTART
	v_dot2_f32_f16 v0, v3, v7, v0
	;;#ASMEND
	;;#ASMSTART
	v_dot2_f32_f16 v0, v4, v8, v0
	;;#ASMEND
	s_wait_dscnt 0x0
	;;#ASMSTART
	v_dot2_f32_f16 v26, v1, v9, v26
	;;#ASMEND
	;;#ASMSTART
	v_dot2_f32_f16 v26, v2, v10, v26
	;;#ASMEND
	;;#ASMSTART
	v_dot2_f32_f16 v26, v3, v11, v26
	;;#ASMEND
	;;#ASMSTART
	v_dot2_f32_f16 v26, v4, v12, v26
	;;#ASMEND
	ds_load_b128 v[1:4], v107 offset:432
	ds_load_b128 v[5:8], v108 offset:432
	ds_load_b128 v[9:12], v108 offset:944
	s_wait_dscnt 0x1
	;;#ASMSTART
	v_dot2_f32_f16 v0, v1, v5, v0
	;;#ASMEND
	;;#ASMSTART
	v_dot2_f32_f16 v0, v2, v6, v0
	;;#ASMEND
	;;#ASMSTART
	v_dot2_f32_f16 v0, v3, v7, v0
	;;#ASMEND
	;;#ASMSTART
	v_dot2_f32_f16 v0, v4, v8, v0
	;;#ASMEND
	s_wait_dscnt 0x0
	;;#ASMSTART
	v_dot2_f32_f16 v26, v1, v9, v26
	;;#ASMEND
	;;#ASMSTART
	v_dot2_f32_f16 v26, v2, v10, v26
	;;#ASMEND
	;;#ASMSTART
	v_dot2_f32_f16 v26, v3, v11, v26
	;;#ASMEND
	;;#ASMSTART
	v_dot2_f32_f16 v26, v4, v12, v26
	;;#ASMEND
	ds_load_b128 v[1:4], v107 offset:448
	ds_load_b128 v[5:8], v108 offset:448
	ds_load_b128 v[9:12], v108 offset:960
	s_wait_dscnt 0x1
	;;#ASMSTART
	v_dot2_f32_f16 v0, v1, v5, v0
	;;#ASMEND
	;;#ASMSTART
	v_dot2_f32_f16 v0, v2, v6, v0
	;;#ASMEND
	;;#ASMSTART
	v_dot2_f32_f16 v0, v3, v7, v0
	;;#ASMEND
	;;#ASMSTART
	v_dot2_f32_f16 v0, v4, v8, v0
	;;#ASMEND
	s_wait_dscnt 0x0
	;;#ASMSTART
	v_dot2_f32_f16 v26, v1, v9, v26
	;;#ASMEND
	;;#ASMSTART
	v_dot2_f32_f16 v26, v2, v10, v26
	;;#ASMEND
	;;#ASMSTART
	v_dot2_f32_f16 v26, v3, v11, v26
	;;#ASMEND
	;;#ASMSTART
	v_dot2_f32_f16 v26, v4, v12, v26
	;;#ASMEND
	ds_load_b128 v[1:4], v107 offset:464
	ds_load_b128 v[5:8], v108 offset:464
	ds_load_b128 v[9:12], v108 offset:976
	s_wait_dscnt 0x1
	;;#ASMSTART
	v_dot2_f32_f16 v0, v1, v5, v0
	;;#ASMEND
	;;#ASMSTART
	v_dot2_f32_f16 v0, v2, v6, v0
	;;#ASMEND
	;;#ASMSTART
	v_dot2_f32_f16 v0, v3, v7, v0
	;;#ASMEND
	;;#ASMSTART
	v_dot2_f32_f16 v0, v4, v8, v0
	;;#ASMEND
	s_wait_dscnt 0x0
	;;#ASMSTART
	v_dot2_f32_f16 v26, v1, v9, v26
	;;#ASMEND
	;;#ASMSTART
	v_dot2_f32_f16 v26, v2, v10, v26
	;;#ASMEND
	;;#ASMSTART
	v_dot2_f32_f16 v26, v3, v11, v26
	;;#ASMEND
	;;#ASMSTART
	v_dot2_f32_f16 v26, v4, v12, v26
	;;#ASMEND
	ds_load_b128 v[1:4], v107 offset:480
	ds_load_b128 v[5:8], v108 offset:480
	ds_load_b128 v[9:12], v108 offset:992
	s_wait_dscnt 0x1
	;;#ASMSTART
	v_dot2_f32_f16 v0, v1, v5, v0
	;;#ASMEND
	;;#ASMSTART
	v_dot2_f32_f16 v0, v2, v6, v0
	;;#ASMEND
	;; [unrolled: 3-line block ×4, first 2 shown]
	s_wait_dscnt 0x0
	;;#ASMSTART
	v_dot2_f32_f16 v26, v1, v9, v26
	;;#ASMEND
	;;#ASMSTART
	v_dot2_f32_f16 v26, v2, v10, v26
	;;#ASMEND
	;; [unrolled: 3-line block ×4, first 2 shown]
	ds_load_b128 v[1:4], v107 offset:496
	ds_load_b128 v[5:8], v108 offset:496
	v_ashrrev_i32_e32 v14, 31, v13
	ds_load_b128 v[9:12], v108 offset:1008
	s_wait_dscnt 0x1
	;;#ASMSTART
	v_dot2_f32_f16 v0, v1, v5, v0
	;;#ASMEND
	v_lshlrev_b64_e32 v[13:14], 1, v[13:14]
	;;#ASMSTART
	v_dot2_f32_f16 v0, v2, v6, v0
	;;#ASMEND
	;;#ASMSTART
	v_dot2_f32_f16 v0, v3, v7, v0
	;;#ASMEND
	;;#ASMSTART
	v_dot2_f32_f16 v0, v4, v8, v0
	;;#ASMEND
	s_wait_dscnt 0x0
	;;#ASMSTART
	v_dot2_f32_f16 v26, v1, v9, v26
	;;#ASMEND
	;;#ASMSTART
	v_dot2_f32_f16 v26, v2, v10, v26
	;;#ASMEND
	v_add_co_u32 v13, vcc_lo, s30, v13
	s_wait_alu 0xfffd
	v_add_co_ci_u32_e64 v14, null, s31, v14, vcc_lo
	;;#ASMSTART
	v_dot2_f32_f16 v26, v3, v11, v26
	;;#ASMEND
	;;#ASMSTART
	v_dot2_f32_f16 v26, v4, v12, v26
	;;#ASMEND
	v_cmp_ngt_f32_e64 s26, 0x3f200000, |v0|
	global_load_u16 v28, v[13:14], off
                                        ; implicit-def: $vgpr1
	s_and_saveexec_b32 s27, s26
	s_wait_alu 0xfffe
	s_xor_b32 s26, exec_lo, s27
	s_cbranch_execz .LBB59_11
; %bb.10:                               ;   in Loop: Header=BB59_9 Depth=1
	v_add_f32_e64 v1, |v0|, |v0|
	s_delay_alu instid0(VALU_DEP_1) | instskip(SKIP_1) | instid1(VALU_DEP_2)
	v_mul_f32_e32 v2, 0x3fb8aa3b, v1
	v_cmp_ngt_f32_e32 vcc_lo, 0xc2ce8ed0, v1
	v_rndne_f32_e32 v3, v2
	v_fma_f32 v4, 0x3fb8aa3b, v1, -v2
	s_delay_alu instid0(VALU_DEP_2) | instskip(NEXT) | instid1(VALU_DEP_2)
	v_sub_f32_e32 v2, v2, v3
	v_fmac_f32_e32 v4, 0x32a5705f, v1
	v_cvt_i32_f32_e32 v3, v3
	s_delay_alu instid0(VALU_DEP_2) | instskip(NEXT) | instid1(VALU_DEP_1)
	v_add_f32_e32 v2, v2, v4
	v_exp_f32_e32 v2, v2
	s_delay_alu instid0(TRANS32_DEP_1) | instskip(SKIP_1) | instid1(VALU_DEP_1)
	v_ldexp_f32 v2, v2, v3
	s_wait_alu 0xfffd
	v_cndmask_b32_e32 v2, 0, v2, vcc_lo
	v_cmp_nlt_f32_e32 vcc_lo, 0x42b17218, v1
	s_wait_alu 0xfffd
	s_delay_alu instid0(VALU_DEP_2) | instskip(NEXT) | instid1(VALU_DEP_1)
	v_cndmask_b32_e32 v1, 0x7f800000, v2, vcc_lo
	v_add_f32_e32 v1, 1.0, v1
	s_delay_alu instid0(VALU_DEP_1) | instskip(NEXT) | instid1(TRANS32_DEP_1)
	v_rcp_f32_e32 v1, v1
	v_fma_f32 v1, v1, -2.0, 1.0
.LBB59_11:                              ;   in Loop: Header=BB59_9 Depth=1
	s_wait_alu 0xfffe
	s_and_not1_saveexec_b32 s26, s26
	s_cbranch_execz .LBB59_13
; %bb.12:                               ;   in Loop: Header=BB59_9 Depth=1
	v_mul_f32_e32 v1, v0, v0
	s_delay_alu instid0(VALU_DEP_1) | instskip(NEXT) | instid1(VALU_DEP_1)
	v_fmaak_f32 v2, s3, v1, 0x3ca908c9
	v_fmaak_f32 v2, v1, v2, 0xbd5c1c4e
	s_delay_alu instid0(VALU_DEP_1) | instskip(NEXT) | instid1(VALU_DEP_1)
	v_fmaak_f32 v2, v1, v2, 0x3e088382
	v_fmaak_f32 v2, v1, v2, 0xbeaaaa99
	s_delay_alu instid0(VALU_DEP_1) | instskip(NEXT) | instid1(VALU_DEP_1)
	v_mul_f32_e64 v2, |v0|, v2
	v_fma_f32 v1, v1, v2, |v0|
.LBB59_13:                              ;   in Loop: Header=BB59_9 Depth=1
	s_wait_alu 0xfffe
	s_or_b32 exec_lo, exec_lo, s26
	s_delay_alu instid0(VALU_DEP_1)
	v_bfi_b32 v0, 0x7fffffff, v1, v0
	v_xor_b32_e32 v118, 16, v100
	v_xor_b32_e32 v114, 8, v100
	;; [unrolled: 1-line block ×4, first 2 shown]
	s_wait_loadcnt 0x0
	v_fma_mix_f32 v27, s5, v0, v28 op_sel_hi:[0,0,1]
	v_cmp_gt_i32_e32 vcc_lo, 32, v118
	v_xor_b32_e32 v117, 1, v100
	v_cmp_ngt_f32_e64 s26, 0x3f200000, |v26|
                                        ; implicit-def: $vgpr36
	s_wait_alu 0xfffd
	v_dual_add_f32 v1, 0x40051340, v27 :: v_dual_cndmask_b32 v0, v100, v118
	v_max_num_f32_e32 v2, v25, v25
	v_cmp_gt_i32_e32 vcc_lo, 32, v114
	s_delay_alu instid0(VALU_DEP_2) | instskip(SKIP_3) | instid1(VALU_DEP_2)
	v_dual_max_num_f32 v0, v2, v1 :: v_dual_lshlrev_b32 v29, 2, v0
	s_wait_alu 0xfffd
	v_cndmask_b32_e32 v2, v100, v114, vcc_lo
	v_cmp_gt_i32_e32 vcc_lo, 32, v115
	v_lshlrev_b32_e32 v30, 2, v2
	s_wait_alu 0xfffd
	v_cndmask_b32_e32 v2, v100, v115, vcc_lo
	v_cmp_gt_i32_e32 vcc_lo, 32, v116
	s_delay_alu instid0(VALU_DEP_2)
	v_lshlrev_b32_e32 v31, 2, v2
	ds_bpermute_b32 v1, v29, v0
	s_wait_alu 0xfffd
	v_cndmask_b32_e32 v2, v100, v116, vcc_lo
	v_cmp_gt_i32_e32 vcc_lo, 32, v117
	s_wait_dscnt 0x0
	v_max_num_f32_e32 v1, v1, v1
	s_delay_alu instid0(VALU_DEP_1) | instskip(SKIP_3) | instid1(VALU_DEP_1)
	v_max_num_f32_e32 v0, v0, v1
	ds_bpermute_b32 v1, v30, v0
	s_wait_dscnt 0x0
	v_max_num_f32_e32 v1, v1, v1
	v_max_num_f32_e32 v0, v0, v1
	ds_bpermute_b32 v1, v31, v0
	s_wait_dscnt 0x0
	v_max_num_f32_e32 v1, v1, v1
	s_delay_alu instid0(VALU_DEP_1)
	v_max_num_f32_e32 v0, v0, v1
	v_lshlrev_b32_e32 v32, 2, v2
	s_wait_alu 0xfffd
	v_cndmask_b32_e32 v2, v100, v117, vcc_lo
	ds_bpermute_b32 v1, v32, v0
	s_wait_dscnt 0x0
	v_dual_max_num_f32 v1, v1, v1 :: v_dual_lshlrev_b32 v34, 2, v2
	s_delay_alu instid0(VALU_DEP_1)
	v_max_num_f32_e32 v33, v0, v1
	ds_bpermute_b32 v35, v34, v33
	s_and_saveexec_b32 s27, s26
	s_wait_alu 0xfffe
	s_xor_b32 s26, exec_lo, s27
	s_cbranch_execz .LBB59_15
; %bb.14:                               ;   in Loop: Header=BB59_9 Depth=1
	v_add_f32_e64 v0, |v26|, |v26|
	s_delay_alu instid0(VALU_DEP_1) | instskip(SKIP_1) | instid1(VALU_DEP_2)
	v_mul_f32_e32 v1, 0x3fb8aa3b, v0
	v_cmp_ngt_f32_e32 vcc_lo, 0xc2ce8ed0, v0
	v_rndne_f32_e32 v2, v1
	v_fma_f32 v3, 0x3fb8aa3b, v0, -v1
	s_delay_alu instid0(VALU_DEP_2) | instskip(NEXT) | instid1(VALU_DEP_2)
	v_sub_f32_e32 v1, v1, v2
	v_fmac_f32_e32 v3, 0x32a5705f, v0
	v_cvt_i32_f32_e32 v2, v2
	s_delay_alu instid0(VALU_DEP_2) | instskip(NEXT) | instid1(VALU_DEP_1)
	v_add_f32_e32 v1, v1, v3
	v_exp_f32_e32 v1, v1
	s_delay_alu instid0(TRANS32_DEP_1) | instskip(SKIP_1) | instid1(VALU_DEP_1)
	v_ldexp_f32 v1, v1, v2
	s_wait_alu 0xfffd
	v_cndmask_b32_e32 v1, 0, v1, vcc_lo
	v_cmp_nlt_f32_e32 vcc_lo, 0x42b17218, v0
	s_wait_alu 0xfffd
	s_delay_alu instid0(VALU_DEP_2) | instskip(NEXT) | instid1(VALU_DEP_1)
	v_cndmask_b32_e32 v0, 0x7f800000, v1, vcc_lo
	v_add_f32_e32 v0, 1.0, v0
	s_delay_alu instid0(VALU_DEP_1) | instskip(NEXT) | instid1(TRANS32_DEP_1)
	v_rcp_f32_e32 v0, v0
	v_fma_f32 v36, v0, -2.0, 1.0
.LBB59_15:                              ;   in Loop: Header=BB59_9 Depth=1
	s_wait_alu 0xfffe
	s_and_not1_saveexec_b32 s26, s26
	s_cbranch_execz .LBB59_17
; %bb.16:                               ;   in Loop: Header=BB59_9 Depth=1
	v_mul_f32_e32 v0, v26, v26
	s_delay_alu instid0(VALU_DEP_1) | instskip(NEXT) | instid1(VALU_DEP_1)
	v_fmaak_f32 v1, s3, v0, 0x3ca908c9
	v_fmaak_f32 v1, v0, v1, 0xbd5c1c4e
	s_delay_alu instid0(VALU_DEP_1) | instskip(NEXT) | instid1(VALU_DEP_1)
	v_fmaak_f32 v1, v0, v1, 0x3e088382
	v_fmaak_f32 v1, v0, v1, 0xbeaaaa99
	s_delay_alu instid0(VALU_DEP_1) | instskip(NEXT) | instid1(VALU_DEP_1)
	v_mul_f32_e64 v1, |v26|, v1
	v_fma_f32 v36, v0, v1, |v26|
.LBB59_17:                              ;   in Loop: Header=BB59_9 Depth=1
	s_wait_alu 0xfffe
	s_or_b32 exec_lo, exec_lo, s26
	s_mul_u64 s[26:27], s[10:11], s[14:15]
	s_wait_dscnt 0x0
	s_wait_alu 0xfffe
	s_lshl_b64 s[26:27], s[26:27], 2
	s_barrier_signal -1
	s_wait_alu 0xfffe
	s_add_nc_u64 s[26:27], s[8:9], s[26:27]
	s_barrier_wait -1
	s_wait_alu 0xfffe
	v_add_co_u32 v0, vcc_lo, s26, v87
	s_wait_alu 0xfffd
	v_add_co_ci_u32_e64 v1, null, s27, v88, vcc_lo
	v_add_co_u32 v2, vcc_lo, s26, v89
	s_wait_alu 0xfffd
	v_add_co_ci_u32_e64 v3, null, s27, v90, vcc_lo
	;; [unrolled: 3-line block ×8, first 2 shown]
	global_inv scope:SCOPE_SE
	s_clause 0x3
	global_load_b128 v[0:3], v[0:1], off
	global_load_b128 v[4:7], v[4:5], off
	;; [unrolled: 1-line block ×4, first 2 shown]
	v_cvt_f32_f16_e32 v28, v28
	v_bfi_b32 v26, 0x7fffffff, v36, v26
	v_add_nc_u32_e32 v74, 0x2800, v99
	v_add_nc_u32_e32 v53, 0x2000, v99
	;; [unrolled: 1-line block ×3, first 2 shown]
	s_delay_alu instid0(VALU_DEP_4) | instskip(SKIP_1) | instid1(VALU_DEP_2)
	v_dual_fmac_f32 v28, s5, v26 :: v_dual_add_nc_u32 v121, 0x3000, v99
	v_max_num_f32_e32 v26, v24, v24
	v_add_f32_e32 v36, 0x40051340, v28
	s_delay_alu instid0(VALU_DEP_1) | instskip(SKIP_3) | instid1(VALU_DEP_1)
	v_max_num_f32_e32 v26, v26, v36
	ds_bpermute_b32 v29, v29, v26
	s_wait_dscnt 0x0
	v_max_num_f32_e32 v29, v29, v29
	v_max_num_f32_e32 v26, v26, v29
	ds_bpermute_b32 v29, v30, v26
	s_wait_dscnt 0x0
	v_dual_max_num_f32 v30, v35, v35 :: v_dual_max_num_f32 v29, v29, v29
	s_delay_alu instid0(VALU_DEP_1) | instskip(SKIP_3) | instid1(VALU_DEP_2)
	v_max_num_f32_e32 v26, v26, v29
	ds_bpermute_b32 v29, v31, v26
	v_max_num_f32_e32 v31, v33, v33
	v_add_nc_u32_e32 v33, 0x800, v99
	v_max_num_f32_e32 v95, v31, v30
	v_add_nc_u32_e32 v31, v110, v98
	s_delay_alu instid0(VALU_DEP_2) | instskip(NEXT) | instid1(VALU_DEP_1)
	v_sub_f32_e32 v25, v25, v95
	v_dual_sub_f32 v27, v27, v95 :: v_dual_mul_f32 v30, 0x3fb8aa3b, v25
	v_cmp_ngt_f32_e32 vcc_lo, 0xc2ce8ed0, v25
	s_wait_dscnt 0x0
	v_max_num_f32_e32 v29, v29, v29
	s_delay_alu instid0(VALU_DEP_1) | instskip(SKIP_2) | instid1(VALU_DEP_1)
	v_max_num_f32_e32 v26, v26, v29
	ds_bpermute_b32 v29, v32, v26
	v_mul_f32_e32 v32, 0x3fb8aa3b, v27
	v_rndne_f32_e32 v35, v32
	s_wait_dscnt 0x0
	v_max_num_f32_e32 v29, v29, v29
	s_delay_alu instid0(VALU_DEP_1) | instskip(SKIP_4) | instid1(VALU_DEP_1)
	v_max_num_f32_e32 v26, v26, v29
	ds_bpermute_b32 v29, v34, v26
	v_fma_f32 v34, 0x3fb8aa3b, v25, -v30
	s_wait_dscnt 0x0
	v_max_num_f32_e32 v29, v29, v29
	v_max_num_f32_e32 v96, v26, v29
	v_fma_f32 v29, 0x3fb8aa3b, v27, -v32
	v_rndne_f32_e32 v26, v30
	v_sub_f32_e32 v32, v32, v35
	s_delay_alu instid0(VALU_DEP_3) | instskip(NEXT) | instid1(VALU_DEP_3)
	v_dual_fmac_f32 v29, 0x32a5705f, v27 :: v_dual_sub_f32 v28, v28, v96
	v_sub_f32_e32 v30, v30, v26
	v_cvt_i32_f32_e32 v26, v26
	v_sub_f32_e32 v24, v24, v96
	s_delay_alu instid0(VALU_DEP_4) | instskip(NEXT) | instid1(VALU_DEP_1)
	v_dual_add_f32 v29, v32, v29 :: v_dual_mul_f32 v38, 0x3fb8aa3b, v28
	v_exp_f32_e32 v29, v29
	s_delay_alu instid0(VALU_DEP_1) | instskip(SKIP_2) | instid1(VALU_DEP_2)
	v_fma_f32 v39, 0x3fb8aa3b, v28, -v38
	v_fmac_f32_e32 v34, 0x32a5705f, v25
	v_rndne_f32_e32 v40, v38
	v_dual_fmac_f32 v39, 0x32a5705f, v28 :: v_dual_add_f32 v30, v30, v34
	s_delay_alu instid0(VALU_DEP_2) | instskip(NEXT) | instid1(VALU_DEP_2)
	v_sub_f32_e32 v38, v38, v40
	v_exp_f32_e32 v30, v30
	s_delay_alu instid0(TRANS32_DEP_1) | instskip(SKIP_1) | instid1(VALU_DEP_1)
	v_ldexp_f32 v26, v30, v26
	s_wait_alu 0xfffd
	v_cndmask_b32_e32 v26, 0, v26, vcc_lo
	v_cmp_nlt_f32_e32 vcc_lo, 0x42b17218, v25
	s_wait_alu 0xfffd
	s_delay_alu instid0(VALU_DEP_2) | instskip(SKIP_2) | instid1(VALU_DEP_1)
	v_cndmask_b32_e32 v25, 0x7f800000, v26, vcc_lo
	v_cmp_ngt_f32_e32 vcc_lo, 0xc2ce8ed0, v27
	v_mul_f32_e32 v36, 0x3fb8aa3b, v24
	v_fma_f32 v32, 0x3fb8aa3b, v24, -v36
	v_rndne_f32_e32 v34, v36
	s_delay_alu instid0(VALU_DEP_2) | instskip(NEXT) | instid1(VALU_DEP_2)
	v_fmac_f32_e32 v32, 0x32a5705f, v24
	v_sub_f32_e32 v36, v36, v34
	v_cvt_i32_f32_e32 v34, v34
	s_delay_alu instid0(VALU_DEP_2) | instskip(SKIP_1) | instid1(VALU_DEP_2)
	v_add_f32_e32 v32, v36, v32
	v_add_f32_e32 v36, v38, v39
	v_exp_f32_e32 v30, v32
	v_cvt_i32_f32_e32 v32, v35
	s_delay_alu instid0(VALU_DEP_2) | instskip(NEXT) | instid1(VALU_DEP_1)
	v_exp_f32_e32 v35, v36
	v_ldexp_f32 v29, v29, v32
	v_cvt_i32_f32_e32 v32, v40
	s_delay_alu instid0(TRANS32_DEP_2) | instskip(SKIP_1) | instid1(VALU_DEP_3)
	v_ldexp_f32 v26, v30, v34
	s_wait_alu 0xfffd
	v_cndmask_b32_e32 v29, 0, v29, vcc_lo
	v_cmp_ngt_f32_e32 vcc_lo, 0xc2ce8ed0, v24
	s_delay_alu instid0(TRANS32_DEP_1)
	v_ldexp_f32 v30, v35, v32
	v_cvt_f16_f32_e32 v32, v25
	s_wait_alu 0xfffd
	v_cndmask_b32_e32 v26, 0, v26, vcc_lo
	v_cmp_ngt_f32_e32 vcc_lo, 0xc2ce8ed0, v28
	s_wait_alu 0xfffd
	v_cndmask_b32_e32 v30, 0, v30, vcc_lo
	v_cmp_nlt_f32_e32 vcc_lo, 0x42b17218, v24
	s_wait_alu 0xfffd
	v_cndmask_b32_e32 v24, 0x7f800000, v26, vcc_lo
	v_cmp_nlt_f32_e32 vcc_lo, 0x42b17218, v27
	v_and_b32_e32 v26, 0xffff, v32
	s_delay_alu instid0(VALU_DEP_3)
	v_cvt_f16_f32_e32 v27, v24
	s_wait_alu 0xfffd
	v_cndmask_b32_e32 v120, 0x7f800000, v29, vcc_lo
	v_cmp_nlt_f32_e32 vcc_lo, 0x42b17218, v28
	v_mul_u32_u24_e32 v166, 0x10001, v26
	v_and_b32_e32 v27, 0xffff, v27
	s_delay_alu instid0(VALU_DEP_4)
	v_cvt_f16_f32_e32 v28, v120
	s_wait_alu 0xfffd
	v_cndmask_b32_e32 v119, 0x7f800000, v30, vcc_lo
	v_pk_mul_f16 v75, v21, v166
	v_add_nc_u32_e32 v52, 0x1800, v99
	v_mul_u32_u24_e32 v167, 0x10001, v27
	v_fmac_f32_e32 v120, v22, v25
	v_cvt_f16_f32_e32 v26, v119
	v_pk_mul_f16 v168, v19, v166
	v_pk_mul_f16 v169, v20, v166
	v_fmac_f32_e32 v119, v23, v24
	v_pk_mul_f16 v170, v18, v167
	v_pack_b32_f16 v21, v28, v26
	v_pk_mul_f16 v171, v17, v167
	v_pk_mul_f16 v172, v16, v167
	ds_store_b32 v31, v21
	s_wait_loadcnt 0x3
	ds_store_b128 v109, v[0:3]
	s_wait_loadcnt 0x2
	ds_store_b128 v111, v[4:7]
	;; [unrolled: 2-line block ×4, first 2 shown]
	s_wait_dscnt 0x0
	s_barrier_signal -1
	s_barrier_wait -1
	global_inv scope:SCOPE_SE
	ds_load_2addr_b64 v[70:73], v99 offset1:32
	ds_load_b128 v[122:125], v110
	ds_load_b128 v[126:129], v110 offset:16
	ds_load_b128 v[130:133], v110 offset:32
	;; [unrolled: 1-line block ×3, first 2 shown]
	ds_load_2addr_b64 v[138:141], v99 offset0:64 offset1:96
	ds_load_2addr_b64 v[142:145], v99 offset0:128 offset1:160
	ds_load_2addr_b64 v[146:149], v99 offset0:192 offset1:224
	ds_load_2addr_b64 v[150:153], v33 offset1:32
	ds_load_2addr_b64 v[154:157], v33 offset0:64 offset1:96
	ds_load_2addr_b64 v[60:63], v33 offset0:128 offset1:160
	ds_load_2addr_b64 v[56:59], v33 offset0:192 offset1:224
	ds_load_2addr_b64 v[48:51], v37 offset1:32
	;; [unrolled: 4-line block ×5, first 2 shown]
	ds_load_b128 v[158:161], v110 offset:64
	ds_load_b128 v[162:165], v110 offset:80
	ds_load_2addr_b64 v[52:55], v74 offset0:64 offset1:96
	ds_load_2addr_b64 v[64:67], v74 offset0:128 offset1:160
	s_wait_dscnt 0x1b
	v_lshrrev_b32_e32 v173, 16, v122
	v_and_b32_e32 v122, 0xffff, v122
	v_lshrrev_b32_e32 v176, 16, v125
	v_and_b32_e32 v177, 0xffff, v125
	v_lshrrev_b32_e32 v174, 16, v123
	v_mul_u32_u24_e32 v125, 0x10001, v173
	v_mul_u32_u24_e32 v122, 0x10001, v122
	v_and_b32_e32 v123, 0xffff, v123
	s_wait_dscnt 0x1a
	v_lshrrev_b32_e32 v178, 16, v126
	v_and_b32_e32 v179, 0xffff, v126
	v_lshrrev_b32_e32 v180, 16, v127
	v_and_b32_e32 v181, 0xffff, v127
	;; [unrolled: 2-line block ×3, first 2 shown]
	v_pk_fma_f16 v126, v71, v122, v75
	v_pk_fma_f16 v127, v72, v122, v168
	;; [unrolled: 1-line block ×3, first 2 shown]
	v_pk_mul_f16 v122, v70, v122
	v_pk_mul_f16 v70, v70, v125
	v_lshrrev_b32_e32 v175, 16, v124
	v_and_b32_e32 v124, 0xffff, v124
	v_lshrrev_b32_e32 v184, 16, v129
	v_and_b32_e32 v185, 0xffff, v129
	s_wait_dscnt 0x19
	v_lshrrev_b32_e32 v186, 16, v130
	v_and_b32_e32 v187, 0xffff, v130
	v_lshrrev_b32_e32 v188, 16, v131
	v_and_b32_e32 v189, 0xffff, v131
	;; [unrolled: 2-line block ×3, first 2 shown]
	v_pk_fma_f16 v129, v71, v125, v170
	v_pk_fma_f16 v130, v72, v125, v171
	;; [unrolled: 1-line block ×3, first 2 shown]
	v_mul_u32_u24_e32 v123, 0x10001, v123
	v_pk_fma_f16 v122, v69, v166, v122
	v_pk_fma_f16 v125, v68, v167, v70
	v_mul_u32_u24_e32 v132, 0x10001, v174
	v_lshrrev_b32_e32 v192, 16, v133
	v_and_b32_e32 v193, 0xffff, v133
	s_wait_dscnt 0x17
	v_pk_fma_f16 v126, v139, v123, v126
	v_pk_fma_f16 v127, v140, v123, v127
	;; [unrolled: 1-line block ×8, first 2 shown]
	v_mul_u32_u24_e32 v123, 0x10001, v124
	v_mul_u32_u24_e32 v133, 0x10001, v175
	v_lshrrev_b32_e32 v194, 16, v134
	v_and_b32_e32 v195, 0xffff, v134
	v_lshrrev_b32_e32 v196, 16, v135
	v_and_b32_e32 v197, 0xffff, v135
	;; [unrolled: 2-line block ×4, first 2 shown]
	s_wait_dscnt 0x3
	v_lshrrev_b32_e32 v138, 16, v159
	v_and_b32_e32 v139, 0xffff, v159
	v_lshrrev_b32_e32 v140, 16, v160
	v_and_b32_e32 v141, 0xffff, v160
	;; [unrolled: 2-line block ×3, first 2 shown]
	v_pk_fma_f16 v134, v143, v123, v126
	v_pk_fma_f16 v135, v144, v123, v127
	;; [unrolled: 1-line block ×4, first 2 shown]
	v_mul_u32_u24_e32 v161, 0x10001, v177
	v_pk_fma_f16 v143, v143, v133, v129
	v_pk_fma_f16 v130, v144, v133, v130
	;; [unrolled: 1-line block ×4, first 2 shown]
	v_mul_u32_u24_e32 v133, 0x10001, v176
	s_wait_dscnt 0x2
	v_lshrrev_b32_e32 v142, 16, v162
	v_pk_fma_f16 v134, v147, v161, v134
	v_pk_fma_f16 v135, v148, v161, v135
	;; [unrolled: 1-line block ×4, first 2 shown]
	v_and_b32_e32 v144, 0xffff, v162
	v_pk_fma_f16 v143, v147, v133, v143
	v_pk_fma_f16 v145, v148, v133, v130
	;; [unrolled: 1-line block ×4, first 2 shown]
	v_lshrrev_b32_e32 v148, 16, v163
	v_and_b32_e32 v149, 0xffff, v163
	v_lshrrev_b32_e32 v161, 16, v164
	v_mul_u32_u24_e32 v130, 0x10001, v179
	v_and_b32_e32 v162, 0xffff, v164
	v_lshrrev_b32_e32 v163, 16, v165
	v_and_b32_e32 v164, 0xffff, v165
	v_mul_u32_u24_e32 v165, 0x10001, v178
	v_pk_fma_f16 v167, v151, v130, v134
	v_pk_fma_f16 v172, v152, v130, v135
	v_pk_fma_f16 v173, v153, v130, v136
	v_pk_fma_f16 v174, v150, v130, v137
	v_mul_u32_u24_e32 v175, 0x10001, v181
	v_pk_fma_f16 v143, v151, v165, v143
	v_pk_fma_f16 v145, v152, v165, v145
	v_pk_fma_f16 v147, v153, v165, v147
	v_pk_fma_f16 v146, v150, v165, v146
	;; [unrolled: 5-line block ×3, first 2 shown]
	v_pk_fma_f16 v143, v155, v151, v143
	v_pk_fma_f16 v145, v156, v151, v145
	;; [unrolled: 1-line block ×4, first 2 shown]
	v_mul_u32_u24_e32 v155, 0x10001, v183
	v_mul_u32_u24_e32 v156, 0x10001, v182
	v_mul_u32_u24_e32 v157, 0x10001, v185
	v_mul_u32_u24_e32 v172, 0x10001, v184
	v_mul_u32_u24_e32 v173, 0x10001, v187
	v_pk_fma_f16 v152, v61, v155, v152
	v_pk_fma_f16 v153, v62, v155, v153
	;; [unrolled: 1-line block ×8, first 2 shown]
	v_mul_u32_u24_e32 v174, 0x10001, v186
	v_pk_fma_f16 v145, v57, v157, v152
	v_pk_fma_f16 v146, v58, v157, v153
	v_pk_fma_f16 v147, v59, v157, v165
	v_pk_fma_f16 v57, v57, v172, v61
	v_pk_fma_f16 v58, v58, v172, v62
	v_pk_fma_f16 v59, v59, v172, v63
	v_pk_fma_f16 v61, v56, v157, v143
	v_pk_fma_f16 v56, v56, v172, v60
	v_mul_u32_u24_e32 v175, 0x10001, v189
	v_mul_u32_u24_e32 v176, 0x10001, v188
	v_pk_fma_f16 v60, v49, v173, v145
	v_pk_fma_f16 v62, v50, v173, v146
	v_pk_fma_f16 v63, v51, v173, v147
	v_pk_fma_f16 v49, v49, v174, v57
	v_pk_fma_f16 v50, v50, v174, v58
	v_pk_fma_f16 v51, v51, v174, v59
	v_pk_fma_f16 v57, v48, v173, v61
	v_pk_fma_f16 v48, v48, v174, v56
	v_mul_u32_u24_e32 v177, 0x10001, v191
	;; [unrolled: 10-line block ×6, first 2 shown]
	v_mul_u32_u24_e32 v168, 0x10001, v168
	v_pk_fma_f16 v36, v29, v183, v40
	v_pk_fma_f16 v29, v29, v184, v33
	v_pk_fma_f16 v33, v30, v183, v37
	v_pk_fma_f16 v30, v30, v184, v34
	v_pk_fma_f16 v34, v31, v183, v38
	v_pk_fma_f16 v31, v31, v184, v35
	v_pk_fma_f16 v35, v28, v183, v39
	v_pk_fma_f16 v28, v28, v184, v32
	v_lshrrev_b32_e32 v166, 16, v158
	v_and_b32_e32 v158, 0xffff, v158
	v_mul_u32_u24_e32 v171, 0x10001, v171
	v_mul_u32_u24_e32 v170, 0x10001, v170
	v_pk_fma_f16 v32, v25, v169, v36
	v_pk_fma_f16 v25, v25, v168, v29
	v_pk_fma_f16 v29, v26, v169, v33
	v_pk_fma_f16 v26, v26, v168, v30
	v_pk_fma_f16 v30, v27, v169, v34
	v_pk_fma_f16 v27, v27, v168, v31
	v_pk_fma_f16 v31, v24, v169, v35
	v_pk_fma_f16 v24, v24, v168, v28
	v_mul_u32_u24_e32 v158, 0x10001, v158
	v_mul_u32_u24_e32 v166, 0x10001, v166
	v_pk_fma_f16 v28, v17, v171, v32
	v_pk_fma_f16 v17, v17, v170, v25
	v_pk_fma_f16 v25, v18, v171, v29
	v_pk_fma_f16 v18, v18, v170, v26
	v_pk_fma_f16 v26, v19, v171, v30
	v_pk_fma_f16 v19, v19, v170, v27
	v_pk_fma_f16 v27, v16, v171, v31
	v_pk_fma_f16 v16, v16, v170, v24
	;; [unrolled: 10-line block ×4, first 2 shown]
	ds_load_b128 v[122:125], v110 offset:96
	ds_load_b128 v[134:137], v110 offset:112
	v_mul_u32_u24_e32 v160, 0x10001, v160
	v_mul_u32_u24_e32 v159, 0x10001, v159
	v_pk_fma_f16 v8, v1, v141, v16
	v_pk_fma_f16 v1, v1, v140, v5
	;; [unrolled: 1-line block ×8, first 2 shown]
	ds_load_2addr_b64 v[72:75], v74 offset0:192 offset1:224
	v_mul_u32_u24_e32 v144, 0x10001, v144
	v_mul_u32_u24_e32 v142, 0x10001, v142
	v_pk_fma_f16 v1, v13, v159, v1
	v_pk_fma_f16 v2, v14, v159, v2
	v_pk_fma_f16 v7, v12, v160, v7
	v_pk_fma_f16 v0, v12, v159, v0
	ds_load_2addr_b64 v[68:71], v121 offset1:32
	v_mul_u32_u24_e32 v149, 0x10001, v149
	v_mul_u32_u24_e32 v148, 0x10001, v148
	v_pk_fma_f16 v4, v13, v160, v8
	v_pk_fma_f16 v3, v15, v159, v3
	;; [unrolled: 1-line block ×6, first 2 shown]
	ds_load_2addr_b64 v[126:129], v121 offset0:64 offset1:96
	v_mul_u32_u24_e32 v162, 0x10001, v162
	v_mul_u32_u24_e32 v161, 0x10001, v161
	v_pk_fma_f16 v5, v14, v160, v5
	v_pk_fma_f16 v6, v15, v160, v6
	;; [unrolled: 1-line block ×4, first 2 shown]
	s_wait_dscnt 0x6
	v_pk_fma_f16 v1, v53, v148, v1
	v_pk_fma_f16 v2, v54, v148, v2
	;; [unrolled: 1-line block ×4, first 2 shown]
	s_wait_dscnt 0x4
	v_lshrrev_b32_e32 v150, 16, v122
	v_and_b32_e32 v122, 0xffff, v122
	v_mul_u32_u24_e32 v164, 0x10001, v164
	v_mul_u32_u24_e32 v163, 0x10001, v163
	v_pk_fma_f16 v5, v22, v144, v5
	v_pk_fma_f16 v6, v23, v144, v6
	;; [unrolled: 1-line block ×8, first 2 shown]
	ds_load_2addr_b64 v[130:133], v121 offset0:128 offset1:160
	v_lshrrev_b32_e32 v151, 16, v123
	v_and_b32_e32 v123, 0xffff, v123
	v_mul_u32_u24_e32 v122, 0x10001, v122
	v_mul_u32_u24_e32 v150, 0x10001, v150
	v_pk_fma_f16 v5, v54, v149, v5
	v_pk_fma_f16 v6, v55, v149, v6
	;; [unrolled: 1-line block ×4, first 2 shown]
	s_wait_dscnt 0x3
	v_pk_fma_f16 v1, v73, v163, v1
	v_pk_fma_f16 v2, v74, v163, v2
	;; [unrolled: 1-line block ×4, first 2 shown]
	v_mul_u32_u24_e32 v123, 0x10001, v123
	v_mul_u32_u24_e32 v151, 0x10001, v151
	v_pk_fma_f16 v5, v66, v162, v5
	v_pk_fma_f16 v6, v67, v162, v6
	;; [unrolled: 1-line block ×4, first 2 shown]
	s_wait_dscnt 0x2
	v_pk_fma_f16 v1, v69, v150, v1
	v_pk_fma_f16 v8, v70, v150, v2
	;; [unrolled: 1-line block ×4, first 2 shown]
	v_and_b32_e32 v154, 0xffff, v124
	v_pk_fma_f16 v5, v74, v164, v5
	v_pk_fma_f16 v6, v75, v164, v6
	v_pk_fma_f16 v4, v69, v122, v4
	v_pk_fma_f16 v7, v71, v150, v3
	s_wait_dscnt 0x1
	v_pk_fma_f16 v9, v126, v123, v2
	v_pk_fma_f16 v10, v126, v151, v0
	;; [unrolled: 1-line block ×3, first 2 shown]
	ds_load_2addr_b64 v[0:3], v121 offset0:192 offset1:224
	v_pk_fma_f16 v5, v70, v122, v5
	v_pk_fma_f16 v6, v71, v122, v6
	;; [unrolled: 1-line block ×3, first 2 shown]
	v_mul_u32_u24_e32 v13, 0x10001, v154
	v_add_nc_u32_e32 v17, 0x3800, v99
	v_lshrrev_b32_e32 v124, 16, v124
	v_pk_fma_f16 v12, v128, v123, v5
	v_pk_fma_f16 v15, v129, v123, v6
	;; [unrolled: 1-line block ×3, first 2 shown]
	s_wait_dscnt 0x1
	v_pk_fma_f16 v18, v131, v13, v4
	v_and_b32_e32 v19, 0xffff, v125
	ds_load_2addr_b64 v[4:7], v17 offset1:32
	v_mul_u32_u24_e32 v14, 0x10001, v124
	v_lshrrev_b32_e32 v20, 16, v125
	v_pk_fma_f16 v8, v128, v151, v8
	v_mul_u32_u24_e32 v19, 0x10001, v19
	v_pk_fma_f16 v9, v130, v13, v9
	v_pk_fma_f16 v10, v130, v14, v10
	v_pk_fma_f16 v11, v131, v14, v11
	v_mul_u32_u24_e32 v20, 0x10001, v20
	v_pk_fma_f16 v21, v132, v14, v8
	v_pk_fma_f16 v14, v133, v14, v16
	s_wait_dscnt 0x1
	v_pk_fma_f16 v16, v1, v19, v18
	v_and_b32_e32 v18, 0xffff, v134
	v_lshrrev_b32_e32 v22, 16, v134
	v_pk_fma_f16 v12, v132, v13, v12
	v_pk_fma_f16 v13, v133, v13, v15
	;; [unrolled: 1-line block ×5, first 2 shown]
	ds_load_2addr_b64 v[8:11], v17 offset0:64 offset1:96
	v_mul_u32_u24_e32 v18, 0x10001, v18
	v_mul_u32_u24_e32 v22, 0x10001, v22
	v_pk_fma_f16 v12, v2, v19, v12
	v_pk_fma_f16 v2, v2, v20, v21
	;; [unrolled: 1-line block ×4, first 2 shown]
	s_wait_dscnt 0x1
	v_pk_fma_f16 v15, v4, v18, v15
	v_pk_fma_f16 v4, v4, v22, v0
	v_and_b32_e32 v0, 0xffff, v135
	v_lshrrev_b32_e32 v3, 16, v135
	v_pk_fma_f16 v16, v5, v18, v16
	v_pk_fma_f16 v5, v5, v22, v1
	;; [unrolled: 1-line block ×4, first 2 shown]
	v_mul_u32_u24_e32 v19, 0x10001, v0
	v_mul_u32_u24_e32 v20, 0x10001, v3
	ds_load_2addr_b64 v[0:3], v17 offset0:128 offset1:160
	v_pk_fma_f16 v13, v7, v18, v13
	v_pk_fma_f16 v7, v7, v22, v14
	s_wait_dscnt 0x1
	v_pk_fma_f16 v14, v8, v19, v15
	v_pk_fma_f16 v8, v8, v20, v4
	;; [unrolled: 1-line block ×8, first 2 shown]
	ds_load_2addr_b64 v[4:7], v17 offset0:192 offset1:224
	s_wait_loadcnt_dscnt 0x0
	s_barrier_signal -1
	s_barrier_wait -1
	global_inv scope:SCOPE_SE
	s_load_b32 s11, s[24:25], 0x4
	v_and_b32_e32 v16, 0xffff, v136
	v_lshrrev_b32_e32 v18, 16, v136
	s_delay_alu instid0(VALU_DEP_2) | instskip(NEXT) | instid1(VALU_DEP_2)
	v_mul_u32_u24_e32 v16, 0x10001, v16
	v_mul_u32_u24_e32 v17, 0x10001, v18
	v_lshrrev_b32_e32 v18, 16, v137
	s_delay_alu instid0(VALU_DEP_3) | instskip(NEXT) | instid1(VALU_DEP_3)
	v_pk_fma_f16 v14, v0, v16, v14
	v_pk_fma_f16 v0, v0, v17, v8
	v_and_b32_e32 v8, 0xffff, v137
	v_pk_fma_f16 v15, v1, v16, v15
	v_pk_fma_f16 v1, v1, v17, v9
	;; [unrolled: 1-line block ×3, first 2 shown]
	v_mul_u32_u24_e32 v12, 0x10001, v18
	v_mul_u32_u24_e32 v8, 0x10001, v8
	v_pk_fma_f16 v2, v2, v17, v10
	v_pk_fma_f16 v10, v3, v16, v13
	;; [unrolled: 1-line block ×3, first 2 shown]
	s_wait_kmcnt 0x0
	s_lshl_b32 s11, s11, 5
	v_pk_fma_f16 v69, v4, v8, v14
	v_pk_fma_f16 v68, v4, v12, v0
	;; [unrolled: 1-line block ×8, first 2 shown]
	s_wait_alu 0xfffe
	s_add_co_i32 s10, s11, s10
	s_wait_alu 0xfffe
	s_cmp_ge_i32 s10, s28
	s_cbranch_scc1 .LBB59_19
; %bb.18:                               ;   in Loop: Header=BB59_9 Depth=1
	v_dual_mov_b32 v25, v95 :: v_dual_mov_b32 v24, v96
	v_dual_mov_b32 v22, v120 :: v_dual_mov_b32 v23, v119
	s_branch .LBB59_9
.LBB59_19:
	v_mov_b32_e32 v3, v100
.LBB59_20:
	v_cmp_lt_i32_e32 vcc_lo, v118, v101
	s_cmp_lg_u64 s[12:13], 0
	s_cselect_b32 s3, -1, 0
	s_cmp_eq_u32 s4, 0
	s_wait_alu 0xfffd
	v_cndmask_b32_e32 v0, v3, v118, vcc_lo
	v_cmp_lt_i32_e32 vcc_lo, v114, v101
	s_cselect_b32 s5, -1, 0
	s_wait_alu 0xfffe
	s_and_b32 s3, s5, s3
	s_wait_alu 0xfffd
	v_cndmask_b32_e32 v2, v3, v114, vcc_lo
	v_cmp_lt_i32_e32 vcc_lo, v115, v101
	s_wait_alu 0xfffd
	v_dual_cndmask_b32 v5, v3, v115 :: v_dual_lshlrev_b32 v0, 2, v0
	ds_bpermute_b32 v1, v0, v120
	ds_bpermute_b32 v0, v0, v119
	v_cmp_lt_i32_e32 vcc_lo, v116, v101
	v_lshlrev_b32_e32 v5, 2, v5
	s_wait_dscnt 0x1
	v_dual_add_f32 v1, v120, v1 :: v_dual_lshlrev_b32 v2, 2, v2
	s_wait_dscnt 0x0
	v_add_f32_e32 v0, v119, v0
	ds_bpermute_b32 v4, v2, v1
	s_wait_dscnt 0x0
	v_add_f32_e32 v1, v1, v4
	ds_bpermute_b32 v2, v2, v0
	s_wait_dscnt 0x0
	v_add_f32_e32 v0, v0, v2
	ds_bpermute_b32 v2, v5, v1
	ds_bpermute_b32 v4, v5, v0
	s_wait_alu 0xfffd
	v_cndmask_b32_e32 v5, v3, v116, vcc_lo
	v_cmp_lt_i32_e32 vcc_lo, v117, v101
	s_delay_alu instid0(VALU_DEP_2)
	v_lshlrev_b32_e32 v5, 2, v5
	s_wait_dscnt 0x0
	v_dual_add_f32 v1, v1, v2 :: v_dual_add_f32 v0, v0, v4
	ds_bpermute_b32 v2, v5, v1
	ds_bpermute_b32 v4, v5, v0
	s_wait_alu 0xfffd
	v_cndmask_b32_e32 v3, v3, v117, vcc_lo
	s_wait_alu 0xfffe
	s_and_b32 vcc_lo, exec_lo, s3
	s_wait_dscnt 0x0
	v_dual_add_f32 v1, v1, v2 :: v_dual_add_f32 v2, v0, v4
	v_lshlrev_b32_e32 v3, 2, v3
	ds_bpermute_b32 v0, v3, v1
	s_wait_dscnt 0x0
	v_add_f32_e32 v0, v1, v0
	ds_bpermute_b32 v3, v3, v2
	s_wait_dscnt 0x0
	v_add_f32_e32 v1, v2, v3
	s_wait_alu 0xfffe
	s_cbranch_vccz .LBB59_23
; %bb.21:
	v_add_nc_u32_e32 v2, s33, v97
	s_delay_alu instid0(VALU_DEP_1) | instskip(NEXT) | instid1(VALU_DEP_1)
	v_ashrrev_i32_e32 v3, 31, v2
	v_lshlrev_b64_e32 v[2:3], 2, v[2:3]
	s_delay_alu instid0(VALU_DEP_1) | instskip(SKIP_1) | instid1(VALU_DEP_2)
	v_add_co_u32 v2, vcc_lo, s12, v2
	s_wait_alu 0xfffd
	v_add_co_ci_u32_e64 v3, null, s13, v3, vcc_lo
	global_load_b64 v[2:3], v[2:3], off
	v_max_num_f32_e32 v4, v95, v95
	s_wait_loadcnt 0x0
	v_dual_max_num_f32 v6, v96, v96 :: v_dual_max_num_f32 v5, v2, v2
	s_delay_alu instid0(VALU_DEP_1) | instskip(NEXT) | instid1(VALU_DEP_1)
	v_dual_max_num_f32 v7, v3, v3 :: v_dual_max_num_f32 v4, v4, v5
	v_dual_max_num_f32 v5, v6, v7 :: v_dual_sub_f32 v6, v95, v4
	s_delay_alu instid0(VALU_DEP_1) | instskip(SKIP_2) | instid1(VALU_DEP_4)
	v_sub_f32_e32 v7, v96, v5
	v_dual_sub_f32 v3, v3, v5 :: v_dual_sub_f32 v2, v2, v4
	v_mov_b32_e32 v96, v5
	v_cmp_ngt_f32_e32 vcc_lo, 0xc2ce8ed0, v6
	s_delay_alu instid0(VALU_DEP_4) | instskip(NEXT) | instid1(VALU_DEP_4)
	v_mul_f32_e32 v10, 0x3fb8aa3b, v7
	v_mul_f32_e32 v11, 0x3fb8aa3b, v3
	;; [unrolled: 1-line block ×3, first 2 shown]
	v_mov_b32_e32 v95, v4
	s_delay_alu instid0(VALU_DEP_4) | instskip(NEXT) | instid1(VALU_DEP_4)
	v_fma_f32 v22, 0x3fb8aa3b, v7, -v10
	v_fma_f32 v24, 0x3fb8aa3b, v3, -v11
	s_delay_alu instid0(VALU_DEP_4)
	v_rndne_f32_e32 v15, v9
	v_mul_f32_e32 v8, 0x3fb8aa3b, v6
	v_fma_f32 v14, 0x3fb8aa3b, v2, -v9
	v_rndne_f32_e32 v25, v11
	v_fmac_f32_e32 v24, 0x32a5705f, v3
	v_sub_f32_e32 v9, v9, v15
	v_fma_f32 v12, 0x3fb8aa3b, v6, -v8
	v_rndne_f32_e32 v13, v8
	v_sub_f32_e32 v11, v11, v25
	v_rndne_f32_e32 v23, v10
	v_fmac_f32_e32 v14, 0x32a5705f, v2
	v_fmac_f32_e32 v12, 0x32a5705f, v6
	s_delay_alu instid0(VALU_DEP_4) | instskip(NEXT) | instid1(VALU_DEP_3)
	v_dual_fmac_f32 v22, 0x32a5705f, v7 :: v_dual_add_f32 v11, v11, v24
	v_dual_sub_f32 v8, v8, v13 :: v_dual_add_f32 v9, v9, v14
	v_sub_f32_e32 v10, v10, v23
	v_cvt_i32_f32_e32 v14, v23
	s_delay_alu instid0(VALU_DEP_4) | instskip(NEXT) | instid1(VALU_DEP_3)
	v_exp_f32_e32 v11, v11
	v_add_f32_e32 v8, v8, v12
	v_cvt_i32_f32_e32 v12, v13
	v_add_f32_e32 v10, v10, v22
	v_exp_f32_e32 v9, v9
	v_cvt_i32_f32_e32 v13, v15
	v_exp_f32_e32 v8, v8
	s_delay_alu instid0(VALU_DEP_2)
	v_exp_f32_e32 v10, v10
	s_delay_alu instid0(TRANS32_DEP_3) | instid1(VALU_DEP_1)
	v_ldexp_f32 v9, v9, v13
	s_delay_alu instid0(TRANS32_DEP_2) | instskip(SKIP_1) | instid1(TRANS32_DEP_1)
	v_ldexp_f32 v8, v8, v12
	v_cvt_i32_f32_e32 v12, v25
	v_ldexp_f32 v10, v10, v14
	s_wait_alu 0xfffd
	s_delay_alu instid0(VALU_DEP_3)
	v_cndmask_b32_e32 v8, 0, v8, vcc_lo
	v_cmp_ngt_f32_e32 vcc_lo, 0xc2ce8ed0, v7
	v_ldexp_f32 v11, v11, v12
	s_wait_alu 0xfffd
	v_cndmask_b32_e32 v10, 0, v10, vcc_lo
	v_cmp_nlt_f32_e32 vcc_lo, 0x42b17218, v6
	s_wait_alu 0xfffd
	v_cndmask_b32_e32 v6, 0x7f800000, v8, vcc_lo
	v_cmp_ngt_f32_e32 vcc_lo, 0xc2ce8ed0, v2
	s_wait_alu 0xfffd
	v_cndmask_b32_e32 v8, 0, v9, vcc_lo
	v_cmp_nlt_f32_e32 vcc_lo, 0x42b17218, v7
	v_cvt_f16_f32_e32 v9, v6
	s_wait_alu 0xfffd
	v_cndmask_b32_e32 v7, 0x7f800000, v10, vcc_lo
	v_cmp_ngt_f32_e32 vcc_lo, 0xc2ce8ed0, v3
	s_wait_alu 0xfffd
	v_dual_cndmask_b32 v10, 0, v11 :: v_dual_and_b32 v9, 0xffff, v9
	v_cmp_nlt_f32_e32 vcc_lo, 0x42b17218, v2
	s_wait_alu 0xfffd
	v_cndmask_b32_e32 v2, 0x7f800000, v8, vcc_lo
	v_cvt_f16_f32_e32 v8, v7
	v_cmp_nlt_f32_e32 vcc_lo, 0x42b17218, v3
	s_delay_alu instid0(VALU_DEP_3) | instskip(NEXT) | instid1(VALU_DEP_3)
	v_fmac_f32_e32 v2, v0, v6
	v_and_b32_e32 v6, 0xffff, v8
	s_wait_alu 0xfffd
	v_cndmask_b32_e32 v3, 0x7f800000, v10, vcc_lo
	v_mul_u32_u24_e32 v8, 0x10001, v9
	s_delay_alu instid0(VALU_DEP_2) | instskip(SKIP_1) | instid1(VALU_DEP_3)
	v_dual_mov_b32 v0, v2 :: v_dual_fmac_f32 v3, v1, v7
	v_mul_u32_u24_e32 v1, 0x10001, v6
	v_pk_mul_f16 v69, v69, v8
	v_pk_mul_f16 v21, v21, v8
	;; [unrolled: 1-line block ×8, first 2 shown]
	v_mov_b32_e32 v1, v3
	s_mov_b32 s3, exec_lo
	v_cmpx_gt_i32_e64 s22, v76
	s_cbranch_execnz .LBB59_24
.LBB59_22:
	s_nop 0
	s_sendmsg sendmsg(MSG_DEALLOC_VGPRS)
	s_endpgm
.LBB59_23:
	s_delay_alu instid0(VALU_DEP_1)
	v_dual_mov_b32 v3, v1 :: v_dual_mov_b32 v2, v0
	s_mov_b32 s3, exec_lo
	v_cmpx_gt_i32_e64 s22, v76
	s_cbranch_execz .LBB59_22
.LBB59_24:
	s_load_b32 s1, s[0:1], 0xd4
	v_mov_b32_e32 v6, 1.0
	s_wait_kmcnt 0x0
	s_cmp_lg_u32 s1, 1
	s_cselect_b32 s5, -1, 0
	s_cmp_eq_u32 s1, 1
	s_cselect_b32 s3, -1, 0
	s_wait_alu 0xfffe
	s_and_b32 vcc_lo, exec_lo, s5
	s_wait_alu 0xfffe
	s_cbranch_vccnz .LBB59_26
; %bb.25:
	v_div_scale_f32 v4, null, v0, v0, 1.0
	s_delay_alu instid0(VALU_DEP_1) | instskip(NEXT) | instid1(TRANS32_DEP_1)
	v_rcp_f32_e32 v5, v4
	v_fma_f32 v6, -v4, v5, 1.0
	s_delay_alu instid0(VALU_DEP_1) | instskip(SKIP_1) | instid1(VALU_DEP_1)
	v_fmac_f32_e32 v5, v6, v5
	v_div_scale_f32 v6, vcc_lo, 1.0, v0, 1.0
	v_mul_f32_e32 v7, v6, v5
	s_delay_alu instid0(VALU_DEP_1) | instskip(NEXT) | instid1(VALU_DEP_1)
	v_fma_f32 v8, -v4, v7, v6
	v_fmac_f32_e32 v7, v8, v5
	s_delay_alu instid0(VALU_DEP_1) | instskip(SKIP_1) | instid1(VALU_DEP_1)
	v_fma_f32 v4, -v4, v7, v6
	s_wait_alu 0xfffd
	v_div_fmas_f32 v4, v4, v5, v7
	s_delay_alu instid0(VALU_DEP_1)
	v_div_fixup_f32 v6, v4, v0, 1.0
.LBB59_26:
	v_mad_co_u64_u32 v[4:5], null, s2, s22, v[76:77]
	v_lshrrev_b32_e32 v7, 16, v21
	v_cvt_f32_f16_e32 v8, v21
	v_lshrrev_b32_e32 v10, 16, v69
	v_lshrrev_b32_e32 v12, 16, v20
	v_cvt_f32_f16_e32 v11, v69
	v_cvt_f32_f16_e32 v14, v19
	v_mul_lo_u32 v0, v4, s23
	v_cvt_f32_f16_e32 v15, v7
	v_mul_f32_e32 v9, v6, v8
	v_cvt_f32_f16_e32 v8, v10
	v_cvt_f32_f16_e32 v12, v12
	v_mul_f32_e32 v7, v6, v11
	v_mul_f32_e32 v11, v6, v14
	;; [unrolled: 1-line block ×3, first 2 shown]
	v_add3_u32 v0, s33, v97, v0
	v_mul_f32_e32 v8, v6, v8
	v_mul_f32_e32 v14, v6, v12
	v_cmp_eq_u32_e32 vcc_lo, 0, v77
	s_delay_alu instid0(VALU_DEP_4) | instskip(SKIP_2) | instid1(VALU_DEP_2)
	v_mad_co_u64_u32 v[4:5], null, s1, v0, s[4:5]
	v_cvt_f32_f16_e32 v0, v20
	v_lshrrev_b32_e32 v5, 16, v19
	v_mul_f32_e32 v13, v6, v0
	s_delay_alu instid0(VALU_DEP_4) | instskip(SKIP_1) | instid1(VALU_DEP_4)
	v_lshl_add_u32 v20, v4, 8, v98
	v_mov_b32_e32 v21, 0
	v_cvt_f32_f16_e32 v0, v5
	s_delay_alu instid0(VALU_DEP_2) | instskip(SKIP_1) | instid1(VALU_DEP_3)
	v_lshlrev_b64_e32 v[22:23], 2, v[20:21]
	v_add_nc_u32_e32 v20, 0x80, v20
	v_mul_f32_e32 v12, v6, v0
	s_delay_alu instid0(VALU_DEP_2) | instskip(NEXT) | instid1(VALU_DEP_4)
	v_lshlrev_b64_e32 v[5:6], 2, v[20:21]
	v_add_co_u32 v19, s0, s16, v22
	s_wait_alu 0xf1ff
	v_add_co_ci_u32_e64 v20, null, s17, v23, s0
	s_delay_alu instid0(VALU_DEP_3)
	v_add_co_u32 v5, s0, s16, v5
	s_wait_alu 0xf1ff
	v_add_co_ci_u32_e64 v6, null, s17, v6, s0
	s_and_b32 s0, vcc_lo, s5
	s_clause 0x1
	global_store_b128 v[19:20], v[7:10], off
	global_store_b128 v[5:6], v[11:14], off
	s_wait_alu 0xfffe
	s_and_saveexec_b32 s2, s0
	s_cbranch_execz .LBB59_28
; %bb.27:
	v_ashrrev_i32_e32 v5, 31, v4
	v_dual_mov_b32 v7, v95 :: v_dual_mov_b32 v8, v2
	s_delay_alu instid0(VALU_DEP_2) | instskip(NEXT) | instid1(VALU_DEP_1)
	v_lshlrev_b64_e32 v[5:6], 3, v[4:5]
	v_add_co_u32 v5, vcc_lo, s18, v5
	s_wait_alu 0xfffd
	s_delay_alu instid0(VALU_DEP_2)
	v_add_co_ci_u32_e64 v6, null, s19, v6, vcc_lo
	global_store_b64 v[5:6], v[7:8], off
.LBB59_28:
	s_wait_alu 0xfffe
	s_or_b32 exec_lo, exec_lo, s2
	v_mov_b32_e32 v2, 1.0
	s_and_not1_b32 vcc_lo, exec_lo, s3
	s_wait_alu 0xfffe
	s_cbranch_vccnz .LBB59_30
; %bb.29:
	v_div_scale_f32 v0, null, v1, v1, 1.0
	s_delay_alu instid0(VALU_DEP_1) | instskip(NEXT) | instid1(TRANS32_DEP_1)
	v_rcp_f32_e32 v2, v0
	v_fma_f32 v5, -v0, v2, 1.0
	s_delay_alu instid0(VALU_DEP_1) | instskip(SKIP_1) | instid1(VALU_DEP_1)
	v_fmac_f32_e32 v2, v5, v2
	v_div_scale_f32 v5, vcc_lo, 1.0, v1, 1.0
	v_mul_f32_e32 v6, v5, v2
	s_delay_alu instid0(VALU_DEP_1) | instskip(NEXT) | instid1(VALU_DEP_1)
	v_fma_f32 v7, -v0, v6, v5
	v_fmac_f32_e32 v6, v7, v2
	s_delay_alu instid0(VALU_DEP_1) | instskip(SKIP_1) | instid1(VALU_DEP_1)
	v_fma_f32 v0, -v0, v6, v5
	s_wait_alu 0xfffd
	v_div_fmas_f32 v0, v0, v2, v6
	s_delay_alu instid0(VALU_DEP_1)
	v_div_fixup_f32 v2, v0, v1, 1.0
.LBB59_30:
	v_dual_mov_b32 v9, 0 :: v_dual_add_nc_u32 v0, s1, v4
	v_lshrrev_b32_e32 v1, 16, v18
	v_lshrrev_b32_e32 v4, 16, v68
	v_cvt_f32_f16_e32 v5, v18
	s_delay_alu instid0(VALU_DEP_4)
	v_lshl_add_u32 v8, v0, 8, v98
	v_cvt_f32_f16_e32 v12, v68
	v_cvt_f32_f16_e32 v1, v1
	v_cvt_f32_f16_e32 v4, v4
	v_lshrrev_b32_e32 v14, 16, v17
	v_lshlrev_b64_e32 v[10:11], 2, v[8:9]
	s_delay_alu instid0(VALU_DEP_4)
	v_dual_mul_f32 v7, v2, v1 :: v_dual_add_nc_u32 v8, 0x80, v8
	v_lshrrev_b32_e32 v1, 16, v16
	v_mul_f32_e32 v6, v2, v5
	v_mul_f32_e32 v5, v2, v4
	;; [unrolled: 1-line block ×3, first 2 shown]
	v_add_co_u32 v12, vcc_lo, s16, v10
	v_cvt_f32_f16_e32 v10, v16
	v_cvt_f32_f16_e32 v16, v14
	v_lshlrev_b64_e32 v[14:15], 2, v[8:9]
	v_cvt_f32_f16_e32 v1, v1
	v_cvt_f32_f16_e32 v17, v17
	s_wait_alu 0xfffd
	v_add_co_ci_u32_e64 v13, null, s17, v11, vcc_lo
	v_mul_f32_e32 v10, v2, v10
	v_mul_f32_e32 v11, v2, v1
	v_add_co_u32 v1, vcc_lo, s16, v14
	v_mul_f32_e32 v9, v2, v16
	v_mul_f32_e32 v8, v2, v17
	s_wait_alu 0xfffd
	v_add_co_ci_u32_e64 v2, null, s17, v15, vcc_lo
	s_clause 0x1
	global_store_b128 v[12:13], v[4:7], off
	global_store_b128 v[1:2], v[8:11], off
	s_and_b32 exec_lo, exec_lo, s0
	s_cbranch_execz .LBB59_22
; %bb.31:
	v_ashrrev_i32_e32 v1, 31, v0
	v_mov_b32_e32 v2, v96
	s_delay_alu instid0(VALU_DEP_2) | instskip(NEXT) | instid1(VALU_DEP_1)
	v_lshlrev_b64_e32 v[0:1], 3, v[0:1]
	v_add_co_u32 v0, vcc_lo, s18, v0
	s_wait_alu 0xfffd
	s_delay_alu instid0(VALU_DEP_2)
	v_add_co_ci_u32_e64 v1, null, s19, v1, vcc_lo
	global_store_b64 v[0:1], v[2:3], off
	s_nop 0
	s_sendmsg sendmsg(MSG_DEALLOC_VGPRS)
	s_endpgm
	.section	.rodata,"a",@progbits
	.p2align	6, 0x0
	.amdhsa_kernel _ZL15flash_attn_tileILi256ELi256ELi2ELi8ELb1EEvPKcS1_S1_S1_S1_PKiPfP15HIP_vector_typeIfLj2EEffffjfiS5_IjLj3EEiiiiiiiiiiiliiliiiiil
		.amdhsa_group_segment_fixed_size 26112
		.amdhsa_private_segment_fixed_size 0
		.amdhsa_kernarg_size 464
		.amdhsa_user_sgpr_count 2
		.amdhsa_user_sgpr_dispatch_ptr 0
		.amdhsa_user_sgpr_queue_ptr 0
		.amdhsa_user_sgpr_kernarg_segment_ptr 1
		.amdhsa_user_sgpr_dispatch_id 0
		.amdhsa_user_sgpr_private_segment_size 0
		.amdhsa_wavefront_size32 1
		.amdhsa_uses_dynamic_stack 0
		.amdhsa_enable_private_segment 0
		.amdhsa_system_sgpr_workgroup_id_x 1
		.amdhsa_system_sgpr_workgroup_id_y 1
		.amdhsa_system_sgpr_workgroup_id_z 1
		.amdhsa_system_sgpr_workgroup_info 0
		.amdhsa_system_vgpr_workitem_id 1
		.amdhsa_next_free_vgpr 198
		.amdhsa_next_free_sgpr 42
		.amdhsa_reserve_vcc 1
		.amdhsa_float_round_mode_32 0
		.amdhsa_float_round_mode_16_64 0
		.amdhsa_float_denorm_mode_32 3
		.amdhsa_float_denorm_mode_16_64 3
		.amdhsa_fp16_overflow 0
		.amdhsa_workgroup_processor_mode 1
		.amdhsa_memory_ordered 1
		.amdhsa_forward_progress 1
		.amdhsa_inst_pref_size 83
		.amdhsa_round_robin_scheduling 0
		.amdhsa_exception_fp_ieee_invalid_op 0
		.amdhsa_exception_fp_denorm_src 0
		.amdhsa_exception_fp_ieee_div_zero 0
		.amdhsa_exception_fp_ieee_overflow 0
		.amdhsa_exception_fp_ieee_underflow 0
		.amdhsa_exception_fp_ieee_inexact 0
		.amdhsa_exception_int_div_zero 0
	.end_amdhsa_kernel
	.section	.text._ZL15flash_attn_tileILi256ELi256ELi2ELi8ELb1EEvPKcS1_S1_S1_S1_PKiPfP15HIP_vector_typeIfLj2EEffffjfiS5_IjLj3EEiiiiiiiiiiiliiliiiiil,"axG",@progbits,_ZL15flash_attn_tileILi256ELi256ELi2ELi8ELb1EEvPKcS1_S1_S1_S1_PKiPfP15HIP_vector_typeIfLj2EEffffjfiS5_IjLj3EEiiiiiiiiiiiliiliiiiil,comdat
.Lfunc_end59:
	.size	_ZL15flash_attn_tileILi256ELi256ELi2ELi8ELb1EEvPKcS1_S1_S1_S1_PKiPfP15HIP_vector_typeIfLj2EEffffjfiS5_IjLj3EEiiiiiiiiiiiliiliiiiil, .Lfunc_end59-_ZL15flash_attn_tileILi256ELi256ELi2ELi8ELb1EEvPKcS1_S1_S1_S1_PKiPfP15HIP_vector_typeIfLj2EEffffjfiS5_IjLj3EEiiiiiiiiiiiliiliiiiil
                                        ; -- End function
	.set _ZL15flash_attn_tileILi256ELi256ELi2ELi8ELb1EEvPKcS1_S1_S1_S1_PKiPfP15HIP_vector_typeIfLj2EEffffjfiS5_IjLj3EEiiiiiiiiiiiliiliiiiil.num_vgpr, 198
	.set _ZL15flash_attn_tileILi256ELi256ELi2ELi8ELb1EEvPKcS1_S1_S1_S1_PKiPfP15HIP_vector_typeIfLj2EEffffjfiS5_IjLj3EEiiiiiiiiiiiliiliiiiil.num_agpr, 0
	.set _ZL15flash_attn_tileILi256ELi256ELi2ELi8ELb1EEvPKcS1_S1_S1_S1_PKiPfP15HIP_vector_typeIfLj2EEffffjfiS5_IjLj3EEiiiiiiiiiiiliiliiiiil.numbered_sgpr, 42
	.set _ZL15flash_attn_tileILi256ELi256ELi2ELi8ELb1EEvPKcS1_S1_S1_S1_PKiPfP15HIP_vector_typeIfLj2EEffffjfiS5_IjLj3EEiiiiiiiiiiiliiliiiiil.num_named_barrier, 0
	.set _ZL15flash_attn_tileILi256ELi256ELi2ELi8ELb1EEvPKcS1_S1_S1_S1_PKiPfP15HIP_vector_typeIfLj2EEffffjfiS5_IjLj3EEiiiiiiiiiiiliiliiiiil.private_seg_size, 0
	.set _ZL15flash_attn_tileILi256ELi256ELi2ELi8ELb1EEvPKcS1_S1_S1_S1_PKiPfP15HIP_vector_typeIfLj2EEffffjfiS5_IjLj3EEiiiiiiiiiiiliiliiiiil.uses_vcc, 1
	.set _ZL15flash_attn_tileILi256ELi256ELi2ELi8ELb1EEvPKcS1_S1_S1_S1_PKiPfP15HIP_vector_typeIfLj2EEffffjfiS5_IjLj3EEiiiiiiiiiiiliiliiiiil.uses_flat_scratch, 0
	.set _ZL15flash_attn_tileILi256ELi256ELi2ELi8ELb1EEvPKcS1_S1_S1_S1_PKiPfP15HIP_vector_typeIfLj2EEffffjfiS5_IjLj3EEiiiiiiiiiiiliiliiiiil.has_dyn_sized_stack, 0
	.set _ZL15flash_attn_tileILi256ELi256ELi2ELi8ELb1EEvPKcS1_S1_S1_S1_PKiPfP15HIP_vector_typeIfLj2EEffffjfiS5_IjLj3EEiiiiiiiiiiiliiliiiiil.has_recursion, 0
	.set _ZL15flash_attn_tileILi256ELi256ELi2ELi8ELb1EEvPKcS1_S1_S1_S1_PKiPfP15HIP_vector_typeIfLj2EEffffjfiS5_IjLj3EEiiiiiiiiiiiliiliiiiil.has_indirect_call, 0
	.section	.AMDGPU.csdata,"",@progbits
; Kernel info:
; codeLenInByte = 10620
; TotalNumSgprs: 44
; NumVgprs: 198
; ScratchSize: 0
; MemoryBound: 0
; FloatMode: 240
; IeeeMode: 1
; LDSByteSize: 26112 bytes/workgroup (compile time only)
; SGPRBlocks: 0
; VGPRBlocks: 24
; NumSGPRsForWavesPerEU: 44
; NumVGPRsForWavesPerEU: 198
; Occupancy: 7
; WaveLimiterHint : 1
; COMPUTE_PGM_RSRC2:SCRATCH_EN: 0
; COMPUTE_PGM_RSRC2:USER_SGPR: 2
; COMPUTE_PGM_RSRC2:TRAP_HANDLER: 0
; COMPUTE_PGM_RSRC2:TGID_X_EN: 1
; COMPUTE_PGM_RSRC2:TGID_Y_EN: 1
; COMPUTE_PGM_RSRC2:TGID_Z_EN: 1
; COMPUTE_PGM_RSRC2:TIDIG_COMP_CNT: 1
	.section	.text._ZL15flash_attn_tileILi256ELi256ELi1ELi8ELb1EEvPKcS1_S1_S1_S1_PKiPfP15HIP_vector_typeIfLj2EEffffjfiS5_IjLj3EEiiiiiiiiiiiliiliiiiil,"axG",@progbits,_ZL15flash_attn_tileILi256ELi256ELi1ELi8ELb1EEvPKcS1_S1_S1_S1_PKiPfP15HIP_vector_typeIfLj2EEffffjfiS5_IjLj3EEiiiiiiiiiiiliiliiiiil,comdat
	.globl	_ZL15flash_attn_tileILi256ELi256ELi1ELi8ELb1EEvPKcS1_S1_S1_S1_PKiPfP15HIP_vector_typeIfLj2EEffffjfiS5_IjLj3EEiiiiiiiiiiiliiliiiiil ; -- Begin function _ZL15flash_attn_tileILi256ELi256ELi1ELi8ELb1EEvPKcS1_S1_S1_S1_PKiPfP15HIP_vector_typeIfLj2EEffffjfiS5_IjLj3EEiiiiiiiiiiiliiliiiiil
	.p2align	8
	.type	_ZL15flash_attn_tileILi256ELi256ELi1ELi8ELb1EEvPKcS1_S1_S1_S1_PKiPfP15HIP_vector_typeIfLj2EEffffjfiS5_IjLj3EEiiiiiiiiiiiliiliiiiil,@function
_ZL15flash_attn_tileILi256ELi256ELi1ELi8ELb1EEvPKcS1_S1_S1_S1_PKiPfP15HIP_vector_typeIfLj2EEffffjfiS5_IjLj3EEiiiiiiiiiiiliiliiiiil: ; @_ZL15flash_attn_tileILi256ELi256ELi1ELi8ELb1EEvPKcS1_S1_S1_S1_PKiPfP15HIP_vector_typeIfLj2EEffffjfiS5_IjLj3EEiiiiiiiiiiiliiliiiiil
; %bb.0:
	s_clause 0x1
	s_load_b128 s[20:23], s[0:1], 0x5c
	s_load_b64 s[28:29], s[0:1], 0x80
	s_lshr_b32 s5, ttmp7, 16
	s_load_b64 s[36:37], s[0:1], 0xb8
	s_mov_b32 s35, 0
	s_mov_b64 s[30:31], 0
	s_wait_kmcnt 0x0
	s_ashr_i32 s2, s23, 31
	s_delay_alu instid0(SALU_CYCLE_1) | instskip(NEXT) | instid1(SALU_CYCLE_1)
	s_lshr_b32 s2, s2, 29
	s_add_co_i32 s2, s23, s2
	s_delay_alu instid0(SALU_CYCLE_1) | instskip(NEXT) | instid1(SALU_CYCLE_1)
	s_ashr_i32 s2, s2, 3
	s_cvt_f32_u32 s3, s2
	s_sub_co_i32 s4, 0, s2
	s_delay_alu instid0(SALU_CYCLE_2) | instskip(NEXT) | instid1(TRANS32_DEP_1)
	v_rcp_iflag_f32_e32 v1, s3
	v_readfirstlane_b32 s3, v1
	s_mul_f32 s3, s3, 0x4f7ffffe
	s_wait_alu 0xfffe
	s_delay_alu instid0(SALU_CYCLE_2) | instskip(SKIP_1) | instid1(SALU_CYCLE_2)
	s_cvt_u32_f32 s3, s3
	s_wait_alu 0xfffe
	s_mul_i32 s4, s4, s3
	s_delay_alu instid0(SALU_CYCLE_1) | instskip(NEXT) | instid1(SALU_CYCLE_1)
	s_mul_hi_u32 s4, s3, s4
	s_add_co_i32 s3, s3, s4
	s_wait_alu 0xfffe
	s_mul_hi_u32 s3, s5, s3
	s_wait_alu 0xfffe
	s_mul_i32 s4, s3, s2
	s_add_co_i32 s6, s3, 1
	s_sub_co_i32 s4, s5, s4
	s_delay_alu instid0(SALU_CYCLE_1)
	s_sub_co_i32 s7, s4, s2
	s_cmp_ge_u32 s4, s2
	s_cselect_b32 s3, s6, s3
	s_cselect_b32 s4, s7, s4
	s_wait_alu 0xfffe
	s_add_co_i32 s6, s3, 1
	s_cmp_ge_u32 s4, s2
	s_cselect_b32 s2, s6, s3
	s_abs_i32 s3, s29
	s_abs_i32 s8, s23
	s_wait_alu 0xfffe
	s_cvt_f32_u32 s4, s3
	s_sub_co_i32 s6, 0, s3
	s_lshl_b32 s5, s5, 3
	s_mul_i32 s7, s2, s23
	v_rcp_iflag_f32_e32 v1, s4
	s_sub_co_i32 s33, s5, s7
	s_xor_b32 s5, s23, s29
	s_wait_alu 0xfffe
	s_ashr_i32 s24, s5, 31
	s_delay_alu instid0(TRANS32_DEP_1) | instskip(SKIP_2) | instid1(SALU_CYCLE_2)
	v_readfirstlane_b32 s4, v1
	s_mul_f32 s4, s4, 0x4f7ffffe
	s_wait_alu 0xfffe
	s_cvt_u32_f32 s4, s4
	s_wait_alu 0xfffe
	s_delay_alu instid0(SALU_CYCLE_2) | instskip(NEXT) | instid1(SALU_CYCLE_1)
	s_mul_i32 s6, s6, s4
	s_mul_hi_u32 s6, s4, s6
	s_delay_alu instid0(SALU_CYCLE_1) | instskip(SKIP_4) | instid1(SALU_CYCLE_1)
	s_add_co_i32 s4, s4, s6
	s_wait_alu 0xfffe
	s_mul_hi_u32 s4, s8, s4
	s_wait_alu 0xfffe
	s_mul_i32 s6, s4, s3
	s_sub_co_i32 s5, s8, s6
	s_add_co_i32 s6, s4, 1
	s_wait_alu 0xfffe
	s_sub_co_i32 s7, s5, s3
	s_cmp_ge_u32 s5, s3
	s_cselect_b32 s4, s6, s4
	s_cselect_b32 s5, s7, s5
	s_wait_alu 0xfffe
	s_add_co_i32 s6, s4, 1
	s_cmp_ge_u32 s5, s3
	s_cselect_b32 s3, s6, s4
	s_load_b512 s[4:19], s[0:1], 0x0
	s_xor_b32 s3, s3, s24
	s_wait_alu 0xfffe
	s_sub_co_i32 s38, s3, s24
	s_delay_alu instid0(SALU_CYCLE_1) | instskip(NEXT) | instid1(SALU_CYCLE_1)
	s_abs_i32 s29, s38
	s_cvt_f32_u32 s3, s29
	s_wait_alu 0xfffe
	s_delay_alu instid0(SALU_CYCLE_2) | instskip(SKIP_2) | instid1(TRANS32_DEP_1)
	v_rcp_iflag_f32_e32 v1, s3
	s_wait_kmcnt 0x0
	s_cmp_eq_u64 s[10:11], 0
	v_readfirstlane_b32 s27, v1
	s_cbranch_scc1 .LBB60_2
; %bb.1:
	s_abs_i32 s3, s36
	s_wait_alu 0xfffe
	s_cvt_f32_u32 s24, s3
	s_delay_alu instid0(SALU_CYCLE_3) | instskip(NEXT) | instid1(TRANS32_DEP_1)
	v_rcp_iflag_f32_e32 v1, s24
	v_readfirstlane_b32 s24, v1
	s_mul_f32 s24, s24, 0x4f7ffffe
	s_wait_alu 0xfffe
	s_delay_alu instid0(SALU_CYCLE_2) | instskip(SKIP_2) | instid1(SALU_CYCLE_1)
	s_cvt_u32_f32 s26, s24
	s_sub_co_i32 s24, 0, s3
	s_wait_alu 0xfffe
	s_mul_i32 s24, s24, s26
	s_wait_alu 0xfffe
	s_mul_hi_u32 s30, s26, s24
	s_load_b64 s[24:25], s[0:1], 0xc8
	s_add_co_i32 s26, s26, s30
	s_delay_alu instid0(SALU_CYCLE_1) | instskip(NEXT) | instid1(SALU_CYCLE_1)
	s_mul_hi_u32 s26, s2, s26
	s_mul_i32 s26, s26, s3
	s_delay_alu instid0(SALU_CYCLE_1) | instskip(NEXT) | instid1(SALU_CYCLE_1)
	s_sub_co_i32 s26, s2, s26
	s_sub_co_i32 s30, s26, s3
	s_cmp_ge_u32 s26, s3
	s_cselect_b32 s26, s30, s26
	s_delay_alu instid0(SALU_CYCLE_1) | instskip(SKIP_2) | instid1(SALU_CYCLE_1)
	s_sub_co_i32 s30, s26, s3
	s_cmp_ge_u32 s26, s3
	s_cselect_b32 s30, s30, s26
	s_ashr_i32 s31, s30, 31
	s_wait_kmcnt 0x0
	s_mul_u64 s[24:25], s[24:25], s[30:31]
	s_wait_alu 0xfffe
	s_add_nc_u64 s[30:31], s[10:11], s[24:25]
.LBB60_2:
	v_lshrrev_b32_e32 v1, 10, v0
	s_load_b96 s[24:26], s[0:1], 0x70
	v_bfe_u32 v4, v0, 10, 10
	s_delay_alu instid0(VALU_DEP_2) | instskip(NEXT) | instid1(VALU_DEP_2)
	v_bfe_u32 v1, v1, 2, 8
	v_lshlrev_b32_e32 v3, 1, v4
	s_delay_alu instid0(VALU_DEP_2) | instskip(NEXT) | instid1(VALU_DEP_2)
	v_add_nc_u32_e32 v1, ttmp9, v1
	v_or_b32_e32 v21, 1, v3
	v_and_b32_e32 v38, 6, v3
	s_delay_alu instid0(VALU_DEP_3) | instskip(NEXT) | instid1(VALU_DEP_3)
	v_mul_hi_u32 v2, s20, v1
	v_and_b32_e32 v12, 7, v21
	s_wait_kmcnt 0x0
	s_mul_i32 s10, s33, s25
	s_mov_b32 s20, s25
	s_delay_alu instid0(VALU_DEP_2) | instskip(SKIP_1) | instid1(VALU_DEP_1)
	v_add_nc_u32_e32 v2, v1, v2
	s_ashr_i32 s11, s10, 31
	v_lshrrev_b32_e32 v2, s21, v2
	s_ashr_i32 s21, s25, 31
	s_ashr_i32 s25, s24, 31
	s_wait_alu 0xfffe
	s_lshr_b64 s[40:41], s[24:25], 2
	v_mul_lo_u32 v2, v2, s22
	s_lshr_b32 s3, s25, 2
	s_mul_i32 s24, s2, s26
	s_wait_alu 0xfffe
	s_ashr_i32 s25, s24, 31
	s_wait_alu 0xfffe
	s_add_nc_u64 s[4:5], s[4:5], s[24:25]
	s_wait_alu 0xfffe
	s_add_nc_u64 s[4:5], s[4:5], s[10:11]
	v_sub_nc_u32_e32 v2, v1, v2
	s_delay_alu instid0(VALU_DEP_1) | instskip(SKIP_4) | instid1(VALU_DEP_1)
	v_mad_co_u64_u32 v[5:6], null, s40, v2, 0
	s_lshr_b64 s[40:41], s[20:21], 2
	s_wait_alu 0xfffe
	v_mad_co_u64_u32 v[7:8], null, s40, v38, 0
	v_dual_mov_b32 v3, v6 :: v_dual_and_b32 v0, 0x3ff, v0
	v_mad_co_u64_u32 v[9:10], null, s3, v2, v[3:4]
	v_mad_co_u64_u32 v[10:11], null, s40, v12, 0
	s_delay_alu instid0(VALU_DEP_4) | instskip(SKIP_2) | instid1(VALU_DEP_4)
	v_mov_b32_e32 v3, v8
	s_lshr_b32 s3, s21, 2
	v_lshlrev_b32_e32 v13, 4, v0
	v_dual_mov_b32 v6, v9 :: v_dual_lshlrev_b32 v39, 3, v0
	s_wait_alu 0xfffe
	v_mad_co_u64_u32 v[8:9], null, s3, v38, v[3:4]
	s_delay_alu instid0(VALU_DEP_2) | instskip(NEXT) | instid1(VALU_DEP_3)
	v_dual_mov_b32 v3, v11 :: v_dual_add_nc_u32 v22, 0x4200, v39
	v_lshlrev_b64_e32 v[5:6], 2, v[5:6]
	s_cmp_eq_u64 s[14:15], 0
	s_delay_alu instid0(VALU_DEP_2) | instskip(SKIP_2) | instid1(VALU_DEP_1)
	v_mad_co_u64_u32 v[11:12], null, s3, v12, v[3:4]
	s_load_b32 s3, s[0:1], 0x40
	v_add_co_u32 v3, vcc_lo, s4, v5
	v_add_co_ci_u32_e64 v9, null, s5, v6, vcc_lo
	v_lshlrev_b64_e32 v[5:6], 2, v[7:8]
	s_delay_alu instid0(VALU_DEP_3) | instskip(SKIP_1) | instid1(VALU_DEP_3)
	v_add_co_u32 v3, vcc_lo, v3, v13
	s_wait_alu 0xfffd
	v_add_co_ci_u32_e64 v14, null, 0, v9, vcc_lo
	v_lshlrev_b64_e32 v[9:10], 2, v[10:11]
	s_delay_alu instid0(VALU_DEP_3) | instskip(SKIP_1) | instid1(VALU_DEP_3)
	v_add_co_u32 v12, vcc_lo, v3, v5
	s_wait_alu 0xfffd
	v_add_co_ci_u32_e64 v13, null, v14, v6, vcc_lo
	v_lshl_add_u32 v21, v21, 9, v22
	s_delay_alu instid0(VALU_DEP_4)
	v_add_co_u32 v17, vcc_lo, v3, v9
	s_wait_alu 0xfffd
	v_add_co_ci_u32_e64 v18, null, v14, v10, vcc_lo
	s_clause 0x3
	global_load_b128 v[5:8], v[12:13], off
	global_load_b128 v[9:12], v[12:13], off offset:512
	global_load_b128 v[13:16], v[17:18], off
	global_load_b128 v[17:20], v[17:18], off offset:512
	v_lshlrev_b32_e32 v3, 10, v4
	s_delay_alu instid0(VALU_DEP_1)
	v_add_nc_u32_e32 v23, v22, v3
	s_wait_loadcnt 0x3
	s_wait_kmcnt 0x0
	v_fma_mixlo_f16 v5, s3, v5, 0
	v_fma_mixlo_f16 v6, s3, v6, 0
	;; [unrolled: 1-line block ×4, first 2 shown]
	s_wait_loadcnt 0x2
	v_fma_mixlo_f16 v9, s3, v9, 0
	v_fma_mixlo_f16 v10, s3, v10, 0
	;; [unrolled: 1-line block ×4, first 2 shown]
	s_wait_loadcnt 0x1
	v_fma_mixlo_f16 v13, s3, v13, 0
	v_fma_mixlo_f16 v14, s3, v14, 0
	s_wait_loadcnt 0x0
	v_fma_mixlo_f16 v17, s3, v17, 0
	v_fma_mixlo_f16 v18, s3, v18, 0
	v_lshlrev_b32_e32 v6, 16, v6
	v_and_b32_e32 v5, 0xffff, v5
	v_lshlrev_b32_e32 v8, 16, v8
	v_and_b32_e32 v7, 0xffff, v7
	;; [unrolled: 2-line block ×3, first 2 shown]
	v_fma_mixlo_f16 v15, s3, v15, 0
	v_fma_mixlo_f16 v16, s3, v16, 0
	;; [unrolled: 1-line block ×4, first 2 shown]
	v_lshlrev_b32_e32 v12, 16, v12
	v_and_b32_e32 v11, 0xffff, v11
	v_lshlrev_b32_e32 v14, 16, v14
	v_and_b32_e32 v13, 0xffff, v13
	;; [unrolled: 2-line block ×3, first 2 shown]
	v_or_b32_e32 v5, v6, v5
	v_or3_b32 v6, v8, v7, 0
	v_or_b32_e32 v7, v10, v9
	v_lshlrev_b32_e32 v16, 16, v16
	v_and_b32_e32 v15, 0xffff, v15
	v_lshlrev_b32_e32 v20, 16, v20
	v_and_b32_e32 v19, 0xffff, v19
	v_or3_b32 v8, v12, v11, 0
	v_or_b32_e32 v9, v14, v13
	v_or_b32_e32 v11, v18, v17
	v_or3_b32 v5, 0, 0, v5
	v_or3_b32 v7, 0, 0, v7
	;; [unrolled: 1-line block ×6, first 2 shown]
	ds_store_2addr_b64 v23, v[5:6], v[7:8] offset1:32
	ds_store_2addr_b64 v21, v[9:10], v[11:12] offset1:32
	s_wait_dscnt 0x0
	s_barrier_signal -1
	s_barrier_wait -1
	global_inv scope:SCOPE_SE
	s_cbranch_scc1 .LBB60_4
; %bb.3:
	s_load_b32 s3, s[0:1], 0xd0
	s_mov_b32 s5, 0
	s_wait_kmcnt 0x0
	s_mul_i32 s3, s3, s2
	s_wait_alu 0xfffe
	s_add_co_i32 s4, s3, ttmp9
	s_wait_alu 0xfffe
	s_lshl_b64 s[4:5], s[4:5], 2
	s_wait_alu 0xfffe
	s_add_nc_u64 s[4:5], s[14:15], s[4:5]
	s_load_b32 s28, s[4:5], 0x0
.LBB60_4:
	s_and_b32 s4, ttmp7, 0xffff
	v_lshlrev_b32_e32 v37, 2, v0
	v_mbcnt_lo_u32_b32 v40, -1, 0
	s_wait_alu 0xfffe
	s_lshl_b32 s10, s4, 5
	s_wait_kmcnt 0x0
	s_cmp_lt_i32 s10, s28
	s_cbranch_scc1 .LBB60_7
; %bb.5:
	v_mbcnt_lo_u32_b32 v5, -1, 0
	v_mov_b32_e32 v42, 32
	s_delay_alu instid0(VALU_DEP_2)
	v_xor_b32_e32 v78, 16, v5
	v_xor_b32_e32 v74, 8, v5
	;; [unrolled: 1-line block ×5, first 2 shown]
	s_mov_b32 s3, 0
	s_cbranch_execz .LBB60_8
; %bb.6:
	v_dual_mov_b32 v64, 0 :: v_dual_mov_b32 v79, 0
	v_dual_mov_b32 v36, 0xfeffffff :: v_dual_mov_b32 v35, 0xfeffffff
	;; [unrolled: 1-line block ×6, first 2 shown]
	s_branch .LBB60_20
.LBB60_7:
                                        ; implicit-def: $vgpr5
                                        ; implicit-def: $vgpr42
                                        ; implicit-def: $vgpr78
                                        ; implicit-def: $vgpr74
                                        ; implicit-def: $vgpr75
                                        ; implicit-def: $vgpr76
                                        ; implicit-def: $vgpr77
	s_mov_b32 s3, 0
.LBB60_8:
	s_mul_f32 s5, s27, 0x4f7ffffe
	s_clause 0x1
	s_load_b128 s[24:27], s[0:1], 0x98
	s_load_b64 s[40:41], s[0:1], 0x8c
	s_sub_co_i32 s14, 0, s29
	s_abs_i32 s34, s33
	s_cvt_u32_f32 s11, s5
	s_clause 0x1
	s_load_b32 s5, s[0:1], 0x54
	s_load_b64 s[42:43], s[0:1], 0xa8
	s_mov_b32 s15, s35
	s_mul_i32 s14, s14, s11
	s_ashr_i32 s20, s33, 31
	s_mul_hi_u32 s14, s11, s14
	v_dual_mov_b32 v70, 0 :: v_dual_lshlrev_b32 v41, 2, v37
	s_add_co_i32 s14, s11, s14
	s_ashr_i32 s11, s38, 31
	s_mul_u64 s[14:15], s[34:35], s[14:15]
	s_wait_alu 0xfffe
	s_xor_b32 s11, s20, s11
	s_mul_i32 s20, s15, s29
	s_ashr_i32 s38, s37, 1
	s_wait_alu 0xfffe
	s_sub_co_i32 s34, s34, s20
	s_add_co_i32 s21, s15, 1
	s_wait_kmcnt 0x0
	s_ashr_i32 s14, s26, 2
	s_ashr_i32 s20, s40, 2
	s_sub_co_i32 s35, s34, s29
	s_cmp_ge_u32 s34, s29
	s_wait_alu 0xfffe
	v_mul_lo_u32 v5, s20, v4
	s_cselect_b32 s15, s21, s15
	s_cselect_b32 s21, s35, s34
	s_add_co_i32 s34, s15, 1
	s_wait_alu 0xfffe
	s_cmp_ge_u32 s21, s29
	v_mul_lo_u32 v19, s14, v4
	s_cselect_b32 s15, s34, s15
	s_mul_u64 s[24:25], s[24:25], s[2:3]
	s_mul_u64 s[34:35], s[42:43], s[2:3]
	s_wait_alu 0xfffe
	s_xor_b32 s3, s15, s11
	s_and_b32 s15, s40, -4
	s_wait_alu 0xfffe
	s_sub_co_i32 s3, s3, s11
	s_add_nc_u64 s[6:7], s[6:7], s[24:25]
	s_wait_alu 0xfffe
	s_mul_i32 s36, s3, s41
	s_mul_i32 s24, s3, s27
	s_and_b32 s3, s26, -4
	v_dual_mov_b32 v72, 0xfeffffff :: v_dual_add_nc_u32 v7, s15, v5
	s_wait_alu 0xfffe
	v_dual_mov_b32 v42, 32 :: v_dual_add_nc_u32 v21, s3, v19
	s_delay_alu instid0(VALU_DEP_2) | instskip(NEXT) | instid1(VALU_DEP_2)
	v_dual_mov_b32 v66, 0 :: v_dual_add_nc_u32 v9, s15, v7
	v_dual_mov_b32 v50, 0 :: v_dual_add_nc_u32 v23, s3, v21
	v_ashrrev_i32_e32 v6, 31, v5
	v_ashrrev_i32_e32 v8, 31, v7
	s_delay_alu instid0(VALU_DEP_4) | instskip(NEXT) | instid1(VALU_DEP_4)
	v_dual_mov_b32 v64, 0 :: v_dual_add_nc_u32 v11, s15, v9
	v_add_nc_u32_e32 v27, s3, v23
	v_ashrrev_i32_e32 v10, 31, v9
	v_ashrrev_i32_e32 v20, 31, v19
	s_delay_alu instid0(VALU_DEP_4)
	v_add_nc_u32_e32 v13, s15, v11
	v_ashrrev_i32_e32 v12, 31, v11
	v_add_nc_u32_e32 v29, s3, v27
	v_ashrrev_i32_e32 v22, 31, v21
	v_ashrrev_i32_e32 v24, 31, v23
	v_add_nc_u32_e32 v15, s15, v13
	v_ashrrev_i32_e32 v14, 31, v13
	v_add_nc_u32_e32 v31, s3, v29
	v_ashrrev_i32_e32 v28, 31, v27
	v_ashrrev_i32_e32 v30, 31, v29
	v_add_nc_u32_e32 v17, s15, v15
	v_ashrrev_i32_e32 v16, 31, v15
	v_add_nc_u32_e32 v33, s3, v31
	v_ashrrev_i32_e32 v32, 31, v31
	v_mad_u32_u24 v43, 0x210, v4, v41
	v_add_nc_u32_e32 v25, s15, v17
	v_ashrrev_i32_e32 v18, 31, v17
	v_add_nc_u32_e32 v35, s3, v33
	v_ashrrev_i32_e32 v34, 31, v33
	v_lshl_add_u32 v54, v4, 9, v41
	v_ashrrev_i32_e32 v26, 31, v25
	v_add_nc_u32_e32 v53, 0x4200, v3
	v_ashrrev_i32_e32 v36, 31, v35
	v_mad_co_u64_u32 v[2:3], null, v2, s38, v[0:1]
	v_lshl_add_u32 v55, v4, 7, 0x5200
	v_lshlrev_b64_e32 v[3:4], 2, v[5:6]
	v_lshlrev_b64_e32 v[5:6], 2, v[7:8]
	v_lshlrev_b64_e32 v[7:8], 2, v[9:10]
	v_lshlrev_b64_e32 v[9:10], 2, v[11:12]
	v_lshlrev_b64_e32 v[11:12], 2, v[13:14]
	v_lshlrev_b64_e32 v[13:14], 2, v[15:16]
	v_lshlrev_b64_e32 v[15:16], 2, v[17:18]
	v_lshlrev_b64_e32 v[17:18], 2, v[25:26]
	v_lshlrev_b64_e32 v[19:20], 2, v[19:20]
	v_lshlrev_b64_e32 v[21:22], 2, v[21:22]
	v_lshlrev_b64_e32 v[23:24], 2, v[23:24]
	v_lshlrev_b64_e32 v[25:26], 2, v[27:28]
	v_lshlrev_b64_e32 v[27:28], 2, v[29:30]
	v_lshlrev_b64_e32 v[29:30], 2, v[31:32]
	v_lshlrev_b64_e32 v[31:32], 2, v[33:34]
	v_lshlrev_b64_e32 v[33:34], 2, v[35:36]
	v_dual_mov_b32 v63, 0 :: v_dual_add_nc_u32 v44, 0x840, v43
	v_dual_mov_b32 v68, 0 :: v_dual_add_nc_u32 v45, 0x1080, v43
	;; [unrolled: 1-line block ×3, first 2 shown]
	v_add_nc_u32_e32 v47, 0x2100, v43
	v_dual_mov_b32 v67, 0 :: v_dual_add_nc_u32 v48, 0x2940, v43
	v_add_nc_u32_e32 v49, 0x3180, v43
	v_add_nc_u32_e32 v51, 0x39c0, v43
	v_mul_u32_u24_e32 v52, 0x210, v0
	v_dual_mov_b32 v69, 0 :: v_dual_add_nc_u32 v56, 0x800, v54
	v_add_nc_u32_e32 v57, 0x1000, v54
	v_dual_mov_b32 v71, 0 :: v_dual_add_nc_u32 v58, 0x1800, v54
	v_add_nc_u32_e32 v59, 0x2000, v54
	v_add_nc_u32_e32 v60, 0x2800, v54
	;; [unrolled: 1-line block ×4, first 2 shown]
	v_mov_b32_e32 v73, 0xfeffffff
	s_ashr_i32 s37, s36, 31
	s_add_nc_u64 s[8:9], s[8:9], s[34:35]
	s_ashr_i32 s25, s24, 31
	s_add_nc_u64 s[6:7], s[6:7], s[36:37]
	s_wait_alu 0xfffe
	s_add_nc_u64 s[8:9], s[8:9], s[24:25]
	s_ashr_i32 s21, s20, 31
	s_ashr_i32 s15, s14, 31
	s_add_nc_u64 s[24:25], s[0:1], 0xd0
	s_mov_b32 s3, 0xbbbac73d
.LBB60_9:                               ; =>This Inner Loop Header: Depth=1
	s_ashr_i32 s11, s10, 31
	s_wait_alu 0xfffe
	s_mul_u64 s[26:27], s[10:11], s[20:21]
	s_wait_alu 0xfffe
	s_lshl_b64 s[26:27], s[26:27], 2
	s_wait_alu 0xfffe
	s_add_nc_u64 s[26:27], s[6:7], s[26:27]
	s_wait_alu 0xfffe
	v_add_co_u32 v35, vcc_lo, s26, v3
	s_wait_alu 0xfffd
	v_add_co_ci_u32_e64 v36, null, s27, v4, vcc_lo
	v_add_co_u32 v74, vcc_lo, s26, v5
	s_wait_alu 0xfffd
	v_add_co_ci_u32_e64 v75, null, s27, v6, vcc_lo
	;; [unrolled: 3-line block ×4, first 2 shown]
	s_clause 0x1
	global_load_b128 v[74:77], v[35:36], off
	global_load_b128 v[78:81], v[78:79], off
	v_add_co_u32 v35, vcc_lo, s26, v7
	s_wait_alu 0xfffd
	v_add_co_ci_u32_e64 v36, null, s27, v8, vcc_lo
	v_add_co_u32 v82, vcc_lo, s26, v9
	s_wait_alu 0xfffd
	v_add_co_ci_u32_e64 v83, null, s27, v10, vcc_lo
	;; [unrolled: 3-line block ×12, first 2 shown]
	s_clause 0x5
	global_load_b128 v[82:85], v[35:36], off
	global_load_b128 v[86:89], v[86:87], off
	global_load_b128 v[90:93], v[90:91], off
	global_load_b128 v[94:97], v[94:95], off
	global_load_b128 v[98:101], v[98:99], off
	global_load_b128 v[102:105], v[102:103], off
	v_dual_mov_b32 v36, 0 :: v_dual_mov_b32 v35, 0
	s_wait_loadcnt 0x7
	ds_store_b128 v43, v[74:77]
	s_wait_loadcnt 0x6
	ds_store_b128 v44, v[78:81]
	s_wait_loadcnt 0x5
	ds_store_b128 v45, v[82:85]
	s_wait_loadcnt 0x4
	ds_store_b128 v46, v[86:89]
	s_wait_loadcnt 0x3
	ds_store_b128 v47, v[90:93]
	s_wait_loadcnt 0x2
	ds_store_b128 v48, v[94:97]
	s_wait_loadcnt 0x1
	ds_store_b128 v49, v[98:101]
	s_wait_loadcnt 0x0
	ds_store_b128 v51, v[102:105]
	s_wait_dscnt 0x0
	s_barrier_signal -1
	s_barrier_wait -1
	global_inv scope:SCOPE_SE
	ds_load_b128 v[74:77], v52
	ds_load_b128 v[78:81], v53
	ds_load_b128 v[82:85], v53 offset:512
	s_wait_dscnt 0x1
	;;#ASMSTART
	v_dot2_f32_f16 v36, v74, v78, v36
	;;#ASMEND
	;;#ASMSTART
	v_dot2_f32_f16 v36, v75, v79, v36
	;;#ASMEND
	;;#ASMSTART
	v_dot2_f32_f16 v36, v76, v80, v36
	;;#ASMEND
	;;#ASMSTART
	v_dot2_f32_f16 v36, v77, v81, v36
	;;#ASMEND
	s_wait_dscnt 0x0
	;;#ASMSTART
	v_dot2_f32_f16 v35, v74, v82, v35
	;;#ASMEND
	;;#ASMSTART
	v_dot2_f32_f16 v35, v75, v83, v35
	;;#ASMEND
	;;#ASMSTART
	v_dot2_f32_f16 v35, v76, v84, v35
	;;#ASMEND
	;;#ASMSTART
	v_dot2_f32_f16 v35, v77, v85, v35
	;;#ASMEND
	ds_load_b128 v[74:77], v52 offset:16
	ds_load_b128 v[78:81], v53 offset:16
	ds_load_b128 v[82:85], v53 offset:528
	s_wait_dscnt 0x1
	;;#ASMSTART
	v_dot2_f32_f16 v36, v74, v78, v36
	;;#ASMEND
	;;#ASMSTART
	v_dot2_f32_f16 v36, v75, v79, v36
	;;#ASMEND
	;;#ASMSTART
	v_dot2_f32_f16 v36, v76, v80, v36
	;;#ASMEND
	;;#ASMSTART
	v_dot2_f32_f16 v36, v77, v81, v36
	;;#ASMEND
	s_wait_dscnt 0x0
	;;#ASMSTART
	v_dot2_f32_f16 v35, v74, v82, v35
	;;#ASMEND
	;;#ASMSTART
	v_dot2_f32_f16 v35, v75, v83, v35
	;;#ASMEND
	;;#ASMSTART
	v_dot2_f32_f16 v35, v76, v84, v35
	;;#ASMEND
	;;#ASMSTART
	v_dot2_f32_f16 v35, v77, v85, v35
	;;#ASMEND
	ds_load_b128 v[74:77], v52 offset:32
	ds_load_b128 v[78:81], v53 offset:32
	;; [unrolled: 29-line block ×31, first 2 shown]
	v_add_nc_u32_e32 v86, s10, v2
	ds_load_b128 v[82:85], v53 offset:1008
	s_wait_dscnt 0x1
	;;#ASMSTART
	v_dot2_f32_f16 v36, v74, v78, v36
	;;#ASMEND
	v_ashrrev_i32_e32 v87, 31, v86
	;;#ASMSTART
	v_dot2_f32_f16 v36, v75, v79, v36
	;;#ASMEND
	;;#ASMSTART
	v_dot2_f32_f16 v36, v76, v80, v36
	;;#ASMEND
	;; [unrolled: 3-line block ×3, first 2 shown]
	s_wait_dscnt 0x0
	;;#ASMSTART
	v_dot2_f32_f16 v35, v74, v82, v35
	;;#ASMEND
	v_lshlrev_b64_e32 v[86:87], 1, v[86:87]
	;;#ASMSTART
	v_dot2_f32_f16 v35, v75, v83, v35
	;;#ASMEND
	;;#ASMSTART
	v_dot2_f32_f16 v35, v76, v84, v35
	;;#ASMEND
	;; [unrolled: 3-line block ×3, first 2 shown]
	v_cmp_ngt_f32_e64 s26, 0x3f200000, |v36|
                                        ; implicit-def: $vgpr74
	s_delay_alu instid0(VALU_DEP_2)
	v_add_co_u32 v86, vcc_lo, s30, v86
	s_wait_alu 0xfffd
	v_add_co_ci_u32_e64 v87, null, s31, v87, vcc_lo
	global_load_u16 v79, v[86:87], off
	s_and_saveexec_b32 s27, s26
	s_wait_alu 0xfffe
	s_xor_b32 s26, exec_lo, s27
	s_cbranch_execz .LBB60_11
; %bb.10:                               ;   in Loop: Header=BB60_9 Depth=1
	v_add_f32_e64 v74, |v36|, |v36|
	s_delay_alu instid0(VALU_DEP_1) | instskip(SKIP_1) | instid1(VALU_DEP_2)
	v_mul_f32_e32 v75, 0x3fb8aa3b, v74
	v_cmp_ngt_f32_e32 vcc_lo, 0xc2ce8ed0, v74
	v_rndne_f32_e32 v76, v75
	v_fma_f32 v77, 0x3fb8aa3b, v74, -v75
	s_delay_alu instid0(VALU_DEP_2) | instskip(NEXT) | instid1(VALU_DEP_2)
	v_sub_f32_e32 v75, v75, v76
	v_fmac_f32_e32 v77, 0x32a5705f, v74
	v_cvt_i32_f32_e32 v76, v76
	s_delay_alu instid0(VALU_DEP_2) | instskip(NEXT) | instid1(VALU_DEP_1)
	v_add_f32_e32 v75, v75, v77
	v_exp_f32_e32 v75, v75
	s_delay_alu instid0(TRANS32_DEP_1) | instskip(SKIP_1) | instid1(VALU_DEP_1)
	v_ldexp_f32 v75, v75, v76
	s_wait_alu 0xfffd
	v_cndmask_b32_e32 v75, 0, v75, vcc_lo
	v_cmp_nlt_f32_e32 vcc_lo, 0x42b17218, v74
	s_wait_alu 0xfffd
	s_delay_alu instid0(VALU_DEP_2) | instskip(NEXT) | instid1(VALU_DEP_1)
	v_cndmask_b32_e32 v74, 0x7f800000, v75, vcc_lo
	v_add_f32_e32 v74, 1.0, v74
	s_delay_alu instid0(VALU_DEP_1) | instskip(NEXT) | instid1(TRANS32_DEP_1)
	v_rcp_f32_e32 v74, v74
	v_fma_f32 v74, v74, -2.0, 1.0
.LBB60_11:                              ;   in Loop: Header=BB60_9 Depth=1
	s_wait_alu 0xfffe
	s_and_not1_saveexec_b32 s26, s26
	s_cbranch_execz .LBB60_13
; %bb.12:                               ;   in Loop: Header=BB60_9 Depth=1
	v_mul_f32_e32 v74, v36, v36
	s_delay_alu instid0(VALU_DEP_1) | instskip(NEXT) | instid1(VALU_DEP_1)
	v_fmaak_f32 v75, s3, v74, 0x3ca908c9
	v_fmaak_f32 v75, v74, v75, 0xbd5c1c4e
	s_delay_alu instid0(VALU_DEP_1) | instskip(NEXT) | instid1(VALU_DEP_1)
	v_fmaak_f32 v75, v74, v75, 0x3e088382
	v_fmaak_f32 v75, v74, v75, 0xbeaaaa99
	s_delay_alu instid0(VALU_DEP_1) | instskip(NEXT) | instid1(VALU_DEP_1)
	v_mul_f32_e64 v75, |v36|, v75
	v_fma_f32 v74, v74, v75, |v36|
.LBB60_13:                              ;   in Loop: Header=BB60_9 Depth=1
	s_wait_alu 0xfffe
	s_or_b32 exec_lo, exec_lo, s26
	v_xor_b32_e32 v78, 16, v40
	s_delay_alu instid0(VALU_DEP_2) | instskip(SKIP_1) | instid1(VALU_DEP_3)
	v_bfi_b32 v36, 0x7fffffff, v74, v36
	v_cmp_ngt_f32_e64 s26, 0x3f200000, |v35|
	v_cmp_gt_i32_e32 vcc_lo, 32, v78
	s_wait_loadcnt 0x0
	s_delay_alu instid0(VALU_DEP_3) | instskip(SKIP_1) | instid1(VALU_DEP_1)
	v_fma_mix_f32 v36, s5, v36, v79 op_sel_hi:[0,0,1]
	s_wait_alu 0xfffd
	v_dual_cndmask_b32 v74, v40, v78 :: v_dual_add_f32 v75, 0x40051340, v36
	s_delay_alu instid0(VALU_DEP_1) | instskip(SKIP_1) | instid1(VALU_DEP_1)
	v_lshlrev_b32_e32 v80, 2, v74
	v_xor_b32_e32 v74, 8, v40
	v_cmp_gt_i32_e32 vcc_lo, 32, v74
	s_wait_alu 0xfffd
	v_cndmask_b32_e32 v77, v40, v74, vcc_lo
	s_delay_alu instid0(VALU_DEP_1) | instskip(NEXT) | instid1(VALU_DEP_1)
	v_dual_max_num_f32 v76, v72, v72 :: v_dual_lshlrev_b32 v81, 2, v77
	v_max_num_f32_e32 v75, v76, v75
	ds_bpermute_b32 v76, v80, v75
	s_wait_dscnt 0x0
	v_max_num_f32_e32 v76, v76, v76
	s_delay_alu instid0(VALU_DEP_1)
	v_max_num_f32_e32 v76, v75, v76
	v_xor_b32_e32 v75, 4, v40
	ds_bpermute_b32 v77, v81, v76
	v_cmp_gt_i32_e32 vcc_lo, 32, v75
	s_wait_dscnt 0x0
	s_wait_alu 0xfffd
	v_dual_cndmask_b32 v82, v40, v75 :: v_dual_max_num_f32 v77, v77, v77
	s_delay_alu instid0(VALU_DEP_1)
	v_dual_max_num_f32 v77, v76, v77 :: v_dual_lshlrev_b32 v82, 2, v82
	v_xor_b32_e32 v76, 2, v40
	ds_bpermute_b32 v83, v82, v77
	v_cmp_gt_i32_e32 vcc_lo, 32, v76
	s_wait_dscnt 0x0
	s_wait_alu 0xfffd
	v_dual_cndmask_b32 v84, v40, v76 :: v_dual_max_num_f32 v85, v83, v83
	s_delay_alu instid0(VALU_DEP_1)
	v_dual_max_num_f32 v84, v77, v85 :: v_dual_lshlrev_b32 v83, 2, v84
	v_xor_b32_e32 v77, 1, v40
	ds_bpermute_b32 v85, v83, v84
	v_cmp_gt_i32_e32 vcc_lo, 32, v77
	s_wait_alu 0xfffd
	v_cndmask_b32_e32 v86, v40, v77, vcc_lo
	s_wait_dscnt 0x0
	v_max_num_f32_e32 v87, v85, v85
	s_delay_alu instid0(VALU_DEP_1)
	v_dual_max_num_f32 v84, v84, v87 :: v_dual_lshlrev_b32 v85, 2, v86
                                        ; implicit-def: $vgpr87
	ds_bpermute_b32 v86, v85, v84
	s_and_saveexec_b32 s27, s26
	s_wait_alu 0xfffe
	s_xor_b32 s26, exec_lo, s27
	s_cbranch_execz .LBB60_15
; %bb.14:                               ;   in Loop: Header=BB60_9 Depth=1
	v_add_f32_e64 v87, |v35|, |v35|
	s_delay_alu instid0(VALU_DEP_1) | instskip(SKIP_1) | instid1(VALU_DEP_2)
	v_mul_f32_e32 v88, 0x3fb8aa3b, v87
	v_cmp_ngt_f32_e32 vcc_lo, 0xc2ce8ed0, v87
	v_rndne_f32_e32 v89, v88
	v_fma_f32 v90, 0x3fb8aa3b, v87, -v88
	s_delay_alu instid0(VALU_DEP_2) | instskip(NEXT) | instid1(VALU_DEP_2)
	v_sub_f32_e32 v88, v88, v89
	v_fmac_f32_e32 v90, 0x32a5705f, v87
	v_cvt_i32_f32_e32 v89, v89
	s_delay_alu instid0(VALU_DEP_2) | instskip(NEXT) | instid1(VALU_DEP_1)
	v_add_f32_e32 v88, v88, v90
	v_exp_f32_e32 v88, v88
	s_delay_alu instid0(TRANS32_DEP_1) | instskip(SKIP_1) | instid1(VALU_DEP_1)
	v_ldexp_f32 v88, v88, v89
	s_wait_alu 0xfffd
	v_cndmask_b32_e32 v88, 0, v88, vcc_lo
	v_cmp_nlt_f32_e32 vcc_lo, 0x42b17218, v87
	s_wait_alu 0xfffd
	s_delay_alu instid0(VALU_DEP_2) | instskip(NEXT) | instid1(VALU_DEP_1)
	v_cndmask_b32_e32 v87, 0x7f800000, v88, vcc_lo
	v_add_f32_e32 v87, 1.0, v87
	s_delay_alu instid0(VALU_DEP_1) | instskip(NEXT) | instid1(TRANS32_DEP_1)
	v_rcp_f32_e32 v87, v87
	v_fma_f32 v87, v87, -2.0, 1.0
.LBB60_15:                              ;   in Loop: Header=BB60_9 Depth=1
	s_wait_alu 0xfffe
	s_and_not1_saveexec_b32 s26, s26
	s_cbranch_execz .LBB60_17
; %bb.16:                               ;   in Loop: Header=BB60_9 Depth=1
	v_mul_f32_e32 v87, v35, v35
	s_delay_alu instid0(VALU_DEP_1) | instskip(NEXT) | instid1(VALU_DEP_1)
	v_fmaak_f32 v88, s3, v87, 0x3ca908c9
	v_fmaak_f32 v88, v87, v88, 0xbd5c1c4e
	s_delay_alu instid0(VALU_DEP_1) | instskip(NEXT) | instid1(VALU_DEP_1)
	v_fmaak_f32 v88, v87, v88, 0x3e088382
	v_fmaak_f32 v88, v87, v88, 0xbeaaaa99
	s_delay_alu instid0(VALU_DEP_1) | instskip(NEXT) | instid1(VALU_DEP_1)
	v_mul_f32_e64 v88, |v35|, v88
	v_fma_f32 v87, v87, v88, |v35|
.LBB60_17:                              ;   in Loop: Header=BB60_9 Depth=1
	s_wait_alu 0xfffe
	s_or_b32 exec_lo, exec_lo, s26
	s_mul_u64 s[26:27], s[10:11], s[14:15]
	s_wait_dscnt 0x0
	s_wait_alu 0xfffe
	s_lshl_b64 s[26:27], s[26:27], 2
	s_barrier_signal -1
	s_wait_alu 0xfffe
	s_add_nc_u64 s[26:27], s[8:9], s[26:27]
	s_barrier_wait -1
	s_wait_alu 0xfffe
	v_add_co_u32 v88, vcc_lo, s26, v19
	s_wait_alu 0xfffd
	v_add_co_ci_u32_e64 v89, null, s27, v20, vcc_lo
	v_add_co_u32 v90, vcc_lo, s26, v21
	s_wait_alu 0xfffd
	v_add_co_ci_u32_e64 v91, null, s27, v22, vcc_lo
	;; [unrolled: 3-line block ×16, first 2 shown]
	global_inv scope:SCOPE_SE
	s_clause 0x7
	global_load_b128 v[88:91], v[88:89], off
	global_load_b128 v[92:95], v[92:93], off
	global_load_b128 v[96:99], v[96:97], off
	global_load_b128 v[100:103], v[100:101], off
	global_load_b128 v[104:107], v[104:105], off
	global_load_b128 v[108:111], v[108:109], off
	global_load_b128 v[112:115], v[112:113], off
	global_load_b128 v[116:119], v[116:117], off
	v_cvt_f32_f16_e32 v79, v79
	v_bfi_b32 v35, 0x7fffffff, v87, v35
	v_add_nc_u32_e32 v133, 0x1000, v39
	v_add_nc_u32_e32 v149, 0x1800, v39
	;; [unrolled: 1-line block ×4, first 2 shown]
	v_fmac_f32_e32 v79, s5, v35
	v_max_num_f32_e32 v35, v73, v73
	s_delay_alu instid0(VALU_DEP_2) | instskip(NEXT) | instid1(VALU_DEP_1)
	v_add_f32_e32 v87, 0x40051340, v79
	v_max_num_f32_e32 v35, v35, v87
	ds_bpermute_b32 v80, v80, v35
	s_wait_dscnt 0x0
	v_max_num_f32_e32 v80, v80, v80
	s_delay_alu instid0(VALU_DEP_1) | instskip(SKIP_3) | instid1(VALU_DEP_1)
	v_max_num_f32_e32 v35, v35, v80
	ds_bpermute_b32 v80, v81, v35
	s_wait_dscnt 0x0
	v_max_num_f32_e32 v80, v80, v80
	v_max_num_f32_e32 v35, v35, v80
	ds_bpermute_b32 v80, v82, v35
	v_max_num_f32_e32 v82, v84, v84
	v_add_nc_u32_e32 v84, v55, v37
	s_wait_dscnt 0x0
	v_max_num_f32_e32 v80, v80, v80
	s_delay_alu instid0(VALU_DEP_1) | instskip(SKIP_3) | instid1(VALU_DEP_1)
	v_max_num_f32_e32 v35, v35, v80
	ds_bpermute_b32 v80, v83, v35
	s_wait_dscnt 0x0
	v_max_num_f32_e32 v80, v80, v80
	v_dual_max_num_f32 v80, v35, v80 :: v_dual_max_num_f32 v35, v86, v86
	ds_bpermute_b32 v81, v85, v80
	v_max_num_f32_e32 v35, v82, v35
	s_delay_alu instid0(VALU_DEP_1) | instskip(SKIP_2) | instid1(VALU_DEP_2)
	v_sub_f32_e32 v82, v36, v35
	v_sub_f32_e32 v72, v72, v35
	s_wait_dscnt 0x0
	v_dual_max_num_f32 v36, v81, v81 :: v_dual_mul_f32 v81, 0x3fb8aa3b, v82
	s_delay_alu instid0(VALU_DEP_2) | instskip(SKIP_1) | instid1(VALU_DEP_3)
	v_mul_f32_e32 v83, 0x3fb8aa3b, v72
	v_cmp_ngt_f32_e32 vcc_lo, 0xc2ce8ed0, v72
	v_max_num_f32_e32 v36, v80, v36
	s_delay_alu instid0(VALU_DEP_4)
	v_fma_f32 v86, 0x3fb8aa3b, v82, -v81
	v_rndne_f32_e32 v87, v81
	v_fma_f32 v85, 0x3fb8aa3b, v72, -v83
	v_rndne_f32_e32 v80, v83
	v_sub_f32_e32 v79, v79, v36
	v_dual_sub_f32 v73, v73, v36 :: v_dual_fmac_f32 v86, 0x32a5705f, v82
	v_sub_f32_e32 v81, v81, v87
	s_delay_alu instid0(VALU_DEP_3) | instskip(NEXT) | instid1(VALU_DEP_3)
	v_mul_f32_e32 v122, 0x3fb8aa3b, v79
	v_mul_f32_e32 v120, 0x3fb8aa3b, v73
	s_delay_alu instid0(VALU_DEP_2) | instskip(SKIP_2) | instid1(VALU_DEP_4)
	v_fma_f32 v123, 0x3fb8aa3b, v79, -v122
	v_rndne_f32_e32 v124, v122
	v_add_f32_e32 v81, v81, v86
	v_rndne_f32_e32 v86, v120
	v_fmac_f32_e32 v85, 0x32a5705f, v72
	s_delay_alu instid0(VALU_DEP_4) | instskip(SKIP_3) | instid1(VALU_DEP_2)
	v_dual_fmac_f32 v123, 0x32a5705f, v79 :: v_dual_sub_f32 v122, v122, v124
	v_sub_f32_e32 v83, v83, v80
	v_cvt_i32_f32_e32 v80, v80
	v_exp_f32_e32 v81, v81
	v_add_f32_e32 v83, v83, v85
	v_fma_f32 v85, 0x3fb8aa3b, v73, -v120
	v_sub_f32_e32 v120, v120, v86
	v_cvt_i32_f32_e32 v86, v86
	s_delay_alu instid0(VALU_DEP_4) | instskip(NEXT) | instid1(VALU_DEP_3)
	v_exp_f32_e32 v83, v83
	v_fmac_f32_e32 v85, 0x32a5705f, v73
	s_delay_alu instid0(TRANS32_DEP_1) | instskip(SKIP_1) | instid1(VALU_DEP_1)
	v_ldexp_f32 v80, v83, v80
	s_wait_alu 0xfffd
	v_cndmask_b32_e32 v80, 0, v80, vcc_lo
	v_cmp_nlt_f32_e32 vcc_lo, 0x42b17218, v72
	v_dual_add_f32 v85, v120, v85 :: v_dual_add_f32 v120, v122, v123
	s_wait_alu 0xfffd
	s_delay_alu instid0(VALU_DEP_3) | instskip(NEXT) | instid1(VALU_DEP_2)
	v_cndmask_b32_e32 v72, 0x7f800000, v80, vcc_lo
	v_exp_f32_e32 v83, v85
	v_cvt_i32_f32_e32 v85, v87
	v_exp_f32_e32 v87, v120
	v_cmp_ngt_f32_e32 vcc_lo, 0xc2ce8ed0, v82
	s_delay_alu instid0(VALU_DEP_2) | instskip(SKIP_1) | instid1(TRANS32_DEP_2)
	v_ldexp_f32 v81, v81, v85
	v_cvt_i32_f32_e32 v85, v124
	v_ldexp_f32 v80, v83, v86
	s_wait_alu 0xfffd
	s_delay_alu instid0(VALU_DEP_3) | instskip(SKIP_1) | instid1(TRANS32_DEP_1)
	v_cndmask_b32_e32 v81, 0, v81, vcc_lo
	v_cmp_ngt_f32_e32 vcc_lo, 0xc2ce8ed0, v73
	v_ldexp_f32 v83, v87, v85
	v_cvt_f16_f32_e32 v85, v72
	s_wait_alu 0xfffd
	v_cndmask_b32_e32 v80, 0, v80, vcc_lo
	v_cmp_ngt_f32_e32 vcc_lo, 0xc2ce8ed0, v79
	s_wait_alu 0xfffd
	v_cndmask_b32_e32 v83, 0, v83, vcc_lo
	v_cmp_nlt_f32_e32 vcc_lo, 0x42b17218, v73
	s_wait_alu 0xfffd
	v_cndmask_b32_e32 v73, 0x7f800000, v80, vcc_lo
	v_cmp_nlt_f32_e32 vcc_lo, 0x42b17218, v82
	s_delay_alu instid0(VALU_DEP_2) | instskip(NEXT) | instid1(VALU_DEP_1)
	v_cvt_f16_f32_e32 v82, v73
	v_and_b32_e32 v82, 0xffff, v82
	s_wait_alu 0xfffd
	v_cndmask_b32_e32 v80, 0x7f800000, v81, vcc_lo
	v_cmp_nlt_f32_e32 vcc_lo, 0x42b17218, v79
	v_and_b32_e32 v81, 0xffff, v85
	v_mul_u32_u24_e32 v188, 0x10001, v82
	s_wait_alu 0xfffd
	v_cndmask_b32_e32 v79, 0x7f800000, v83, vcc_lo
	v_cvt_f16_f32_e32 v83, v80
	v_mul_u32_u24_e32 v185, 0x10001, v81
	v_add_nc_u32_e32 v186, 0x2800, v39
	v_fmac_f32_e32 v80, v70, v72
	v_cvt_f16_f32_e32 v81, v79
	v_fmac_f32_e32 v79, v71, v73
	v_pk_mul_f16 v187, v69, v185
	v_pk_mul_f16 v189, v67, v185
	;; [unrolled: 1-line block ×3, first 2 shown]
	v_pack_b32_f16 v69, v83, v81
	v_pk_mul_f16 v73, v66, v188
	v_pk_mul_f16 v191, v65, v188
	;; [unrolled: 1-line block ×3, first 2 shown]
	ds_store_b32 v84, v69
	s_wait_loadcnt 0x7
	ds_store_b128 v54, v[88:91]
	s_wait_loadcnt 0x6
	ds_store_b128 v56, v[92:95]
	;; [unrolled: 2-line block ×8, first 2 shown]
	s_wait_dscnt 0x0
	s_barrier_signal -1
	s_barrier_wait -1
	global_inv scope:SCOPE_SE
	ds_load_2addr_b64 v[65:68], v39 offset1:32
	ds_load_b128 v[69:72], v55
	ds_load_b128 v[81:84], v55 offset:16
	ds_load_b128 v[85:88], v55 offset:32
	;; [unrolled: 1-line block ×3, first 2 shown]
	ds_load_2addr_b64 v[93:96], v39 offset0:64 offset1:96
	ds_load_2addr_b64 v[97:100], v39 offset0:128 offset1:160
	ds_load_2addr_b64 v[101:104], v39 offset0:192 offset1:224
	ds_load_2addr_b64 v[105:108], v121 offset1:32
	ds_load_2addr_b64 v[109:112], v121 offset0:64 offset1:96
	ds_load_2addr_b64 v[113:116], v121 offset0:128 offset1:160
	ds_load_2addr_b64 v[117:120], v121 offset0:192 offset1:224
	ds_load_2addr_b64 v[121:124], v133 offset1:32
	;; [unrolled: 4-line block ×5, first 2 shown]
	ds_load_b128 v[173:176], v55 offset:64
	ds_load_b128 v[177:180], v55 offset:80
	ds_load_2addr_b64 v[181:184], v186 offset0:64 offset1:96
	s_wait_dscnt 0x1a
	v_lshrrev_b32_e32 v192, 16, v69
	v_and_b32_e32 v69, 0xffff, v69
	v_lshrrev_b32_e32 v193, 16, v70
	v_and_b32_e32 v70, 0xffff, v70
	v_lshrrev_b32_e32 v194, 16, v71
	v_mul_u32_u24_e32 v192, 0x10001, v192
	v_mul_u32_u24_e32 v69, 0x10001, v69
	v_and_b32_e32 v71, 0xffff, v71
	v_mul_u32_u24_e32 v70, 0x10001, v70
	v_mul_u32_u24_e32 v193, 0x10001, v193
	v_lshrrev_b32_e32 v195, 16, v72
	v_pk_mul_f16 v214, v65, v69
	v_pk_mul_f16 v65, v65, v192
	v_pk_fma_f16 v187, v66, v69, v187
	v_pk_fma_f16 v66, v66, v192, v73
	v_and_b32_e32 v72, 0xffff, v72
	v_pk_fma_f16 v64, v64, v185, v214
	v_mul_u32_u24_e32 v71, 0x10001, v71
	v_mul_u32_u24_e32 v194, 0x10001, v194
	v_pk_fma_f16 v63, v68, v192, v63
	v_pk_fma_f16 v50, v50, v188, v65
	s_wait_dscnt 0x16
	v_pk_fma_f16 v65, v94, v70, v187
	v_pk_fma_f16 v66, v94, v193, v66
	;; [unrolled: 1-line block ×3, first 2 shown]
	v_lshrrev_b32_e32 v196, 16, v81
	v_and_b32_e32 v81, 0xffff, v81
	v_mul_u32_u24_e32 v72, 0x10001, v72
	v_mul_u32_u24_e32 v195, 0x10001, v195
	v_pk_fma_f16 v73, v67, v69, v189
	v_pk_fma_f16 v67, v67, v192, v191
	v_pk_fma_f16 v69, v68, v69, v190
	v_pk_fma_f16 v63, v96, v193, v63
	s_wait_dscnt 0x15
	v_pk_fma_f16 v65, v98, v71, v65
	v_pk_fma_f16 v66, v98, v194, v66
	v_pk_fma_f16 v64, v97, v71, v64
	v_lshrrev_b32_e32 v197, 16, v82
	v_and_b32_e32 v82, 0xffff, v82
	v_mul_u32_u24_e32 v81, 0x10001, v81
	v_mul_u32_u24_e32 v196, 0x10001, v196
	v_pk_fma_f16 v68, v95, v70, v73
	v_pk_fma_f16 v67, v95, v193, v67
	v_pk_fma_f16 v69, v96, v70, v69
	v_pk_fma_f16 v50, v93, v193, v50
	v_pk_fma_f16 v63, v100, v194, v63
	s_wait_dscnt 0x14
	v_pk_fma_f16 v65, v102, v72, v65
	v_pk_fma_f16 v66, v102, v195, v66
	v_pk_fma_f16 v64, v101, v72, v64
	v_lshrrev_b32_e32 v198, 16, v83
	v_and_b32_e32 v83, 0xffff, v83
	v_mul_u32_u24_e32 v82, 0x10001, v82
	v_mul_u32_u24_e32 v197, 0x10001, v197
	v_pk_fma_f16 v68, v99, v71, v68
	;; [unrolled: 13-line block ×11, first 2 shown]
	v_pk_fma_f16 v67, v135, v203, v67
	v_pk_fma_f16 v69, v136, v88, v69
	;; [unrolled: 1-line block ×4, first 2 shown]
	s_wait_dscnt 0xa
	v_pk_fma_f16 v65, v142, v90, v65
	v_pk_fma_f16 v66, v142, v205, v66
	;; [unrolled: 1-line block ×3, first 2 shown]
	s_wait_dscnt 0x2
	v_lshrrev_b32_e32 v208, 16, v173
	v_and_b32_e32 v173, 0xffff, v173
	v_mul_u32_u24_e32 v92, 0x10001, v92
	v_mul_u32_u24_e32 v207, 0x10001, v207
	v_pk_fma_f16 v68, v139, v89, v68
	v_pk_fma_f16 v67, v139, v204, v67
	v_pk_fma_f16 v69, v140, v89, v69
	v_pk_fma_f16 v50, v137, v204, v50
	v_pk_fma_f16 v63, v144, v205, v63
	v_pk_fma_f16 v65, v146, v91, v65
	v_pk_fma_f16 v66, v146, v206, v66
	v_pk_fma_f16 v64, v145, v91, v64
	v_lshrrev_b32_e32 v209, 16, v174
	v_and_b32_e32 v174, 0xffff, v174
	v_mul_u32_u24_e32 v173, 0x10001, v173
	v_mul_u32_u24_e32 v208, 0x10001, v208
	v_pk_fma_f16 v68, v143, v90, v68
	v_pk_fma_f16 v67, v143, v205, v67
	v_pk_fma_f16 v69, v144, v90, v69
	v_pk_fma_f16 v50, v141, v205, v50
	v_pk_fma_f16 v63, v148, v206, v63
	v_pk_fma_f16 v65, v150, v92, v65
	v_pk_fma_f16 v66, v150, v207, v66
	v_pk_fma_f16 v64, v149, v92, v64
	;; [unrolled: 12-line block ×4, first 2 shown]
	s_wait_dscnt 0x1
	v_lshrrev_b32_e32 v212, 16, v177
	v_and_b32_e32 v177, 0xffff, v177
	v_mul_u32_u24_e32 v176, 0x10001, v176
	v_mul_u32_u24_e32 v211, 0x10001, v211
	v_pk_fma_f16 v68, v155, v173, v68
	v_pk_fma_f16 v67, v155, v208, v67
	;; [unrolled: 1-line block ×8, first 2 shown]
	v_mul_u32_u24_e32 v177, 0x10001, v177
	v_mul_u32_u24_e32 v212, 0x10001, v212
	v_pk_fma_f16 v68, v159, v174, v68
	v_pk_fma_f16 v67, v159, v209, v67
	;; [unrolled: 1-line block ×16, first 2 shown]
	ds_load_2addr_b64 v[63:66], v186 offset0:128 offset1:160
	v_lshrrev_b32_e32 v213, 16, v178
	v_and_b32_e32 v178, 0xffff, v178
	v_pk_fma_f16 v68, v167, v176, v68
	v_pk_fma_f16 v67, v167, v211, v67
	;; [unrolled: 1-line block ×4, first 2 shown]
	v_mul_u32_u24_e32 v81, 0x10001, v178
	v_pk_fma_f16 v68, v171, v177, v68
	v_mul_u32_u24_e32 v85, 0x10001, v213
	v_pk_fma_f16 v67, v171, v212, v67
	v_pk_fma_f16 v50, v169, v212, v50
	;; [unrolled: 1-line block ×3, first 2 shown]
	v_and_b32_e32 v83, 0xffff, v179
	v_lshrrev_b32_e32 v84, 16, v179
	v_pk_fma_f16 v86, v172, v212, v70
	s_wait_dscnt 0x1
	v_pk_fma_f16 v73, v181, v81, v73
	v_pk_fma_f16 v50, v181, v85, v50
	v_pk_fma_f16 v71, v182, v81, v71
	v_pk_fma_f16 v87, v183, v81, v68
	v_pk_fma_f16 v89, v183, v85, v67
	ds_load_2addr_b64 v[67:70], v186 offset0:192 offset1:224
	v_mul_u32_u24_e32 v90, 0x10001, v83
	v_mul_u32_u24_e32 v91, 0x10001, v84
	v_pk_fma_f16 v92, v184, v81, v82
	ds_load_b128 v[81:84], v55 offset:96
	v_pk_fma_f16 v72, v182, v85, v72
	s_wait_dscnt 0x2
	v_pk_fma_f16 v73, v63, v90, v73
	v_pk_fma_f16 v50, v63, v91, v50
	;; [unrolled: 1-line block ×3, first 2 shown]
	v_add_nc_u32_e32 v71, 0x3000, v39
	v_pk_fma_f16 v93, v184, v85, v86
	v_and_b32_e32 v94, 0xffff, v180
	v_lshrrev_b32_e32 v95, 16, v180
	v_pk_fma_f16 v96, v65, v90, v87
	ds_load_2addr_b64 v[85:88], v71 offset1:32
	v_pk_fma_f16 v72, v64, v91, v72
	v_mul_u32_u24_e32 v94, 0x10001, v94
	v_mul_u32_u24_e32 v95, 0x10001, v95
	v_pk_fma_f16 v97, v65, v91, v89
	v_pk_fma_f16 v98, v66, v90, v92
	;; [unrolled: 1-line block ×3, first 2 shown]
	s_wait_dscnt 0x2
	v_pk_fma_f16 v73, v67, v94, v73
	v_pk_fma_f16 v50, v67, v95, v50
	v_pk_fma_f16 v67, v68, v94, v63
	ds_load_b128 v[63:66], v55 offset:112
	s_wait_dscnt 0x2
	v_and_b32_e32 v99, 0xffff, v81
	v_lshrrev_b32_e32 v81, 16, v81
	ds_load_2addr_b64 v[89:92], v71 offset0:64 offset1:96
	v_pk_fma_f16 v68, v68, v95, v72
	v_pk_fma_f16 v72, v69, v94, v96
	v_mul_u32_u24_e32 v96, 0x10001, v99
	v_mul_u32_u24_e32 v81, 0x10001, v81
	v_pk_fma_f16 v97, v69, v95, v97
	v_pk_fma_f16 v94, v70, v94, v98
	;; [unrolled: 1-line block ×3, first 2 shown]
	s_wait_dscnt 0x2
	v_pk_fma_f16 v73, v85, v96, v73
	v_pk_fma_f16 v50, v85, v81, v50
	;; [unrolled: 1-line block ×3, first 2 shown]
	v_and_b32_e32 v95, 0xffff, v82
	v_lshrrev_b32_e32 v82, 16, v82
	v_pk_fma_f16 v86, v86, v81, v68
	ds_load_2addr_b64 v[67:70], v71 offset0:128 offset1:160
	v_pk_fma_f16 v72, v87, v96, v72
	v_mul_u32_u24_e32 v95, 0x10001, v95
	v_mul_u32_u24_e32 v82, 0x10001, v82
	v_pk_fma_f16 v97, v87, v81, v97
	v_pk_fma_f16 v94, v88, v96, v94
	;; [unrolled: 1-line block ×3, first 2 shown]
	s_wait_dscnt 0x1
	v_pk_fma_f16 v73, v89, v95, v73
	v_pk_fma_f16 v50, v89, v82, v50
	v_pk_fma_f16 v89, v90, v95, v85
	v_and_b32_e32 v93, 0xffff, v83
	v_lshrrev_b32_e32 v83, 16, v83
	v_pk_fma_f16 v90, v90, v82, v86
	ds_load_2addr_b64 v[85:88], v71 offset0:192 offset1:224
	v_pk_fma_f16 v72, v91, v95, v72
	v_mul_u32_u24_e32 v71, 0x10001, v93
	v_mul_u32_u24_e32 v93, 0x10001, v83
	v_pk_fma_f16 v94, v92, v95, v94
	v_add_nc_u32_e32 v95, 0x3800, v39
	v_pk_fma_f16 v91, v91, v82, v97
	v_pk_fma_f16 v92, v92, v82, v81
	s_wait_dscnt 0x1
	v_pk_fma_f16 v73, v67, v71, v73
	v_pk_fma_f16 v50, v67, v93, v50
	;; [unrolled: 1-line block ×3, first 2 shown]
	v_and_b32_e32 v89, 0xffff, v84
	v_lshrrev_b32_e32 v96, 16, v84
	ds_load_2addr_b64 v[81:84], v95 offset1:32
	v_pk_fma_f16 v68, v68, v93, v90
	v_pk_fma_f16 v72, v69, v71, v72
	v_mul_u32_u24_e32 v89, 0x10001, v89
	v_mul_u32_u24_e32 v90, 0x10001, v96
	v_pk_fma_f16 v91, v69, v93, v91
	v_pk_fma_f16 v71, v70, v71, v94
	;; [unrolled: 1-line block ×3, first 2 shown]
	s_wait_dscnt 0x1
	v_pk_fma_f16 v73, v85, v89, v73
	v_pk_fma_f16 v50, v85, v90, v50
	;; [unrolled: 1-line block ×3, first 2 shown]
	v_and_b32_e32 v93, 0xffff, v63
	v_lshrrev_b32_e32 v63, 16, v63
	v_pk_fma_f16 v86, v86, v90, v68
	ds_load_2addr_b64 v[67:70], v95 offset0:64 offset1:96
	v_pk_fma_f16 v72, v87, v89, v72
	v_mul_u32_u24_e32 v93, 0x10001, v93
	v_mul_u32_u24_e32 v63, 0x10001, v63
	v_pk_fma_f16 v87, v87, v90, v91
	v_pk_fma_f16 v71, v88, v89, v71
	v_pk_fma_f16 v89, v88, v90, v92
	s_wait_dscnt 0x1
	v_pk_fma_f16 v73, v81, v93, v73
	v_pk_fma_f16 v50, v81, v63, v50
	v_pk_fma_f16 v81, v82, v93, v85
	v_and_b32_e32 v85, 0xffff, v64
	v_lshrrev_b32_e32 v64, 16, v64
	v_pk_fma_f16 v82, v82, v63, v86
	v_pk_fma_f16 v72, v83, v93, v72
	;; [unrolled: 1-line block ×3, first 2 shown]
	v_mul_u32_u24_e32 v90, 0x10001, v85
	v_mul_u32_u24_e32 v64, 0x10001, v64
	v_pk_fma_f16 v71, v84, v93, v71
	v_pk_fma_f16 v63, v84, v63, v89
	ds_load_2addr_b64 v[85:88], v95 offset0:128 offset1:160
	s_wait_dscnt 0x1
	v_pk_fma_f16 v73, v67, v90, v73
	v_pk_fma_f16 v50, v67, v64, v50
	v_pk_fma_f16 v67, v68, v90, v81
	v_pk_fma_f16 v68, v68, v64, v82
	v_pk_fma_f16 v81, v69, v90, v72
	v_pk_fma_f16 v82, v69, v64, v83
	v_pk_fma_f16 v84, v70, v90, v71
	v_pk_fma_f16 v63, v70, v64, v63
	ds_load_2addr_b64 v[69:72], v95 offset0:192 offset1:224
	s_wait_loadcnt_dscnt 0x0
	s_barrier_signal -1
	s_barrier_wait -1
	global_inv scope:SCOPE_SE
	s_load_b32 s11, s[24:25], 0x4
	v_and_b32_e32 v83, 0xffff, v65
	v_lshrrev_b32_e32 v65, 16, v65
	s_delay_alu instid0(VALU_DEP_2) | instskip(NEXT) | instid1(VALU_DEP_2)
	v_mul_u32_u24_e32 v64, 0x10001, v83
	v_mul_u32_u24_e32 v65, 0x10001, v65
	v_and_b32_e32 v83, 0xffff, v66
	v_lshrrev_b32_e32 v66, 16, v66
	s_delay_alu instid0(VALU_DEP_4) | instskip(NEXT) | instid1(VALU_DEP_4)
	v_pk_fma_f16 v73, v85, v64, v73
	v_pk_fma_f16 v50, v85, v65, v50
	;; [unrolled: 1-line block ×5, first 2 shown]
	v_mul_u32_u24_e32 v83, 0x10001, v83
	v_mul_u32_u24_e32 v85, 0x10001, v66
	v_pk_fma_f16 v82, v87, v65, v82
	v_pk_fma_f16 v84, v88, v64, v84
	;; [unrolled: 1-line block ×3, first 2 shown]
	s_wait_kmcnt 0x0
	s_lshl_b32 s11, s11, 5
	v_pk_fma_f16 v64, v69, v83, v73
	v_pk_fma_f16 v50, v69, v85, v50
	;; [unrolled: 1-line block ×8, first 2 shown]
	s_wait_alu 0xfffe
	s_add_co_i32 s10, s11, s10
	s_wait_alu 0xfffe
	s_cmp_ge_i32 s10, s28
	s_cbranch_scc1 .LBB60_19
; %bb.18:                               ;   in Loop: Header=BB60_9 Depth=1
	v_dual_mov_b32 v72, v35 :: v_dual_mov_b32 v73, v36
	v_dual_mov_b32 v70, v80 :: v_dual_mov_b32 v71, v79
	s_branch .LBB60_9
.LBB60_19:
	v_mov_b32_e32 v5, v40
.LBB60_20:
	v_cmp_lt_i32_e32 vcc_lo, v78, v42
	s_cmp_lg_u64 s[12:13], 0
	s_cselect_b32 s3, -1, 0
	s_cmp_eq_u32 s4, 0
	s_wait_alu 0xfffd
	v_cndmask_b32_e32 v2, v5, v78, vcc_lo
	v_cmp_lt_i32_e32 vcc_lo, v74, v42
	s_cselect_b32 s5, -1, 0
	s_wait_alu 0xfffe
	s_and_b32 s3, s5, s3
	s_wait_alu 0xfffd
	v_cndmask_b32_e32 v4, v5, v74, vcc_lo
	v_cmp_lt_i32_e32 vcc_lo, v75, v42
	s_wait_alu 0xfffd
	v_dual_cndmask_b32 v7, v5, v75 :: v_dual_lshlrev_b32 v2, 2, v2
	ds_bpermute_b32 v3, v2, v80
	ds_bpermute_b32 v2, v2, v79
	v_cmp_lt_i32_e32 vcc_lo, v76, v42
	v_lshlrev_b32_e32 v7, 2, v7
	s_wait_dscnt 0x1
	v_dual_add_f32 v3, v80, v3 :: v_dual_lshlrev_b32 v4, 2, v4
	s_wait_dscnt 0x0
	v_add_f32_e32 v2, v79, v2
	ds_bpermute_b32 v6, v4, v3
	s_wait_dscnt 0x0
	v_add_f32_e32 v3, v3, v6
	ds_bpermute_b32 v4, v4, v2
	;; [unrolled: 3-line block ×3, first 2 shown]
	ds_bpermute_b32 v6, v7, v2
	s_wait_alu 0xfffd
	v_cndmask_b32_e32 v7, v5, v76, vcc_lo
	v_cmp_lt_i32_e32 vcc_lo, v77, v42
	s_delay_alu instid0(VALU_DEP_2)
	v_lshlrev_b32_e32 v7, 2, v7
	s_wait_dscnt 0x0
	v_dual_add_f32 v3, v3, v4 :: v_dual_add_f32 v2, v2, v6
	ds_bpermute_b32 v4, v7, v3
	ds_bpermute_b32 v6, v7, v2
	s_wait_alu 0xfffd
	v_cndmask_b32_e32 v5, v5, v77, vcc_lo
	s_wait_alu 0xfffe
	s_and_b32 vcc_lo, exec_lo, s3
	s_mov_b32 s3, 0
	s_wait_dscnt 0x0
	v_dual_add_f32 v3, v3, v4 :: v_dual_add_f32 v4, v2, v6
	v_add_nc_u32_e32 v6, s33, v38
	v_lshlrev_b32_e32 v5, 2, v5
	ds_bpermute_b32 v2, v5, v3
	s_wait_dscnt 0x0
	v_add_f32_e32 v2, v3, v2
	ds_bpermute_b32 v5, v5, v4
	s_wait_dscnt 0x0
	v_add_f32_e32 v3, v4, v5
	s_wait_alu 0xfffe
	s_cbranch_vccnz .LBB60_23
; %bb.21:
	s_delay_alu instid0(VALU_DEP_1)
	v_mov_b32_e32 v5, v3
	v_dual_mov_b32 v4, v2 :: v_dual_add_nc_u32 v7, s33, v38
	s_and_not1_b32 vcc_lo, exec_lo, s3
	s_wait_alu 0xfffe
	s_cbranch_vccz .LBB60_24
; %bb.22:
	s_delay_alu instid0(VALU_DEP_1)
	v_mov_b32_e32 v6, v7
	s_branch .LBB60_25
.LBB60_23:
                                        ; implicit-def: $vgpr7
                                        ; implicit-def: $vgpr4_vgpr5
.LBB60_24:
	v_ashrrev_i32_e32 v7, 31, v6
	s_delay_alu instid0(VALU_DEP_1) | instskip(NEXT) | instid1(VALU_DEP_1)
	v_lshlrev_b64_e32 v[4:5], 2, v[6:7]
	v_add_co_u32 v4, vcc_lo, s12, v4
	s_wait_alu 0xfffd
	s_delay_alu instid0(VALU_DEP_2)
	v_add_co_ci_u32_e64 v5, null, s13, v5, vcc_lo
	global_load_b64 v[4:5], v[4:5], off
	v_max_num_f32_e32 v7, v35, v35
	s_wait_loadcnt 0x0
	v_dual_max_num_f32 v9, v36, v36 :: v_dual_max_num_f32 v10, v5, v5
	v_max_num_f32_e32 v8, v4, v4
	s_delay_alu instid0(VALU_DEP_1) | instskip(NEXT) | instid1(VALU_DEP_1)
	v_dual_max_num_f32 v7, v7, v8 :: v_dual_max_num_f32 v8, v9, v10
	v_dual_sub_f32 v9, v35, v7 :: v_dual_sub_f32 v10, v36, v8
	v_dual_sub_f32 v4, v4, v7 :: v_dual_sub_f32 v5, v5, v8
	s_delay_alu instid0(VALU_DEP_2) | instskip(NEXT) | instid1(VALU_DEP_2)
	v_dual_mov_b32 v36, v8 :: v_dual_mul_f32 v11, 0x3fb8aa3b, v9
	v_dual_mul_f32 v13, 0x3fb8aa3b, v10 :: v_dual_mul_f32 v12, 0x3fb8aa3b, v4
	s_delay_alu instid0(VALU_DEP_3) | instskip(SKIP_1) | instid1(VALU_DEP_4)
	v_mul_f32_e32 v14, 0x3fb8aa3b, v5
	v_cmp_ngt_f32_e32 vcc_lo, 0xc2ce8ed0, v9
	v_fma_f32 v15, 0x3fb8aa3b, v9, -v11
	v_rndne_f32_e32 v16, v11
	v_fma_f32 v17, 0x3fb8aa3b, v4, -v12
	v_fma_f32 v21, 0x3fb8aa3b, v5, -v14
	v_rndne_f32_e32 v22, v14
	v_rndne_f32_e32 v18, v12
	v_fma_f32 v19, 0x3fb8aa3b, v10, -v13
	v_rndne_f32_e32 v20, v13
	v_fmac_f32_e32 v15, 0x32a5705f, v9
	v_dual_sub_f32 v11, v11, v16 :: v_dual_sub_f32 v14, v14, v22
	v_fmac_f32_e32 v21, 0x32a5705f, v5
	v_dual_fmac_f32 v17, 0x32a5705f, v4 :: v_dual_sub_f32 v12, v12, v18
	v_sub_f32_e32 v13, v13, v20
	s_delay_alu instid0(VALU_DEP_3) | instskip(NEXT) | instid1(VALU_DEP_3)
	v_dual_add_f32 v11, v11, v15 :: v_dual_add_f32 v14, v14, v21
	v_dual_fmac_f32 v19, 0x32a5705f, v10 :: v_dual_add_f32 v12, v12, v17
	v_cvt_i32_f32_e32 v15, v16
	s_delay_alu instid0(VALU_DEP_3) | instskip(SKIP_1) | instid1(VALU_DEP_3)
	v_exp_f32_e32 v11, v11
	v_cvt_i32_f32_e32 v17, v20
	v_add_f32_e32 v13, v13, v19
	v_exp_f32_e32 v12, v12
	v_cvt_i32_f32_e32 v16, v18
	v_exp_f32_e32 v14, v14
	v_mov_b32_e32 v35, v7
	v_exp_f32_e32 v13, v13
	v_ldexp_f32 v11, v11, v15
	v_cvt_i32_f32_e32 v15, v22
	s_delay_alu instid0(TRANS32_DEP_3) | instskip(SKIP_1) | instid1(VALU_DEP_3)
	v_ldexp_f32 v12, v12, v16
	s_wait_alu 0xfffd
	v_cndmask_b32_e32 v11, 0, v11, vcc_lo
	v_cmp_ngt_f32_e32 vcc_lo, 0xc2ce8ed0, v10
	s_delay_alu instid0(TRANS32_DEP_1) | instskip(SKIP_2) | instid1(VALU_DEP_2)
	v_ldexp_f32 v13, v13, v17
	v_ldexp_f32 v14, v14, v15
	s_wait_alu 0xfffd
	v_cndmask_b32_e32 v13, 0, v13, vcc_lo
	v_cmp_nlt_f32_e32 vcc_lo, 0x42b17218, v9
	s_wait_alu 0xfffd
	v_cndmask_b32_e32 v9, 0x7f800000, v11, vcc_lo
	v_cmp_ngt_f32_e32 vcc_lo, 0xc2ce8ed0, v4
	s_wait_alu 0xfffd
	v_cndmask_b32_e32 v11, 0, v12, vcc_lo
	v_cmp_nlt_f32_e32 vcc_lo, 0x42b17218, v10
	v_cvt_f16_f32_e32 v12, v9
	s_wait_alu 0xfffd
	v_cndmask_b32_e32 v10, 0x7f800000, v13, vcc_lo
	v_cmp_ngt_f32_e32 vcc_lo, 0xc2ce8ed0, v5
	s_wait_alu 0xfffd
	v_dual_cndmask_b32 v13, 0, v14 :: v_dual_and_b32 v12, 0xffff, v12
	v_cmp_nlt_f32_e32 vcc_lo, 0x42b17218, v4
	s_wait_alu 0xfffd
	v_cndmask_b32_e32 v4, 0x7f800000, v11, vcc_lo
	v_cvt_f16_f32_e32 v11, v10
	v_cmp_nlt_f32_e32 vcc_lo, 0x42b17218, v5
	s_delay_alu instid0(VALU_DEP_2) | instskip(SKIP_3) | instid1(VALU_DEP_2)
	v_dual_fmac_f32 v4, v2, v9 :: v_dual_and_b32 v9, 0xffff, v11
	s_wait_alu 0xfffd
	v_cndmask_b32_e32 v5, 0x7f800000, v13, vcc_lo
	v_mul_u32_u24_e32 v11, 0x10001, v12
	v_dual_mov_b32 v2, v4 :: v_dual_fmac_f32 v5, v3, v10
	v_mul_u32_u24_e32 v3, 0x10001, v9
	s_delay_alu instid0(VALU_DEP_3)
	v_pk_mul_f16 v64, v64, v11
	v_pk_mul_f16 v69, v69, v11
	;; [unrolled: 1-line block ×8, first 2 shown]
	v_mov_b32_e32 v3, v5
.LBB60_25:
	s_load_b32 s1, s[0:1], 0xd4
	v_mov_b32_e32 v7, 1.0
	s_wait_kmcnt 0x0
	s_cmp_lg_u32 s1, 1
	s_cselect_b32 s5, -1, 0
	s_cmp_eq_u32 s1, 1
	s_cselect_b32 s3, -1, 0
	s_wait_alu 0xfffe
	s_and_b32 vcc_lo, exec_lo, s5
	s_wait_alu 0xfffe
	s_cbranch_vccnz .LBB60_27
; %bb.26:
	v_div_scale_f32 v7, null, v2, v2, 1.0
	s_delay_alu instid0(VALU_DEP_1) | instskip(NEXT) | instid1(TRANS32_DEP_1)
	v_rcp_f32_e32 v8, v7
	v_fma_f32 v9, -v7, v8, 1.0
	s_delay_alu instid0(VALU_DEP_1) | instskip(SKIP_1) | instid1(VALU_DEP_1)
	v_fmac_f32_e32 v8, v9, v8
	v_div_scale_f32 v9, vcc_lo, 1.0, v2, 1.0
	v_mul_f32_e32 v10, v9, v8
	s_delay_alu instid0(VALU_DEP_1) | instskip(NEXT) | instid1(VALU_DEP_1)
	v_fma_f32 v11, -v7, v10, v9
	v_fmac_f32_e32 v10, v11, v8
	s_delay_alu instid0(VALU_DEP_1) | instskip(SKIP_1) | instid1(VALU_DEP_1)
	v_fma_f32 v7, -v7, v10, v9
	s_wait_alu 0xfffd
	v_div_fmas_f32 v7, v7, v8, v10
	s_delay_alu instid0(VALU_DEP_1)
	v_div_fixup_f32 v7, v7, v2, 1.0
.LBB60_27:
	v_mad_co_u64_u32 v[1:2], null, s2, s22, v[1:2]
	v_cmp_eq_u32_e32 vcc_lo, 0, v0
	v_lshrrev_b32_e32 v12, 16, v68
	v_cvt_f32_f16_e32 v16, v67
	v_lshrrev_b32_e32 v9, 16, v64
	v_cvt_f32_f16_e32 v13, v68
	v_lshrrev_b32_e32 v15, 16, v67
	v_mad_co_u64_u32 v[0:1], null, v1, s23, v[6:7]
	v_lshrrev_b32_e32 v6, 16, v69
	v_cvt_f32_f16_e32 v18, v12
	v_mul_f32_e32 v12, v7, v16
	v_cvt_f32_f16_e32 v8, v69
	v_cvt_f32_f16_e32 v11, v64
	;; [unrolled: 1-line block ×3, first 2 shown]
	v_mad_co_u64_u32 v[0:1], null, s1, v0, s[4:5]
	v_cvt_f32_f16_e32 v9, v9
	v_mul_f32_e32 v14, v7, v13
	v_cvt_f32_f16_e32 v13, v15
	v_mul_f32_e32 v10, v7, v8
	v_mul_f32_e32 v8, v7, v11
	;; [unrolled: 1-line block ×3, first 2 shown]
	v_lshl_add_u32 v1, v0, 8, v37
	v_dual_mov_b32 v2, 0 :: v_dual_mul_f32 v9, v7, v9
	v_mul_f32_e32 v15, v7, v18
	v_mul_f32_e32 v13, v7, v13
	s_delay_alu instid0(VALU_DEP_3) | instskip(SKIP_1) | instid1(VALU_DEP_1)
	v_lshlrev_b64_e32 v[16:17], 2, v[1:2]
	v_add_nc_u32_e32 v1, 0x80, v1
	v_lshlrev_b64_e32 v[1:2], 2, v[1:2]
	s_delay_alu instid0(VALU_DEP_3) | instskip(SKIP_1) | instid1(VALU_DEP_4)
	v_add_co_u32 v6, s0, s16, v16
	s_wait_alu 0xf1ff
	v_add_co_ci_u32_e64 v7, null, s17, v17, s0
	s_delay_alu instid0(VALU_DEP_3)
	v_add_co_u32 v1, s0, s16, v1
	s_wait_alu 0xf1ff
	v_add_co_ci_u32_e64 v2, null, s17, v2, s0
	s_and_b32 s0, vcc_lo, s5
	s_clause 0x1
	global_store_b128 v[6:7], v[8:11], off
	global_store_b128 v[1:2], v[12:15], off
	s_wait_alu 0xfffe
	s_and_saveexec_b32 s2, s0
	s_cbranch_execz .LBB60_29
; %bb.28:
	v_ashrrev_i32_e32 v1, 31, v0
	v_dual_mov_b32 v6, v35 :: v_dual_mov_b32 v7, v4
	s_delay_alu instid0(VALU_DEP_2) | instskip(NEXT) | instid1(VALU_DEP_1)
	v_lshlrev_b64_e32 v[1:2], 3, v[0:1]
	v_add_co_u32 v1, vcc_lo, s18, v1
	s_wait_alu 0xfffd
	s_delay_alu instid0(VALU_DEP_2)
	v_add_co_ci_u32_e64 v2, null, s19, v2, vcc_lo
	global_store_b64 v[1:2], v[6:7], off
.LBB60_29:
	s_wait_alu 0xfffe
	s_or_b32 exec_lo, exec_lo, s2
	v_mov_b32_e32 v1, 1.0
	s_and_not1_b32 vcc_lo, exec_lo, s3
	s_wait_alu 0xfffe
	s_cbranch_vccnz .LBB60_31
; %bb.30:
	v_div_scale_f32 v1, null, v3, v3, 1.0
	s_delay_alu instid0(VALU_DEP_1) | instskip(NEXT) | instid1(TRANS32_DEP_1)
	v_rcp_f32_e32 v2, v1
	v_fma_f32 v4, -v1, v2, 1.0
	s_delay_alu instid0(VALU_DEP_1) | instskip(SKIP_1) | instid1(VALU_DEP_1)
	v_fmac_f32_e32 v2, v4, v2
	v_div_scale_f32 v4, vcc_lo, 1.0, v3, 1.0
	v_mul_f32_e32 v6, v4, v2
	s_delay_alu instid0(VALU_DEP_1) | instskip(NEXT) | instid1(VALU_DEP_1)
	v_fma_f32 v7, -v1, v6, v4
	v_fmac_f32_e32 v6, v7, v2
	s_delay_alu instid0(VALU_DEP_1) | instskip(SKIP_1) | instid1(VALU_DEP_1)
	v_fma_f32 v1, -v1, v6, v4
	s_wait_alu 0xfffd
	v_div_fmas_f32 v1, v1, v2, v6
	s_delay_alu instid0(VALU_DEP_1)
	v_div_fixup_f32 v1, v1, v3, 1.0
.LBB60_31:
	v_lshrrev_b32_e32 v2, 16, v66
	v_dual_mov_b32 v3, 0 :: v_dual_add_nc_u32 v0, s1, v0
	v_lshrrev_b32_e32 v4, 16, v50
	v_cvt_f32_f16_e32 v6, v66
	s_delay_alu instid0(VALU_DEP_4) | instskip(NEXT) | instid1(VALU_DEP_4)
	v_cvt_f32_f16_e32 v7, v2
	v_lshl_add_u32 v2, v0, 8, v37
	v_cvt_f32_f16_e32 v12, v50
	v_cvt_f32_f16_e32 v4, v4
	v_mul_f32_e32 v8, v1, v6
	v_mul_f32_e32 v9, v1, v7
	v_lshlrev_b64_e32 v[10:11], 2, v[2:3]
	v_mul_f32_e32 v6, v1, v12
	v_lshrrev_b32_e32 v12, 16, v65
	v_dual_mul_f32 v7, v1, v4 :: v_dual_add_nc_u32 v2, 0x80, v2
	v_lshrrev_b32_e32 v4, 16, v63
	v_cvt_f32_f16_e32 v14, v63
	s_delay_alu instid0(VALU_DEP_4) | instskip(NEXT) | instid1(VALU_DEP_4)
	v_cvt_f32_f16_e32 v15, v12
	v_lshlrev_b64_e32 v[12:13], 2, v[2:3]
	v_cvt_f32_f16_e32 v16, v65
	v_cvt_f32_f16_e32 v4, v4
	v_add_co_u32 v10, vcc_lo, s16, v10
	s_wait_alu 0xfffd
	v_add_co_ci_u32_e64 v11, null, s17, v11, vcc_lo
	v_add_co_u32 v12, vcc_lo, s16, v12
	v_mul_f32_e32 v4, v1, v4
	v_mul_f32_e32 v3, v1, v14
	;; [unrolled: 1-line block ×4, first 2 shown]
	s_wait_alu 0xfffd
	v_add_co_ci_u32_e64 v13, null, s17, v13, vcc_lo
	s_clause 0x1
	global_store_b128 v[10:11], v[6:9], off
	global_store_b128 v[12:13], v[1:4], off
	s_and_saveexec_b32 s1, s0
	s_cbranch_execz .LBB60_33
; %bb.32:
	v_ashrrev_i32_e32 v1, 31, v0
	v_mov_b32_e32 v4, v36
	s_delay_alu instid0(VALU_DEP_2) | instskip(NEXT) | instid1(VALU_DEP_1)
	v_lshlrev_b64_e32 v[0:1], 3, v[0:1]
	v_add_co_u32 v0, vcc_lo, s18, v0
	s_wait_alu 0xfffd
	s_delay_alu instid0(VALU_DEP_2)
	v_add_co_ci_u32_e64 v1, null, s19, v1, vcc_lo
	global_store_b64 v[0:1], v[4:5], off
.LBB60_33:
	s_nop 0
	s_sendmsg sendmsg(MSG_DEALLOC_VGPRS)
	s_endpgm
	.section	.rodata,"a",@progbits
	.p2align	6, 0x0
	.amdhsa_kernel _ZL15flash_attn_tileILi256ELi256ELi1ELi8ELb1EEvPKcS1_S1_S1_S1_PKiPfP15HIP_vector_typeIfLj2EEffffjfiS5_IjLj3EEiiiiiiiiiiiliiliiiiil
		.amdhsa_group_segment_fixed_size 21504
		.amdhsa_private_segment_fixed_size 0
		.amdhsa_kernarg_size 464
		.amdhsa_user_sgpr_count 2
		.amdhsa_user_sgpr_dispatch_ptr 0
		.amdhsa_user_sgpr_queue_ptr 0
		.amdhsa_user_sgpr_kernarg_segment_ptr 1
		.amdhsa_user_sgpr_dispatch_id 0
		.amdhsa_user_sgpr_private_segment_size 0
		.amdhsa_wavefront_size32 1
		.amdhsa_uses_dynamic_stack 0
		.amdhsa_enable_private_segment 0
		.amdhsa_system_sgpr_workgroup_id_x 1
		.amdhsa_system_sgpr_workgroup_id_y 1
		.amdhsa_system_sgpr_workgroup_id_z 1
		.amdhsa_system_sgpr_workgroup_info 0
		.amdhsa_system_vgpr_workitem_id 1
		.amdhsa_next_free_vgpr 217
		.amdhsa_next_free_sgpr 44
		.amdhsa_reserve_vcc 1
		.amdhsa_float_round_mode_32 0
		.amdhsa_float_round_mode_16_64 0
		.amdhsa_float_denorm_mode_32 3
		.amdhsa_float_denorm_mode_16_64 3
		.amdhsa_fp16_overflow 0
		.amdhsa_workgroup_processor_mode 1
		.amdhsa_memory_ordered 1
		.amdhsa_forward_progress 1
		.amdhsa_inst_pref_size 89
		.amdhsa_round_robin_scheduling 0
		.amdhsa_exception_fp_ieee_invalid_op 0
		.amdhsa_exception_fp_denorm_src 0
		.amdhsa_exception_fp_ieee_div_zero 0
		.amdhsa_exception_fp_ieee_overflow 0
		.amdhsa_exception_fp_ieee_underflow 0
		.amdhsa_exception_fp_ieee_inexact 0
		.amdhsa_exception_int_div_zero 0
	.end_amdhsa_kernel
	.section	.text._ZL15flash_attn_tileILi256ELi256ELi1ELi8ELb1EEvPKcS1_S1_S1_S1_PKiPfP15HIP_vector_typeIfLj2EEffffjfiS5_IjLj3EEiiiiiiiiiiiliiliiiiil,"axG",@progbits,_ZL15flash_attn_tileILi256ELi256ELi1ELi8ELb1EEvPKcS1_S1_S1_S1_PKiPfP15HIP_vector_typeIfLj2EEffffjfiS5_IjLj3EEiiiiiiiiiiiliiliiiiil,comdat
.Lfunc_end60:
	.size	_ZL15flash_attn_tileILi256ELi256ELi1ELi8ELb1EEvPKcS1_S1_S1_S1_PKiPfP15HIP_vector_typeIfLj2EEffffjfiS5_IjLj3EEiiiiiiiiiiiliiliiiiil, .Lfunc_end60-_ZL15flash_attn_tileILi256ELi256ELi1ELi8ELb1EEvPKcS1_S1_S1_S1_PKiPfP15HIP_vector_typeIfLj2EEffffjfiS5_IjLj3EEiiiiiiiiiiiliiliiiiil
                                        ; -- End function
	.set _ZL15flash_attn_tileILi256ELi256ELi1ELi8ELb1EEvPKcS1_S1_S1_S1_PKiPfP15HIP_vector_typeIfLj2EEffffjfiS5_IjLj3EEiiiiiiiiiiiliiliiiiil.num_vgpr, 215
	.set _ZL15flash_attn_tileILi256ELi256ELi1ELi8ELb1EEvPKcS1_S1_S1_S1_PKiPfP15HIP_vector_typeIfLj2EEffffjfiS5_IjLj3EEiiiiiiiiiiiliiliiiiil.num_agpr, 0
	.set _ZL15flash_attn_tileILi256ELi256ELi1ELi8ELb1EEvPKcS1_S1_S1_S1_PKiPfP15HIP_vector_typeIfLj2EEffffjfiS5_IjLj3EEiiiiiiiiiiiliiliiiiil.numbered_sgpr, 44
	.set _ZL15flash_attn_tileILi256ELi256ELi1ELi8ELb1EEvPKcS1_S1_S1_S1_PKiPfP15HIP_vector_typeIfLj2EEffffjfiS5_IjLj3EEiiiiiiiiiiiliiliiiiil.num_named_barrier, 0
	.set _ZL15flash_attn_tileILi256ELi256ELi1ELi8ELb1EEvPKcS1_S1_S1_S1_PKiPfP15HIP_vector_typeIfLj2EEffffjfiS5_IjLj3EEiiiiiiiiiiiliiliiiiil.private_seg_size, 0
	.set _ZL15flash_attn_tileILi256ELi256ELi1ELi8ELb1EEvPKcS1_S1_S1_S1_PKiPfP15HIP_vector_typeIfLj2EEffffjfiS5_IjLj3EEiiiiiiiiiiiliiliiiiil.uses_vcc, 1
	.set _ZL15flash_attn_tileILi256ELi256ELi1ELi8ELb1EEvPKcS1_S1_S1_S1_PKiPfP15HIP_vector_typeIfLj2EEffffjfiS5_IjLj3EEiiiiiiiiiiiliiliiiiil.uses_flat_scratch, 0
	.set _ZL15flash_attn_tileILi256ELi256ELi1ELi8ELb1EEvPKcS1_S1_S1_S1_PKiPfP15HIP_vector_typeIfLj2EEffffjfiS5_IjLj3EEiiiiiiiiiiiliiliiiiil.has_dyn_sized_stack, 0
	.set _ZL15flash_attn_tileILi256ELi256ELi1ELi8ELb1EEvPKcS1_S1_S1_S1_PKiPfP15HIP_vector_typeIfLj2EEffffjfiS5_IjLj3EEiiiiiiiiiiiliiliiiiil.has_recursion, 0
	.set _ZL15flash_attn_tileILi256ELi256ELi1ELi8ELb1EEvPKcS1_S1_S1_S1_PKiPfP15HIP_vector_typeIfLj2EEffffjfiS5_IjLj3EEiiiiiiiiiiiliiliiiiil.has_indirect_call, 0
	.section	.AMDGPU.csdata,"",@progbits
; Kernel info:
; codeLenInByte = 11292
; TotalNumSgprs: 46
; NumVgprs: 215
; ScratchSize: 0
; MemoryBound: 0
; FloatMode: 240
; IeeeMode: 1
; LDSByteSize: 21504 bytes/workgroup (compile time only)
; SGPRBlocks: 0
; VGPRBlocks: 27
; NumSGPRsForWavesPerEU: 46
; NumVGPRsForWavesPerEU: 217
; Occupancy: 6
; WaveLimiterHint : 1
; COMPUTE_PGM_RSRC2:SCRATCH_EN: 0
; COMPUTE_PGM_RSRC2:USER_SGPR: 2
; COMPUTE_PGM_RSRC2:TRAP_HANDLER: 0
; COMPUTE_PGM_RSRC2:TGID_X_EN: 1
; COMPUTE_PGM_RSRC2:TGID_Y_EN: 1
; COMPUTE_PGM_RSRC2:TGID_Z_EN: 1
; COMPUTE_PGM_RSRC2:TIDIG_COMP_CNT: 1
	.section	.text._ZL15flash_attn_tileILi256ELi256ELi8ELi4ELb1EEvPKcS1_S1_S1_S1_PKiPfP15HIP_vector_typeIfLj2EEffffjfiS5_IjLj3EEiiiiiiiiiiiliiliiiiil,"axG",@progbits,_ZL15flash_attn_tileILi256ELi256ELi8ELi4ELb1EEvPKcS1_S1_S1_S1_PKiPfP15HIP_vector_typeIfLj2EEffffjfiS5_IjLj3EEiiiiiiiiiiiliiliiiiil,comdat
	.globl	_ZL15flash_attn_tileILi256ELi256ELi8ELi4ELb1EEvPKcS1_S1_S1_S1_PKiPfP15HIP_vector_typeIfLj2EEffffjfiS5_IjLj3EEiiiiiiiiiiiliiliiiiil ; -- Begin function _ZL15flash_attn_tileILi256ELi256ELi8ELi4ELb1EEvPKcS1_S1_S1_S1_PKiPfP15HIP_vector_typeIfLj2EEffffjfiS5_IjLj3EEiiiiiiiiiiiliiliiiiil
	.p2align	8
	.type	_ZL15flash_attn_tileILi256ELi256ELi8ELi4ELb1EEvPKcS1_S1_S1_S1_PKiPfP15HIP_vector_typeIfLj2EEffffjfiS5_IjLj3EEiiiiiiiiiiiliiliiiiil,@function
_ZL15flash_attn_tileILi256ELi256ELi8ELi4ELb1EEvPKcS1_S1_S1_S1_PKiPfP15HIP_vector_typeIfLj2EEffffjfiS5_IjLj3EEiiiiiiiiiiiliiliiiiil: ; @_ZL15flash_attn_tileILi256ELi256ELi8ELi4ELb1EEvPKcS1_S1_S1_S1_PKiPfP15HIP_vector_typeIfLj2EEffffjfiS5_IjLj3EEiiiiiiiiiiiliiliiiiil
; %bb.0:
	s_clause 0x1
	s_load_b128 s[20:23], s[0:1], 0x5c
	s_load_b64 s[30:31], s[0:1], 0x80
	s_lshr_b32 s5, ttmp7, 16
	s_load_b64 s[38:39], s[0:1], 0xb8
	s_mov_b32 s37, 0
	s_mov_b64 s[34:35], 0
	s_wait_kmcnt 0x0
	s_ashr_i32 s2, s23, 31
	s_delay_alu instid0(SALU_CYCLE_1) | instskip(NEXT) | instid1(SALU_CYCLE_1)
	s_lshr_b32 s2, s2, 30
	s_add_co_i32 s2, s23, s2
	s_delay_alu instid0(SALU_CYCLE_1) | instskip(NEXT) | instid1(SALU_CYCLE_1)
	s_ashr_i32 s2, s2, 2
	s_cvt_f32_u32 s3, s2
	s_sub_co_i32 s4, 0, s2
	s_delay_alu instid0(SALU_CYCLE_2) | instskip(NEXT) | instid1(TRANS32_DEP_1)
	v_rcp_iflag_f32_e32 v1, s3
	v_readfirstlane_b32 s3, v1
	s_mul_f32 s3, s3, 0x4f7ffffe
	s_wait_alu 0xfffe
	s_delay_alu instid0(SALU_CYCLE_2) | instskip(SKIP_1) | instid1(SALU_CYCLE_2)
	s_cvt_u32_f32 s3, s3
	s_wait_alu 0xfffe
	s_mul_i32 s4, s4, s3
	s_delay_alu instid0(SALU_CYCLE_1) | instskip(NEXT) | instid1(SALU_CYCLE_1)
	s_mul_hi_u32 s4, s3, s4
	s_add_co_i32 s3, s3, s4
	s_wait_alu 0xfffe
	s_mul_hi_u32 s3, s5, s3
	s_wait_alu 0xfffe
	s_mul_i32 s4, s3, s2
	s_add_co_i32 s6, s3, 1
	s_sub_co_i32 s4, s5, s4
	s_delay_alu instid0(SALU_CYCLE_1)
	s_sub_co_i32 s7, s4, s2
	s_cmp_ge_u32 s4, s2
	s_cselect_b32 s3, s6, s3
	s_cselect_b32 s4, s7, s4
	s_wait_alu 0xfffe
	s_add_co_i32 s6, s3, 1
	s_cmp_ge_u32 s4, s2
	s_cselect_b32 s2, s6, s3
	s_abs_i32 s3, s31
	s_abs_i32 s8, s23
	s_wait_alu 0xfffe
	s_cvt_f32_u32 s4, s3
	s_sub_co_i32 s6, 0, s3
	s_lshl_b32 s5, s5, 2
	s_mul_i32 s7, s2, s23
	v_rcp_iflag_f32_e32 v1, s4
	s_sub_co_i32 s28, s5, s7
	s_xor_b32 s5, s23, s31
	s_wait_alu 0xfffe
	s_ashr_i32 s24, s5, 31
	s_delay_alu instid0(TRANS32_DEP_1) | instskip(SKIP_2) | instid1(SALU_CYCLE_2)
	v_readfirstlane_b32 s4, v1
	s_mul_f32 s4, s4, 0x4f7ffffe
	s_wait_alu 0xfffe
	s_cvt_u32_f32 s4, s4
	s_wait_alu 0xfffe
	s_delay_alu instid0(SALU_CYCLE_2) | instskip(NEXT) | instid1(SALU_CYCLE_1)
	s_mul_i32 s6, s6, s4
	s_mul_hi_u32 s6, s4, s6
	s_delay_alu instid0(SALU_CYCLE_1) | instskip(SKIP_4) | instid1(SALU_CYCLE_1)
	s_add_co_i32 s4, s4, s6
	s_wait_alu 0xfffe
	s_mul_hi_u32 s4, s8, s4
	s_wait_alu 0xfffe
	s_mul_i32 s6, s4, s3
	s_sub_co_i32 s5, s8, s6
	s_add_co_i32 s6, s4, 1
	s_wait_alu 0xfffe
	s_sub_co_i32 s7, s5, s3
	s_cmp_ge_u32 s5, s3
	s_cselect_b32 s4, s6, s4
	s_cselect_b32 s5, s7, s5
	s_wait_alu 0xfffe
	s_add_co_i32 s6, s4, 1
	s_cmp_ge_u32 s5, s3
	s_cselect_b32 s3, s6, s4
	s_load_b512 s[4:19], s[0:1], 0x0
	s_xor_b32 s3, s3, s24
	s_wait_alu 0xfffe
	s_sub_co_i32 s31, s3, s24
	s_delay_alu instid0(SALU_CYCLE_1) | instskip(NEXT) | instid1(SALU_CYCLE_1)
	s_abs_i32 s29, s31
	s_cvt_f32_u32 s3, s29
	s_wait_alu 0xfffe
	s_delay_alu instid0(SALU_CYCLE_2) | instskip(SKIP_2) | instid1(TRANS32_DEP_1)
	v_rcp_iflag_f32_e32 v1, s3
	s_wait_kmcnt 0x0
	s_cmp_eq_u64 s[10:11], 0
	v_readfirstlane_b32 s27, v1
	s_cbranch_scc1 .LBB61_2
; %bb.1:
	s_abs_i32 s3, s38
	s_wait_alu 0xfffe
	s_cvt_f32_u32 s24, s3
	s_delay_alu instid0(SALU_CYCLE_3) | instskip(NEXT) | instid1(TRANS32_DEP_1)
	v_rcp_iflag_f32_e32 v1, s24
	v_readfirstlane_b32 s24, v1
	s_mul_f32 s24, s24, 0x4f7ffffe
	s_wait_alu 0xfffe
	s_delay_alu instid0(SALU_CYCLE_2) | instskip(SKIP_2) | instid1(SALU_CYCLE_1)
	s_cvt_u32_f32 s26, s24
	s_sub_co_i32 s24, 0, s3
	s_wait_alu 0xfffe
	s_mul_i32 s24, s24, s26
	s_wait_alu 0xfffe
	s_mul_hi_u32 s33, s26, s24
	s_load_b64 s[24:25], s[0:1], 0xc8
	s_add_co_i32 s26, s26, s33
	s_delay_alu instid0(SALU_CYCLE_1) | instskip(NEXT) | instid1(SALU_CYCLE_1)
	s_mul_hi_u32 s26, s2, s26
	s_mul_i32 s26, s26, s3
	s_delay_alu instid0(SALU_CYCLE_1) | instskip(NEXT) | instid1(SALU_CYCLE_1)
	s_sub_co_i32 s26, s2, s26
	s_sub_co_i32 s33, s26, s3
	s_cmp_ge_u32 s26, s3
	s_cselect_b32 s26, s33, s26
	s_delay_alu instid0(SALU_CYCLE_1) | instskip(SKIP_2) | instid1(SALU_CYCLE_1)
	s_sub_co_i32 s33, s26, s3
	s_cmp_ge_u32 s26, s3
	s_cselect_b32 s34, s33, s26
	s_ashr_i32 s35, s34, 31
	s_wait_kmcnt 0x0
	s_mul_u64 s[24:25], s[24:25], s[34:35]
	s_wait_alu 0xfffe
	s_add_nc_u64 s[34:35], s[10:11], s[24:25]
.LBB61_2:
	v_bfe_u32 v1, v0, 10, 10
	s_load_b96 s[24:26], s[0:1], 0x70
	v_and_b32_e32 v13, 0x3ff, v0
	s_delay_alu instid0(VALU_DEP_2) | instskip(SKIP_1) | instid1(VALU_DEP_3)
	v_lshl_add_u32 v12, ttmp9, 3, v1
	v_lshl_add_u32 v11, v1, 11, 0x4400
	v_lshlrev_b32_e32 v0, 4, v13
	s_delay_alu instid0(VALU_DEP_3) | instskip(NEXT) | instid1(VALU_DEP_1)
	v_mul_hi_u32 v2, s20, v12
	v_add_nc_u32_e32 v2, v12, v2
	s_wait_kmcnt 0x0
	s_ashr_i32 s11, s24, 31
	s_mov_b32 s10, s24
	s_delay_alu instid0(VALU_DEP_1) | instskip(SKIP_3) | instid1(SALU_CYCLE_1)
	v_lshrrev_b32_e32 v2, s21, v2
	s_lshr_b64 s[20:21], s[10:11], 2
	s_lshr_b32 s3, s11, 2
	s_mul_i32 s10, s2, s26
	s_ashr_i32 s11, s10, 31
	v_mul_lo_u32 v2, v2, s22
	s_add_nc_u64 s[4:5], s[4:5], s[10:11]
	s_delay_alu instid0(VALU_DEP_1) | instskip(SKIP_1) | instid1(VALU_DEP_1)
	v_sub_nc_u32_e32 v2, v12, v2
	s_wait_alu 0xfffe
	v_mad_co_u64_u32 v[3:4], null, s20, v2, 0
	s_mul_i32 s20, s28, s25
	s_wait_alu 0xfffe
	s_ashr_i32 s21, s20, 31
	s_wait_alu 0xfffe
	s_add_nc_u64 s[4:5], s[4:5], s[20:21]
	v_mad_co_u64_u32 v[4:5], null, s3, v2, v[4:5]
	s_and_b32 s3, s25, -4
	v_lshlrev_b64_e32 v[3:4], 2, v[3:4]
	s_wait_alu 0xfffe
	s_delay_alu instid0(VALU_DEP_1) | instskip(NEXT) | instid1(VALU_DEP_1)
	v_add_co_u32 v3, vcc_lo, s4, v3
	v_add_co_ci_u32_e64 v4, null, s5, v4, vcc_lo
	s_ashr_i32 s5, s25, 31
	v_add_co_u32 v26, vcc_lo, v3, v0
	s_wait_alu 0xfffd
	v_add_co_ci_u32_e64 v27, null, 0, v4, vcc_lo
	s_mov_b32 s4, s25
	v_add_co_u32 v18, vcc_lo, v26, s3
	s_wait_alu 0xfffe
	s_lshr_b64 s[10:11], s[4:5], 2
	s_wait_alu 0xfffd
	v_add_co_ci_u32_e64 v19, null, s5, v27, vcc_lo
	s_lshl_b64 s[20:21], s[10:11], 3
	global_load_b128 v[3:6], v[26:27], off
	s_wait_alu 0xfffe
	v_add_co_u32 v28, vcc_lo, v26, s20
	s_clause 0x1
	global_load_b128 v[7:10], v[26:27], off offset:512
	global_load_b128 v[14:17], v[18:19], off
	s_wait_alu 0xfffd
	v_add_co_ci_u32_e64 v29, null, s21, v27, vcc_lo
	v_mad_co_u64_u32 v[26:27], null, s10, 12, v[26:27]
	s_clause 0x2
	global_load_b128 v[18:21], v[18:19], off offset:512
	global_load_b128 v[22:25], v[28:29], off
	global_load_b128 v[30:33], v[28:29], off offset:512
	s_load_b32 s3, s[0:1], 0x40
	s_cmp_eq_u64 s[14:15], 0
	v_dual_mov_b32 v0, v27 :: v_dual_lshlrev_b32 v29, 3, v13
	s_delay_alu instid0(VALU_DEP_1)
	v_mad_co_u64_u32 v[27:28], null, s5, 12, v[0:1]
	s_clause 0x1
	global_load_b128 v[34:37], v[26:27], off
	global_load_b128 v[38:41], v[26:27], off offset:512
	v_add_nc_u32_e32 v0, v11, v29
	s_wait_loadcnt 0x7
	s_wait_kmcnt 0x0
	v_fma_mixlo_f16 v3, s3, v3, 0
	v_fma_mixlo_f16 v4, s3, v4, 0
	v_fma_mixlo_f16 v5, s3, v5, 0
	v_fma_mixlo_f16 v6, s3, v6, 0
	s_wait_loadcnt 0x6
	v_fma_mixlo_f16 v7, s3, v7, 0
	v_fma_mixlo_f16 v8, s3, v8, 0
	;; [unrolled: 1-line block ×4, first 2 shown]
	v_lshlrev_b32_e32 v4, 16, v4
	v_and_b32_e32 v3, 0xffff, v3
	v_lshlrev_b32_e32 v6, 16, v6
	v_and_b32_e32 v5, 0xffff, v5
	;; [unrolled: 2-line block ×4, first 2 shown]
	s_wait_loadcnt 0x5
	v_fma_mixlo_f16 v14, s3, v14, 0
	v_fma_mixlo_f16 v15, s3, v15, 0
	;; [unrolled: 1-line block ×4, first 2 shown]
	s_wait_loadcnt 0x4
	v_fma_mixlo_f16 v18, s3, v18, 0
	v_fma_mixlo_f16 v19, s3, v19, 0
	v_fma_mixlo_f16 v20, s3, v20, 0
	v_fma_mixlo_f16 v21, s3, v21, 0
	s_wait_loadcnt 0x3
	v_fma_mixlo_f16 v22, s3, v22, 0
	v_fma_mixlo_f16 v23, s3, v23, 0
	s_wait_loadcnt 0x2
	v_fma_mixlo_f16 v26, s3, v30, 0
	v_fma_mixlo_f16 v27, s3, v31, 0
	;; [unrolled: 1-line block ×6, first 2 shown]
	v_or_b32_e32 v3, v4, v3
	v_or3_b32 v4, v6, v5, 0
	v_or_b32_e32 v5, v8, v7
	v_or3_b32 v6, v10, v9, 0
	v_lshlrev_b32_e32 v7, 16, v15
	v_and_b32_e32 v8, 0xffff, v14
	v_lshlrev_b32_e32 v9, 16, v17
	v_and_b32_e32 v10, 0xffff, v16
	;; [unrolled: 2-line block ×8, first 2 shown]
	v_or_b32_e32 v7, v7, v8
	v_or3_b32 v8, v9, v10, 0
	v_or_b32_e32 v9, v14, v15
	v_or3_b32 v10, v16, v17, 0
	v_or_b32_e32 v14, v18, v19
	v_or_b32_e32 v16, v22, v23
	s_wait_loadcnt 0x1
	v_fma_mixlo_f16 v18, s3, v34, 0
	v_fma_mixlo_f16 v19, s3, v35, 0
	s_wait_loadcnt 0x0
	v_fma_mixlo_f16 v22, s3, v38, 0
	v_fma_mixlo_f16 v23, s3, v39, 0
	v_or3_b32 v15, v20, v21, 0
	v_or3_b32 v17, v24, v25, 0
	v_fma_mixlo_f16 v20, s3, v36, 0
	v_fma_mixlo_f16 v21, s3, v37, 0
	;; [unrolled: 1-line block ×4, first 2 shown]
	v_lshlrev_b32_e32 v19, 16, v19
	v_and_b32_e32 v18, 0xffff, v18
	v_lshlrev_b32_e32 v23, 16, v23
	v_and_b32_e32 v22, 0xffff, v22
	;; [unrolled: 2-line block ×4, first 2 shown]
	v_or_b32_e32 v18, v19, v18
	v_or_b32_e32 v22, v23, v22
	v_or3_b32 v3, 0, 0, v3
	v_or3_b32 v5, 0, 0, v5
	;; [unrolled: 1-line block ×10, first 2 shown]
	ds_store_2addr_b64 v0, v[3:4], v[5:6] offset1:32
	ds_store_2addr_b64 v0, v[7:8], v[9:10] offset0:64 offset1:96
	ds_store_2addr_b64 v0, v[14:15], v[16:17] offset0:128 offset1:160
	;; [unrolled: 1-line block ×3, first 2 shown]
	s_wait_dscnt 0x0
	s_barrier_signal -1
	s_barrier_wait -1
	global_inv scope:SCOPE_SE
	s_cbranch_scc1 .LBB61_4
; %bb.3:
	s_load_b32 s3, s[0:1], 0xd0
	s_mov_b32 s5, 0
	s_wait_kmcnt 0x0
	s_mul_i32 s3, s3, s2
	s_wait_alu 0xfffe
	s_add_co_i32 s4, s3, ttmp9
	s_wait_alu 0xfffe
	s_lshl_b64 s[4:5], s[4:5], 2
	s_wait_alu 0xfffe
	s_add_nc_u64 s[4:5], s[14:15], s[4:5]
	s_load_b32 s30, s[4:5], 0x0
.LBB61_4:
	s_and_b32 s4, ttmp7, 0xffff
	v_lshlrev_b32_e32 v28, 2, v13
	v_mbcnt_lo_u32_b32 v30, -1, 0
	s_wait_alu 0xfffe
	s_lshl_b32 s10, s4, 6
	s_wait_kmcnt 0x0
	s_wait_alu 0xfffe
	s_cmp_lt_i32 s10, s30
	s_cbranch_scc1 .LBB61_7
; %bb.5:
	v_mbcnt_lo_u32_b32 v4, -1, 0
	v_mov_b32_e32 v31, 32
	s_delay_alu instid0(VALU_DEP_2)
	v_xor_b32_e32 v77, 16, v4
	v_xor_b32_e32 v76, 8, v4
	;; [unrolled: 1-line block ×5, first 2 shown]
	s_mov_b32 s3, 0
	s_cbranch_execz .LBB61_8
; %bb.6:
	v_dual_mov_b32 v52, 0 :: v_dual_mov_b32 v3, 0xfeffffff
	v_dual_mov_b32 v70, 0 :: v_dual_mov_b32 v1, 0xfeffffff
	;; [unrolled: 1-line block ×12, first 2 shown]
	s_branch .LBB61_44
.LBB61_7:
                                        ; implicit-def: $vgpr4
                                        ; implicit-def: $vgpr31
                                        ; implicit-def: $vgpr77
                                        ; implicit-def: $vgpr76
                                        ; implicit-def: $vgpr75
                                        ; implicit-def: $vgpr74
                                        ; implicit-def: $vgpr73
	s_mov_b32 s3, 0
.LBB61_8:
	s_mul_f32 s5, s27, 0x4f7ffffe
	s_clause 0x1
	s_load_b128 s[24:27], s[0:1], 0x98
	s_load_b64 s[20:21], s[0:1], 0x8c
	s_sub_co_i32 s14, 0, s29
	s_abs_i32 s36, s28
	s_cvt_u32_f32 s11, s5
	s_clause 0x1
	s_load_b32 s5, s[0:1], 0x54
	s_load_b64 s[40:41], s[0:1], 0xa8
	s_mov_b32 s15, s37
	s_mul_i32 s14, s14, s11
	s_ashr_i32 s33, s28, 31
	s_mul_hi_u32 s14, s11, s14
	v_lshrrev_b32_e32 v0, 4, v13
	s_add_co_i32 s14, s11, s14
	s_ashr_i32 s11, s31, 31
	s_mul_u64 s[14:15], s[36:37], s[14:15]
	s_wait_alu 0xfffe
	s_xor_b32 s11, s33, s11
	s_mul_i32 s33, s15, s29
	s_ashr_i32 s31, s39, 1
	s_add_co_i32 s37, s15, 1
	v_lshl_add_u32 v0, v1, 1, v0
	s_wait_kmcnt 0x0
	s_ashr_i32 s14, s26, 2
	s_sub_co_i32 s26, s36, s33
	s_ashr_i32 s20, s20, 2
	s_sub_co_i32 s33, s26, s29
	s_cmp_ge_u32 s26, s29
	s_wait_alu 0xfffe
	v_mul_lo_u32 v3, s20, v0
	s_cselect_b32 s15, s37, s15
	s_cselect_b32 s26, s33, s26
	s_add_co_i32 s33, s15, 1
	s_cmp_ge_u32 s26, s29
	v_dual_mov_b32 v64, 0xfeffffff :: v_dual_and_b32 v7, 60, v28
	s_cselect_b32 s15, s33, s15
	s_mul_u64 s[24:25], s[24:25], s[2:3]
	s_xor_b32 s15, s15, s11
	s_mul_u64 s[36:37], s[40:41], s[2:3]
	s_sub_co_i32 s3, s15, s11
	s_wait_alu 0xfffe
	s_add_nc_u64 s[6:7], s[6:7], s[24:25]
	s_mul_i32 s24, s3, s21
	s_mul_i32 s26, s3, s27
	s_lshl_b32 s3, s20, 4
	v_dual_mov_b32 v43, 0 :: v_dual_lshlrev_b32 v4, 2, v7
	s_wait_alu 0xfffe
	v_dual_mov_b32 v46, 0 :: v_dual_add_nc_u32 v5, s3, v3
	v_mov_b32_e32 v31, 32
	s_delay_alu instid0(VALU_DEP_3) | instskip(SKIP_1) | instid1(VALU_DEP_4)
	v_mad_u32_u24 v32, 0x110, v0, v4
	v_mul_lo_u32 v0, s14, v1
	v_dual_mov_b32 v49, 0 :: v_dual_add_nc_u32 v16, s3, v5
	v_dual_mov_b32 v44, 0 :: v_dual_lshlrev_b32 v1, 9, v1
	v_ashrrev_i32_e32 v4, 31, v3
	s_delay_alu instid0(VALU_DEP_3)
	v_dual_mov_b32 v47, 0 :: v_dual_add_nc_u32 v18, s3, v16
	s_lshl_b32 s3, s14, 3
	s_wait_alu 0xfffe
	v_dual_mov_b32 v51, 0 :: v_dual_add_nc_u32 v22, s3, v0
	v_ashrrev_i32_e32 v6, 31, v5
	v_ashrrev_i32_e32 v17, 31, v16
	;; [unrolled: 1-line block ×3, first 2 shown]
	v_lshl_add_u32 v37, v28, 2, v1
	v_add_nc_u32_e32 v24, s3, v22
	v_dual_mov_b32 v53, 0 :: v_dual_add_nc_u32 v38, 0x8400, v1
	v_ashrrev_i32_e32 v1, 31, v0
	v_ashrrev_i32_e32 v23, 31, v22
	s_delay_alu instid0(VALU_DEP_4) | instskip(SKIP_2) | instid1(VALU_DEP_3)
	v_dual_mov_b32 v55, 0 :: v_dual_add_nc_u32 v26, s3, v24
	v_ashrrev_i32_e32 v25, 31, v24
	v_mad_co_u64_u32 v[8:9], null, v2, s31, v[13:14]
	v_ashrrev_i32_e32 v27, 31, v26
	v_lshlrev_b64_e32 v[9:10], 2, v[3:4]
	v_lshlrev_b64_e32 v[14:15], 2, v[5:6]
	;; [unrolled: 1-line block ×8, first 2 shown]
	v_dual_mov_b32 v50, 0 :: v_dual_add_nc_u32 v33, 0x1100, v32
	v_dual_mov_b32 v45, 0 :: v_dual_add_nc_u32 v34, 0x2200, v32
	;; [unrolled: 1-line block ×3, first 2 shown]
	v_mul_u32_u24_e32 v36, 0x110, v13
	v_dual_mov_b32 v48, 0 :: v_dual_add_nc_u32 v39, 0x1000, v37
	v_dual_mov_b32 v57, 0 :: v_dual_add_nc_u32 v40, 0x2000, v37
	v_dual_mov_b32 v56, 0 :: v_dual_add_nc_u32 v41, 0x3000, v37
	v_dual_mov_b32 v65, 0xfeffffff :: v_dual_lshlrev_b32 v42, 2, v7
	v_dual_mov_b32 v58, 0 :: v_dual_mov_b32 v63, 0xfeffffff
	v_dual_mov_b32 v52, 0 :: v_dual_mov_b32 v61, 0
	;; [unrolled: 1-line block ×3, first 2 shown]
	v_mov_b32_e32 v62, 0
	v_mov_b32_e32 v60, 0
	s_ashr_i32 s25, s24, 31
	s_add_nc_u64 s[8:9], s[8:9], s[36:37]
	s_ashr_i32 s27, s26, 31
	s_wait_alu 0xfffe
	s_add_nc_u64 s[6:7], s[6:7], s[24:25]
	s_add_nc_u64 s[8:9], s[8:9], s[26:27]
	s_ashr_i32 s21, s20, 31
	s_ashr_i32 s15, s14, 31
	s_add_nc_u64 s[24:25], s[0:1], 0xd0
	s_mov_b32 s3, 0xbbbac73d
.LBB61_9:                               ; =>This Inner Loop Header: Depth=1
	s_ashr_i32 s11, s10, 31
	s_wait_alu 0xfffe
	s_mul_u64 s[26:27], s[10:11], s[20:21]
	s_wait_alu 0xfffe
	s_lshl_b64 s[26:27], s[26:27], 2
	s_wait_alu 0xfffe
	s_add_nc_u64 s[26:27], s[6:7], s[26:27]
	s_wait_alu 0xfffe
	v_add_co_u32 v0, vcc_lo, s26, v9
	s_wait_alu 0xfffd
	v_add_co_ci_u32_e64 v1, null, s27, v10, vcc_lo
	v_add_co_u32 v2, vcc_lo, s26, v14
	s_wait_alu 0xfffd
	v_add_co_ci_u32_e64 v3, null, s27, v15, vcc_lo
	;; [unrolled: 3-line block ×8, first 2 shown]
	s_clause 0x3
	global_load_b128 v[67:70], v[0:1], off
	global_load_b128 v[71:74], v[2:3], off
	;; [unrolled: 1-line block ×4, first 2 shown]
	s_wait_loadcnt 0x3
	ds_store_b128 v32, v[67:70]
	s_wait_loadcnt 0x2
	ds_store_b128 v33, v[71:74]
	;; [unrolled: 2-line block ×4, first 2 shown]
	s_wait_dscnt 0x0
	s_barrier_signal -1
	s_barrier_wait -1
	global_inv scope:SCOPE_SE
	ds_load_b128 v[75:78], v36
	ds_load_b128 v[79:82], v11
	ds_load_b128 v[83:86], v11 offset:512
	ds_load_b128 v[87:90], v11 offset:1024
	v_dual_mov_b32 v73, 0 :: v_dual_mov_b32 v74, 0
	ds_load_b128 v[91:94], v11 offset:1536
	ds_load_b128 v[95:98], v36 offset:8704
	s_wait_dscnt 0x4
	;;#ASMSTART
	v_dot2_f32_f16 v73, v75, v79, v73
	;;#ASMEND
	;;#ASMSTART
	v_dot2_f32_f16 v73, v76, v80, v73
	;;#ASMEND
	v_dual_mov_b32 v71, 0 :: v_dual_mov_b32 v72, 0
	;;#ASMSTART
	v_dot2_f32_f16 v73, v77, v81, v73
	;;#ASMEND
	;;#ASMSTART
	v_dot2_f32_f16 v73, v78, v82, v73
	;;#ASMEND
	s_wait_dscnt 0x3
	;;#ASMSTART
	v_dot2_f32_f16 v71, v75, v83, v71
	;;#ASMEND
	;;#ASMSTART
	v_dot2_f32_f16 v71, v76, v84, v71
	;;#ASMEND
	v_dual_mov_b32 v69, 0 :: v_dual_mov_b32 v70, 0
	;;#ASMSTART
	v_dot2_f32_f16 v71, v77, v85, v71
	;;#ASMEND
	;;#ASMSTART
	v_dot2_f32_f16 v71, v78, v86, v71
	;;#ASMEND
	;; [unrolled: 14-line block ×3, first 2 shown]
	s_wait_dscnt 0x1
	;;#ASMSTART
	v_dot2_f32_f16 v67, v75, v91, v67
	;;#ASMEND
	;;#ASMSTART
	v_dot2_f32_f16 v67, v76, v92, v67
	;;#ASMEND
	;; [unrolled: 3-line block ×4, first 2 shown]
	s_wait_dscnt 0x0
	;;#ASMSTART
	v_dot2_f32_f16 v74, v95, v79, v74
	;;#ASMEND
	;;#ASMSTART
	v_dot2_f32_f16 v74, v96, v80, v74
	;;#ASMEND
	;; [unrolled: 3-line block ×16, first 2 shown]
	ds_load_b128 v[75:78], v36 offset:16
	ds_load_b128 v[79:82], v11 offset:16
	;; [unrolled: 1-line block ×6, first 2 shown]
	s_wait_dscnt 0x4
	;;#ASMSTART
	v_dot2_f32_f16 v73, v75, v79, v73
	;;#ASMEND
	;;#ASMSTART
	v_dot2_f32_f16 v73, v76, v80, v73
	;;#ASMEND
	;;#ASMSTART
	v_dot2_f32_f16 v73, v77, v81, v73
	;;#ASMEND
	;;#ASMSTART
	v_dot2_f32_f16 v73, v78, v82, v73
	;;#ASMEND
	s_wait_dscnt 0x3
	;;#ASMSTART
	v_dot2_f32_f16 v71, v75, v83, v71
	;;#ASMEND
	;;#ASMSTART
	v_dot2_f32_f16 v71, v76, v84, v71
	;;#ASMEND
	;;#ASMSTART
	v_dot2_f32_f16 v71, v77, v85, v71
	;;#ASMEND
	;;#ASMSTART
	v_dot2_f32_f16 v71, v78, v86, v71
	;;#ASMEND
	;; [unrolled: 13-line block ×5, first 2 shown]
	;;#ASMSTART
	v_dot2_f32_f16 v72, v95, v83, v72
	;;#ASMEND
	;;#ASMSTART
	v_dot2_f32_f16 v72, v96, v84, v72
	;;#ASMEND
	;; [unrolled: 3-line block ×12, first 2 shown]
	ds_load_b128 v[75:78], v36 offset:32
	ds_load_b128 v[79:82], v11 offset:32
	;; [unrolled: 1-line block ×6, first 2 shown]
	s_wait_dscnt 0x4
	;;#ASMSTART
	v_dot2_f32_f16 v73, v75, v79, v73
	;;#ASMEND
	;;#ASMSTART
	v_dot2_f32_f16 v73, v76, v80, v73
	;;#ASMEND
	;;#ASMSTART
	v_dot2_f32_f16 v73, v77, v81, v73
	;;#ASMEND
	;;#ASMSTART
	v_dot2_f32_f16 v73, v78, v82, v73
	;;#ASMEND
	s_wait_dscnt 0x3
	;;#ASMSTART
	v_dot2_f32_f16 v71, v75, v83, v71
	;;#ASMEND
	;;#ASMSTART
	v_dot2_f32_f16 v71, v76, v84, v71
	;;#ASMEND
	;;#ASMSTART
	v_dot2_f32_f16 v71, v77, v85, v71
	;;#ASMEND
	;;#ASMSTART
	v_dot2_f32_f16 v71, v78, v86, v71
	;;#ASMEND
	s_wait_dscnt 0x2
	;;#ASMSTART
	v_dot2_f32_f16 v69, v75, v87, v69
	;;#ASMEND
	;;#ASMSTART
	v_dot2_f32_f16 v69, v76, v88, v69
	;;#ASMEND
	;;#ASMSTART
	v_dot2_f32_f16 v69, v77, v89, v69
	;;#ASMEND
	;;#ASMSTART
	v_dot2_f32_f16 v69, v78, v90, v69
	;;#ASMEND
	s_wait_dscnt 0x1
	;;#ASMSTART
	v_dot2_f32_f16 v67, v75, v91, v67
	;;#ASMEND
	;;#ASMSTART
	v_dot2_f32_f16 v67, v76, v92, v67
	;;#ASMEND
	;;#ASMSTART
	v_dot2_f32_f16 v67, v77, v93, v67
	;;#ASMEND
	;;#ASMSTART
	v_dot2_f32_f16 v67, v78, v94, v67
	;;#ASMEND
	s_wait_dscnt 0x0
	;;#ASMSTART
	v_dot2_f32_f16 v74, v95, v79, v74
	;;#ASMEND
	;;#ASMSTART
	v_dot2_f32_f16 v74, v96, v80, v74
	;;#ASMEND
	;;#ASMSTART
	v_dot2_f32_f16 v74, v97, v81, v74
	;;#ASMEND
	;;#ASMSTART
	v_dot2_f32_f16 v74, v98, v82, v74
	;;#ASMEND
	;;#ASMSTART
	v_dot2_f32_f16 v72, v95, v83, v72
	;;#ASMEND
	;;#ASMSTART
	v_dot2_f32_f16 v72, v96, v84, v72
	;;#ASMEND
	;; [unrolled: 3-line block ×12, first 2 shown]
	ds_load_b128 v[75:78], v36 offset:48
	ds_load_b128 v[79:82], v11 offset:48
	;; [unrolled: 1-line block ×6, first 2 shown]
	s_wait_dscnt 0x4
	;;#ASMSTART
	v_dot2_f32_f16 v73, v75, v79, v73
	;;#ASMEND
	;;#ASMSTART
	v_dot2_f32_f16 v73, v76, v80, v73
	;;#ASMEND
	;;#ASMSTART
	v_dot2_f32_f16 v73, v77, v81, v73
	;;#ASMEND
	;;#ASMSTART
	v_dot2_f32_f16 v73, v78, v82, v73
	;;#ASMEND
	s_wait_dscnt 0x3
	;;#ASMSTART
	v_dot2_f32_f16 v71, v75, v83, v71
	;;#ASMEND
	;;#ASMSTART
	v_dot2_f32_f16 v71, v76, v84, v71
	;;#ASMEND
	;;#ASMSTART
	v_dot2_f32_f16 v71, v77, v85, v71
	;;#ASMEND
	;;#ASMSTART
	v_dot2_f32_f16 v71, v78, v86, v71
	;;#ASMEND
	;; [unrolled: 13-line block ×5, first 2 shown]
	;;#ASMSTART
	v_dot2_f32_f16 v72, v95, v83, v72
	;;#ASMEND
	;;#ASMSTART
	v_dot2_f32_f16 v72, v96, v84, v72
	;;#ASMEND
	;; [unrolled: 3-line block ×12, first 2 shown]
	ds_load_b128 v[75:78], v36 offset:64
	ds_load_b128 v[79:82], v11 offset:64
	ds_load_b128 v[83:86], v11 offset:576
	ds_load_b128 v[87:90], v11 offset:1088
	ds_load_b128 v[91:94], v11 offset:1600
	ds_load_b128 v[95:98], v36 offset:8768
	s_wait_dscnt 0x4
	;;#ASMSTART
	v_dot2_f32_f16 v73, v75, v79, v73
	;;#ASMEND
	;;#ASMSTART
	v_dot2_f32_f16 v73, v76, v80, v73
	;;#ASMEND
	;;#ASMSTART
	v_dot2_f32_f16 v73, v77, v81, v73
	;;#ASMEND
	;;#ASMSTART
	v_dot2_f32_f16 v73, v78, v82, v73
	;;#ASMEND
	s_wait_dscnt 0x3
	;;#ASMSTART
	v_dot2_f32_f16 v71, v75, v83, v71
	;;#ASMEND
	;;#ASMSTART
	v_dot2_f32_f16 v71, v76, v84, v71
	;;#ASMEND
	;;#ASMSTART
	v_dot2_f32_f16 v71, v77, v85, v71
	;;#ASMEND
	;;#ASMSTART
	v_dot2_f32_f16 v71, v78, v86, v71
	;;#ASMEND
	;; [unrolled: 13-line block ×5, first 2 shown]
	;;#ASMSTART
	v_dot2_f32_f16 v72, v95, v83, v72
	;;#ASMEND
	;;#ASMSTART
	v_dot2_f32_f16 v72, v96, v84, v72
	;;#ASMEND
	;; [unrolled: 3-line block ×12, first 2 shown]
	ds_load_b128 v[75:78], v36 offset:80
	ds_load_b128 v[79:82], v11 offset:80
	;; [unrolled: 1-line block ×6, first 2 shown]
	s_wait_dscnt 0x4
	;;#ASMSTART
	v_dot2_f32_f16 v73, v75, v79, v73
	;;#ASMEND
	;;#ASMSTART
	v_dot2_f32_f16 v73, v76, v80, v73
	;;#ASMEND
	;;#ASMSTART
	v_dot2_f32_f16 v73, v77, v81, v73
	;;#ASMEND
	;;#ASMSTART
	v_dot2_f32_f16 v73, v78, v82, v73
	;;#ASMEND
	s_wait_dscnt 0x3
	;;#ASMSTART
	v_dot2_f32_f16 v71, v75, v83, v71
	;;#ASMEND
	;;#ASMSTART
	v_dot2_f32_f16 v71, v76, v84, v71
	;;#ASMEND
	;;#ASMSTART
	v_dot2_f32_f16 v71, v77, v85, v71
	;;#ASMEND
	;;#ASMSTART
	v_dot2_f32_f16 v71, v78, v86, v71
	;;#ASMEND
	;; [unrolled: 13-line block ×5, first 2 shown]
	;;#ASMSTART
	v_dot2_f32_f16 v72, v95, v83, v72
	;;#ASMEND
	;;#ASMSTART
	v_dot2_f32_f16 v72, v96, v84, v72
	;;#ASMEND
	;;#ASMSTART
	v_dot2_f32_f16 v72, v97, v85, v72
	;;#ASMEND
	;;#ASMSTART
	v_dot2_f32_f16 v72, v98, v86, v72
	;;#ASMEND
	;;#ASMSTART
	v_dot2_f32_f16 v70, v95, v87, v70
	;;#ASMEND
	;;#ASMSTART
	v_dot2_f32_f16 v70, v96, v88, v70
	;;#ASMEND
	;;#ASMSTART
	v_dot2_f32_f16 v70, v97, v89, v70
	;;#ASMEND
	;;#ASMSTART
	v_dot2_f32_f16 v70, v98, v90, v70
	;;#ASMEND
	;;#ASMSTART
	v_dot2_f32_f16 v68, v95, v91, v68
	;;#ASMEND
	;;#ASMSTART
	v_dot2_f32_f16 v68, v96, v92, v68
	;;#ASMEND
	;;#ASMSTART
	v_dot2_f32_f16 v68, v97, v93, v68
	;;#ASMEND
	;;#ASMSTART
	v_dot2_f32_f16 v68, v98, v94, v68
	;;#ASMEND
	ds_load_b128 v[75:78], v36 offset:96
	ds_load_b128 v[79:82], v11 offset:96
	;; [unrolled: 1-line block ×6, first 2 shown]
	s_wait_dscnt 0x4
	;;#ASMSTART
	v_dot2_f32_f16 v73, v75, v79, v73
	;;#ASMEND
	;;#ASMSTART
	v_dot2_f32_f16 v73, v76, v80, v73
	;;#ASMEND
	;;#ASMSTART
	v_dot2_f32_f16 v73, v77, v81, v73
	;;#ASMEND
	;;#ASMSTART
	v_dot2_f32_f16 v73, v78, v82, v73
	;;#ASMEND
	s_wait_dscnt 0x3
	;;#ASMSTART
	v_dot2_f32_f16 v71, v75, v83, v71
	;;#ASMEND
	;;#ASMSTART
	v_dot2_f32_f16 v71, v76, v84, v71
	;;#ASMEND
	;;#ASMSTART
	v_dot2_f32_f16 v71, v77, v85, v71
	;;#ASMEND
	;;#ASMSTART
	v_dot2_f32_f16 v71, v78, v86, v71
	;;#ASMEND
	;; [unrolled: 13-line block ×5, first 2 shown]
	;;#ASMSTART
	v_dot2_f32_f16 v72, v95, v83, v72
	;;#ASMEND
	;;#ASMSTART
	v_dot2_f32_f16 v72, v96, v84, v72
	;;#ASMEND
	;; [unrolled: 3-line block ×12, first 2 shown]
	ds_load_b128 v[75:78], v36 offset:112
	ds_load_b128 v[79:82], v11 offset:112
	;; [unrolled: 1-line block ×6, first 2 shown]
	s_wait_dscnt 0x4
	;;#ASMSTART
	v_dot2_f32_f16 v73, v75, v79, v73
	;;#ASMEND
	;;#ASMSTART
	v_dot2_f32_f16 v73, v76, v80, v73
	;;#ASMEND
	;;#ASMSTART
	v_dot2_f32_f16 v73, v77, v81, v73
	;;#ASMEND
	;;#ASMSTART
	v_dot2_f32_f16 v73, v78, v82, v73
	;;#ASMEND
	s_wait_dscnt 0x3
	;;#ASMSTART
	v_dot2_f32_f16 v71, v75, v83, v71
	;;#ASMEND
	;;#ASMSTART
	v_dot2_f32_f16 v71, v76, v84, v71
	;;#ASMEND
	;;#ASMSTART
	v_dot2_f32_f16 v71, v77, v85, v71
	;;#ASMEND
	;;#ASMSTART
	v_dot2_f32_f16 v71, v78, v86, v71
	;;#ASMEND
	;; [unrolled: 13-line block ×5, first 2 shown]
	;;#ASMSTART
	v_dot2_f32_f16 v72, v95, v83, v72
	;;#ASMEND
	;;#ASMSTART
	v_dot2_f32_f16 v72, v96, v84, v72
	;;#ASMEND
	;; [unrolled: 3-line block ×12, first 2 shown]
	ds_load_b128 v[75:78], v36 offset:128
	ds_load_b128 v[79:82], v11 offset:128
	;; [unrolled: 1-line block ×6, first 2 shown]
	s_wait_dscnt 0x4
	;;#ASMSTART
	v_dot2_f32_f16 v73, v75, v79, v73
	;;#ASMEND
	;;#ASMSTART
	v_dot2_f32_f16 v73, v76, v80, v73
	;;#ASMEND
	;;#ASMSTART
	v_dot2_f32_f16 v73, v77, v81, v73
	;;#ASMEND
	;;#ASMSTART
	v_dot2_f32_f16 v73, v78, v82, v73
	;;#ASMEND
	s_wait_dscnt 0x3
	;;#ASMSTART
	v_dot2_f32_f16 v71, v75, v83, v71
	;;#ASMEND
	;;#ASMSTART
	v_dot2_f32_f16 v71, v76, v84, v71
	;;#ASMEND
	;;#ASMSTART
	v_dot2_f32_f16 v71, v77, v85, v71
	;;#ASMEND
	;;#ASMSTART
	v_dot2_f32_f16 v71, v78, v86, v71
	;;#ASMEND
	;; [unrolled: 13-line block ×5, first 2 shown]
	;;#ASMSTART
	v_dot2_f32_f16 v72, v95, v83, v72
	;;#ASMEND
	;;#ASMSTART
	v_dot2_f32_f16 v72, v96, v84, v72
	;;#ASMEND
	;;#ASMSTART
	v_dot2_f32_f16 v72, v97, v85, v72
	;;#ASMEND
	;;#ASMSTART
	v_dot2_f32_f16 v72, v98, v86, v72
	;;#ASMEND
	;;#ASMSTART
	v_dot2_f32_f16 v70, v95, v87, v70
	;;#ASMEND
	;;#ASMSTART
	v_dot2_f32_f16 v70, v96, v88, v70
	;;#ASMEND
	;;#ASMSTART
	v_dot2_f32_f16 v70, v97, v89, v70
	;;#ASMEND
	;;#ASMSTART
	v_dot2_f32_f16 v70, v98, v90, v70
	;;#ASMEND
	;;#ASMSTART
	v_dot2_f32_f16 v68, v95, v91, v68
	;;#ASMEND
	;;#ASMSTART
	v_dot2_f32_f16 v68, v96, v92, v68
	;;#ASMEND
	;;#ASMSTART
	v_dot2_f32_f16 v68, v97, v93, v68
	;;#ASMEND
	;;#ASMSTART
	v_dot2_f32_f16 v68, v98, v94, v68
	;;#ASMEND
	ds_load_b128 v[75:78], v36 offset:144
	ds_load_b128 v[79:82], v11 offset:144
	;; [unrolled: 1-line block ×6, first 2 shown]
	s_wait_dscnt 0x4
	;;#ASMSTART
	v_dot2_f32_f16 v73, v75, v79, v73
	;;#ASMEND
	;;#ASMSTART
	v_dot2_f32_f16 v73, v76, v80, v73
	;;#ASMEND
	;;#ASMSTART
	v_dot2_f32_f16 v73, v77, v81, v73
	;;#ASMEND
	;;#ASMSTART
	v_dot2_f32_f16 v73, v78, v82, v73
	;;#ASMEND
	s_wait_dscnt 0x3
	;;#ASMSTART
	v_dot2_f32_f16 v71, v75, v83, v71
	;;#ASMEND
	;;#ASMSTART
	v_dot2_f32_f16 v71, v76, v84, v71
	;;#ASMEND
	;;#ASMSTART
	v_dot2_f32_f16 v71, v77, v85, v71
	;;#ASMEND
	;;#ASMSTART
	v_dot2_f32_f16 v71, v78, v86, v71
	;;#ASMEND
	;; [unrolled: 13-line block ×5, first 2 shown]
	;;#ASMSTART
	v_dot2_f32_f16 v72, v95, v83, v72
	;;#ASMEND
	;;#ASMSTART
	v_dot2_f32_f16 v72, v96, v84, v72
	;;#ASMEND
	;; [unrolled: 3-line block ×12, first 2 shown]
	ds_load_b128 v[75:78], v36 offset:160
	ds_load_b128 v[79:82], v11 offset:160
	;; [unrolled: 1-line block ×6, first 2 shown]
	s_wait_dscnt 0x4
	;;#ASMSTART
	v_dot2_f32_f16 v73, v75, v79, v73
	;;#ASMEND
	;;#ASMSTART
	v_dot2_f32_f16 v73, v76, v80, v73
	;;#ASMEND
	;;#ASMSTART
	v_dot2_f32_f16 v73, v77, v81, v73
	;;#ASMEND
	;;#ASMSTART
	v_dot2_f32_f16 v73, v78, v82, v73
	;;#ASMEND
	s_wait_dscnt 0x3
	;;#ASMSTART
	v_dot2_f32_f16 v71, v75, v83, v71
	;;#ASMEND
	;;#ASMSTART
	v_dot2_f32_f16 v71, v76, v84, v71
	;;#ASMEND
	;;#ASMSTART
	v_dot2_f32_f16 v71, v77, v85, v71
	;;#ASMEND
	;;#ASMSTART
	v_dot2_f32_f16 v71, v78, v86, v71
	;;#ASMEND
	;; [unrolled: 13-line block ×5, first 2 shown]
	;;#ASMSTART
	v_dot2_f32_f16 v72, v95, v83, v72
	;;#ASMEND
	;;#ASMSTART
	v_dot2_f32_f16 v72, v96, v84, v72
	;;#ASMEND
	;; [unrolled: 3-line block ×12, first 2 shown]
	ds_load_b128 v[75:78], v36 offset:176
	ds_load_b128 v[79:82], v11 offset:176
	;; [unrolled: 1-line block ×6, first 2 shown]
	s_wait_dscnt 0x4
	;;#ASMSTART
	v_dot2_f32_f16 v73, v75, v79, v73
	;;#ASMEND
	;;#ASMSTART
	v_dot2_f32_f16 v73, v76, v80, v73
	;;#ASMEND
	;;#ASMSTART
	v_dot2_f32_f16 v73, v77, v81, v73
	;;#ASMEND
	;;#ASMSTART
	v_dot2_f32_f16 v73, v78, v82, v73
	;;#ASMEND
	s_wait_dscnt 0x3
	;;#ASMSTART
	v_dot2_f32_f16 v71, v75, v83, v71
	;;#ASMEND
	;;#ASMSTART
	v_dot2_f32_f16 v71, v76, v84, v71
	;;#ASMEND
	;;#ASMSTART
	v_dot2_f32_f16 v71, v77, v85, v71
	;;#ASMEND
	;;#ASMSTART
	v_dot2_f32_f16 v71, v78, v86, v71
	;;#ASMEND
	;; [unrolled: 13-line block ×5, first 2 shown]
	;;#ASMSTART
	v_dot2_f32_f16 v72, v95, v83, v72
	;;#ASMEND
	;;#ASMSTART
	v_dot2_f32_f16 v72, v96, v84, v72
	;;#ASMEND
	;; [unrolled: 3-line block ×12, first 2 shown]
	ds_load_b128 v[75:78], v36 offset:192
	ds_load_b128 v[79:82], v11 offset:192
	;; [unrolled: 1-line block ×6, first 2 shown]
	s_wait_dscnt 0x4
	;;#ASMSTART
	v_dot2_f32_f16 v73, v75, v79, v73
	;;#ASMEND
	;;#ASMSTART
	v_dot2_f32_f16 v73, v76, v80, v73
	;;#ASMEND
	;;#ASMSTART
	v_dot2_f32_f16 v73, v77, v81, v73
	;;#ASMEND
	;;#ASMSTART
	v_dot2_f32_f16 v73, v78, v82, v73
	;;#ASMEND
	s_wait_dscnt 0x3
	;;#ASMSTART
	v_dot2_f32_f16 v71, v75, v83, v71
	;;#ASMEND
	;;#ASMSTART
	v_dot2_f32_f16 v71, v76, v84, v71
	;;#ASMEND
	;;#ASMSTART
	v_dot2_f32_f16 v71, v77, v85, v71
	;;#ASMEND
	;;#ASMSTART
	v_dot2_f32_f16 v71, v78, v86, v71
	;;#ASMEND
	s_wait_dscnt 0x2
	;;#ASMSTART
	v_dot2_f32_f16 v69, v75, v87, v69
	;;#ASMEND
	;;#ASMSTART
	v_dot2_f32_f16 v69, v76, v88, v69
	;;#ASMEND
	;;#ASMSTART
	v_dot2_f32_f16 v69, v77, v89, v69
	;;#ASMEND
	;;#ASMSTART
	v_dot2_f32_f16 v69, v78, v90, v69
	;;#ASMEND
	s_wait_dscnt 0x1
	;;#ASMSTART
	v_dot2_f32_f16 v67, v75, v91, v67
	;;#ASMEND
	;;#ASMSTART
	v_dot2_f32_f16 v67, v76, v92, v67
	;;#ASMEND
	;;#ASMSTART
	v_dot2_f32_f16 v67, v77, v93, v67
	;;#ASMEND
	;;#ASMSTART
	v_dot2_f32_f16 v67, v78, v94, v67
	;;#ASMEND
	s_wait_dscnt 0x0
	;;#ASMSTART
	v_dot2_f32_f16 v74, v95, v79, v74
	;;#ASMEND
	;;#ASMSTART
	v_dot2_f32_f16 v74, v96, v80, v74
	;;#ASMEND
	;;#ASMSTART
	v_dot2_f32_f16 v74, v97, v81, v74
	;;#ASMEND
	;;#ASMSTART
	v_dot2_f32_f16 v74, v98, v82, v74
	;;#ASMEND
	;;#ASMSTART
	v_dot2_f32_f16 v72, v95, v83, v72
	;;#ASMEND
	;;#ASMSTART
	v_dot2_f32_f16 v72, v96, v84, v72
	;;#ASMEND
	;; [unrolled: 3-line block ×12, first 2 shown]
	ds_load_b128 v[75:78], v36 offset:208
	ds_load_b128 v[79:82], v11 offset:208
	ds_load_b128 v[83:86], v11 offset:720
	ds_load_b128 v[87:90], v11 offset:1232
	ds_load_b128 v[91:94], v11 offset:1744
	ds_load_b128 v[95:98], v36 offset:8912
	s_wait_dscnt 0x4
	;;#ASMSTART
	v_dot2_f32_f16 v73, v75, v79, v73
	;;#ASMEND
	;;#ASMSTART
	v_dot2_f32_f16 v73, v76, v80, v73
	;;#ASMEND
	;;#ASMSTART
	v_dot2_f32_f16 v73, v77, v81, v73
	;;#ASMEND
	;;#ASMSTART
	v_dot2_f32_f16 v73, v78, v82, v73
	;;#ASMEND
	s_wait_dscnt 0x3
	;;#ASMSTART
	v_dot2_f32_f16 v71, v75, v83, v71
	;;#ASMEND
	;;#ASMSTART
	v_dot2_f32_f16 v71, v76, v84, v71
	;;#ASMEND
	;;#ASMSTART
	v_dot2_f32_f16 v71, v77, v85, v71
	;;#ASMEND
	;;#ASMSTART
	v_dot2_f32_f16 v71, v78, v86, v71
	;;#ASMEND
	s_wait_dscnt 0x2
	;;#ASMSTART
	v_dot2_f32_f16 v69, v75, v87, v69
	;;#ASMEND
	;;#ASMSTART
	v_dot2_f32_f16 v69, v76, v88, v69
	;;#ASMEND
	;;#ASMSTART
	v_dot2_f32_f16 v69, v77, v89, v69
	;;#ASMEND
	;;#ASMSTART
	v_dot2_f32_f16 v69, v78, v90, v69
	;;#ASMEND
	s_wait_dscnt 0x1
	;;#ASMSTART
	v_dot2_f32_f16 v67, v75, v91, v67
	;;#ASMEND
	;;#ASMSTART
	v_dot2_f32_f16 v67, v76, v92, v67
	;;#ASMEND
	;;#ASMSTART
	v_dot2_f32_f16 v67, v77, v93, v67
	;;#ASMEND
	;;#ASMSTART
	v_dot2_f32_f16 v67, v78, v94, v67
	;;#ASMEND
	s_wait_dscnt 0x0
	;;#ASMSTART
	v_dot2_f32_f16 v74, v95, v79, v74
	;;#ASMEND
	;;#ASMSTART
	v_dot2_f32_f16 v74, v96, v80, v74
	;;#ASMEND
	;;#ASMSTART
	v_dot2_f32_f16 v74, v97, v81, v74
	;;#ASMEND
	;;#ASMSTART
	v_dot2_f32_f16 v74, v98, v82, v74
	;;#ASMEND
	;;#ASMSTART
	v_dot2_f32_f16 v72, v95, v83, v72
	;;#ASMEND
	;;#ASMSTART
	v_dot2_f32_f16 v72, v96, v84, v72
	;;#ASMEND
	;; [unrolled: 3-line block ×12, first 2 shown]
	ds_load_b128 v[75:78], v36 offset:224
	ds_load_b128 v[79:82], v11 offset:224
	;; [unrolled: 1-line block ×6, first 2 shown]
	s_wait_dscnt 0x4
	;;#ASMSTART
	v_dot2_f32_f16 v73, v75, v79, v73
	;;#ASMEND
	;;#ASMSTART
	v_dot2_f32_f16 v73, v76, v80, v73
	;;#ASMEND
	;;#ASMSTART
	v_dot2_f32_f16 v73, v77, v81, v73
	;;#ASMEND
	;;#ASMSTART
	v_dot2_f32_f16 v73, v78, v82, v73
	;;#ASMEND
	s_wait_dscnt 0x3
	;;#ASMSTART
	v_dot2_f32_f16 v71, v75, v83, v71
	;;#ASMEND
	;;#ASMSTART
	v_dot2_f32_f16 v71, v76, v84, v71
	;;#ASMEND
	;;#ASMSTART
	v_dot2_f32_f16 v71, v77, v85, v71
	;;#ASMEND
	;;#ASMSTART
	v_dot2_f32_f16 v71, v78, v86, v71
	;;#ASMEND
	;; [unrolled: 13-line block ×5, first 2 shown]
	;;#ASMSTART
	v_dot2_f32_f16 v72, v95, v83, v72
	;;#ASMEND
	;;#ASMSTART
	v_dot2_f32_f16 v72, v96, v84, v72
	;;#ASMEND
	;; [unrolled: 3-line block ×12, first 2 shown]
	ds_load_b128 v[75:78], v36 offset:240
	ds_load_b128 v[79:82], v11 offset:240
	;; [unrolled: 1-line block ×6, first 2 shown]
	s_wait_dscnt 0x4
	;;#ASMSTART
	v_dot2_f32_f16 v73, v75, v79, v73
	;;#ASMEND
	;;#ASMSTART
	v_dot2_f32_f16 v73, v76, v80, v73
	;;#ASMEND
	;;#ASMSTART
	v_dot2_f32_f16 v73, v77, v81, v73
	;;#ASMEND
	;;#ASMSTART
	v_dot2_f32_f16 v73, v78, v82, v73
	;;#ASMEND
	s_wait_dscnt 0x3
	;;#ASMSTART
	v_dot2_f32_f16 v71, v75, v83, v71
	;;#ASMEND
	;;#ASMSTART
	v_dot2_f32_f16 v71, v76, v84, v71
	;;#ASMEND
	;;#ASMSTART
	v_dot2_f32_f16 v71, v77, v85, v71
	;;#ASMEND
	;;#ASMSTART
	v_dot2_f32_f16 v71, v78, v86, v71
	;;#ASMEND
	;; [unrolled: 13-line block ×5, first 2 shown]
	;;#ASMSTART
	v_dot2_f32_f16 v72, v95, v83, v72
	;;#ASMEND
	;;#ASMSTART
	v_dot2_f32_f16 v72, v96, v84, v72
	;;#ASMEND
	;; [unrolled: 3-line block ×12, first 2 shown]
	s_wait_loadcnt 0x0
	s_barrier_signal -1
	s_barrier_wait -1
	global_inv scope:SCOPE_SE
	s_clause 0x3
	global_load_b128 v[75:78], v[0:1], off offset:256
	global_load_b128 v[0:3], v[2:3], off offset:256
	global_load_b128 v[79:82], v[4:5], off offset:256
	global_load_b128 v[4:7], v[6:7], off offset:256
	s_wait_loadcnt 0x3
	ds_store_b128 v32, v[75:78]
	s_wait_loadcnt 0x2
	ds_store_b128 v33, v[0:3]
	;; [unrolled: 2-line block ×4, first 2 shown]
	s_wait_dscnt 0x0
	s_barrier_signal -1
	s_barrier_wait -1
	global_inv scope:SCOPE_SE
	ds_load_b128 v[0:3], v36
	ds_load_b128 v[4:7], v11 offset:256
	ds_load_b128 v[75:78], v11 offset:768
	;; [unrolled: 1-line block ×5, first 2 shown]
	s_wait_dscnt 0x4
	;;#ASMSTART
	v_dot2_f32_f16 v73, v0, v4, v73
	;;#ASMEND
	;;#ASMSTART
	v_dot2_f32_f16 v73, v1, v5, v73
	;;#ASMEND
	;;#ASMSTART
	v_dot2_f32_f16 v73, v2, v6, v73
	;;#ASMEND
	;;#ASMSTART
	v_dot2_f32_f16 v73, v3, v7, v73
	;;#ASMEND
	s_wait_dscnt 0x3
	;;#ASMSTART
	v_dot2_f32_f16 v71, v0, v75, v71
	;;#ASMEND
	;;#ASMSTART
	v_dot2_f32_f16 v71, v1, v76, v71
	;;#ASMEND
	;;#ASMSTART
	v_dot2_f32_f16 v71, v2, v77, v71
	;;#ASMEND
	;;#ASMSTART
	v_dot2_f32_f16 v71, v3, v78, v71
	;;#ASMEND
	s_wait_dscnt 0x2
	;;#ASMSTART
	v_dot2_f32_f16 v69, v0, v79, v69
	;;#ASMEND
	;;#ASMSTART
	v_dot2_f32_f16 v69, v1, v80, v69
	;;#ASMEND
	;;#ASMSTART
	v_dot2_f32_f16 v69, v2, v81, v69
	;;#ASMEND
	;;#ASMSTART
	v_dot2_f32_f16 v69, v3, v82, v69
	;;#ASMEND
	s_wait_dscnt 0x1
	;;#ASMSTART
	v_dot2_f32_f16 v67, v0, v83, v67
	;;#ASMEND
	;;#ASMSTART
	v_dot2_f32_f16 v67, v1, v84, v67
	;;#ASMEND
	;;#ASMSTART
	v_dot2_f32_f16 v67, v2, v85, v67
	;;#ASMEND
	;;#ASMSTART
	v_dot2_f32_f16 v67, v3, v86, v67
	;;#ASMEND
	s_wait_dscnt 0x0
	;;#ASMSTART
	v_dot2_f32_f16 v74, v87, v4, v74
	;;#ASMEND
	;;#ASMSTART
	v_dot2_f32_f16 v74, v88, v5, v74
	;;#ASMEND
	;;#ASMSTART
	v_dot2_f32_f16 v74, v89, v6, v74
	;;#ASMEND
	;;#ASMSTART
	v_dot2_f32_f16 v74, v90, v7, v74
	;;#ASMEND
	;;#ASMSTART
	v_dot2_f32_f16 v72, v87, v75, v72
	;;#ASMEND
	;;#ASMSTART
	v_dot2_f32_f16 v72, v88, v76, v72
	;;#ASMEND
	;; [unrolled: 3-line block ×12, first 2 shown]
	ds_load_b128 v[0:3], v36 offset:16
	ds_load_b128 v[4:7], v11 offset:272
	;; [unrolled: 1-line block ×6, first 2 shown]
	s_wait_dscnt 0x4
	;;#ASMSTART
	v_dot2_f32_f16 v73, v0, v4, v73
	;;#ASMEND
	;;#ASMSTART
	v_dot2_f32_f16 v73, v1, v5, v73
	;;#ASMEND
	;;#ASMSTART
	v_dot2_f32_f16 v73, v2, v6, v73
	;;#ASMEND
	;;#ASMSTART
	v_dot2_f32_f16 v73, v3, v7, v73
	;;#ASMEND
	s_wait_dscnt 0x3
	;;#ASMSTART
	v_dot2_f32_f16 v71, v0, v75, v71
	;;#ASMEND
	;;#ASMSTART
	v_dot2_f32_f16 v71, v1, v76, v71
	;;#ASMEND
	;;#ASMSTART
	v_dot2_f32_f16 v71, v2, v77, v71
	;;#ASMEND
	;;#ASMSTART
	v_dot2_f32_f16 v71, v3, v78, v71
	;;#ASMEND
	;; [unrolled: 13-line block ×5, first 2 shown]
	;;#ASMSTART
	v_dot2_f32_f16 v72, v87, v75, v72
	;;#ASMEND
	;;#ASMSTART
	v_dot2_f32_f16 v72, v88, v76, v72
	;;#ASMEND
	;; [unrolled: 3-line block ×12, first 2 shown]
	ds_load_b128 v[0:3], v36 offset:32
	ds_load_b128 v[4:7], v11 offset:288
	;; [unrolled: 1-line block ×6, first 2 shown]
	s_wait_dscnt 0x4
	;;#ASMSTART
	v_dot2_f32_f16 v73, v0, v4, v73
	;;#ASMEND
	;;#ASMSTART
	v_dot2_f32_f16 v73, v1, v5, v73
	;;#ASMEND
	;;#ASMSTART
	v_dot2_f32_f16 v73, v2, v6, v73
	;;#ASMEND
	;;#ASMSTART
	v_dot2_f32_f16 v73, v3, v7, v73
	;;#ASMEND
	s_wait_dscnt 0x3
	;;#ASMSTART
	v_dot2_f32_f16 v71, v0, v75, v71
	;;#ASMEND
	;;#ASMSTART
	v_dot2_f32_f16 v71, v1, v76, v71
	;;#ASMEND
	;;#ASMSTART
	v_dot2_f32_f16 v71, v2, v77, v71
	;;#ASMEND
	;;#ASMSTART
	v_dot2_f32_f16 v71, v3, v78, v71
	;;#ASMEND
	;; [unrolled: 13-line block ×5, first 2 shown]
	;;#ASMSTART
	v_dot2_f32_f16 v72, v87, v75, v72
	;;#ASMEND
	;;#ASMSTART
	v_dot2_f32_f16 v72, v88, v76, v72
	;;#ASMEND
	;; [unrolled: 3-line block ×12, first 2 shown]
	ds_load_b128 v[0:3], v36 offset:48
	ds_load_b128 v[4:7], v11 offset:304
	;; [unrolled: 1-line block ×6, first 2 shown]
	s_wait_dscnt 0x4
	;;#ASMSTART
	v_dot2_f32_f16 v73, v0, v4, v73
	;;#ASMEND
	;;#ASMSTART
	v_dot2_f32_f16 v73, v1, v5, v73
	;;#ASMEND
	;;#ASMSTART
	v_dot2_f32_f16 v73, v2, v6, v73
	;;#ASMEND
	;;#ASMSTART
	v_dot2_f32_f16 v73, v3, v7, v73
	;;#ASMEND
	s_wait_dscnt 0x3
	;;#ASMSTART
	v_dot2_f32_f16 v71, v0, v75, v71
	;;#ASMEND
	;;#ASMSTART
	v_dot2_f32_f16 v71, v1, v76, v71
	;;#ASMEND
	;;#ASMSTART
	v_dot2_f32_f16 v71, v2, v77, v71
	;;#ASMEND
	;;#ASMSTART
	v_dot2_f32_f16 v71, v3, v78, v71
	;;#ASMEND
	;; [unrolled: 13-line block ×5, first 2 shown]
	;;#ASMSTART
	v_dot2_f32_f16 v72, v87, v75, v72
	;;#ASMEND
	;;#ASMSTART
	v_dot2_f32_f16 v72, v88, v76, v72
	;;#ASMEND
	;; [unrolled: 3-line block ×12, first 2 shown]
	ds_load_b128 v[0:3], v36 offset:64
	ds_load_b128 v[4:7], v11 offset:320
	;; [unrolled: 1-line block ×6, first 2 shown]
	s_wait_dscnt 0x4
	;;#ASMSTART
	v_dot2_f32_f16 v73, v0, v4, v73
	;;#ASMEND
	;;#ASMSTART
	v_dot2_f32_f16 v73, v1, v5, v73
	;;#ASMEND
	;;#ASMSTART
	v_dot2_f32_f16 v73, v2, v6, v73
	;;#ASMEND
	;;#ASMSTART
	v_dot2_f32_f16 v73, v3, v7, v73
	;;#ASMEND
	s_wait_dscnt 0x3
	;;#ASMSTART
	v_dot2_f32_f16 v71, v0, v75, v71
	;;#ASMEND
	;;#ASMSTART
	v_dot2_f32_f16 v71, v1, v76, v71
	;;#ASMEND
	;;#ASMSTART
	v_dot2_f32_f16 v71, v2, v77, v71
	;;#ASMEND
	;;#ASMSTART
	v_dot2_f32_f16 v71, v3, v78, v71
	;;#ASMEND
	;; [unrolled: 13-line block ×5, first 2 shown]
	;;#ASMSTART
	v_dot2_f32_f16 v72, v87, v75, v72
	;;#ASMEND
	;;#ASMSTART
	v_dot2_f32_f16 v72, v88, v76, v72
	;;#ASMEND
	;; [unrolled: 3-line block ×12, first 2 shown]
	ds_load_b128 v[0:3], v36 offset:80
	ds_load_b128 v[4:7], v11 offset:336
	;; [unrolled: 1-line block ×6, first 2 shown]
	s_wait_dscnt 0x4
	;;#ASMSTART
	v_dot2_f32_f16 v73, v0, v4, v73
	;;#ASMEND
	;;#ASMSTART
	v_dot2_f32_f16 v73, v1, v5, v73
	;;#ASMEND
	;;#ASMSTART
	v_dot2_f32_f16 v73, v2, v6, v73
	;;#ASMEND
	;;#ASMSTART
	v_dot2_f32_f16 v73, v3, v7, v73
	;;#ASMEND
	s_wait_dscnt 0x3
	;;#ASMSTART
	v_dot2_f32_f16 v71, v0, v75, v71
	;;#ASMEND
	;;#ASMSTART
	v_dot2_f32_f16 v71, v1, v76, v71
	;;#ASMEND
	;;#ASMSTART
	v_dot2_f32_f16 v71, v2, v77, v71
	;;#ASMEND
	;;#ASMSTART
	v_dot2_f32_f16 v71, v3, v78, v71
	;;#ASMEND
	;; [unrolled: 13-line block ×5, first 2 shown]
	;;#ASMSTART
	v_dot2_f32_f16 v72, v87, v75, v72
	;;#ASMEND
	;;#ASMSTART
	v_dot2_f32_f16 v72, v88, v76, v72
	;;#ASMEND
	;; [unrolled: 3-line block ×12, first 2 shown]
	ds_load_b128 v[0:3], v36 offset:96
	ds_load_b128 v[4:7], v11 offset:352
	;; [unrolled: 1-line block ×6, first 2 shown]
	s_wait_dscnt 0x4
	;;#ASMSTART
	v_dot2_f32_f16 v73, v0, v4, v73
	;;#ASMEND
	;;#ASMSTART
	v_dot2_f32_f16 v73, v1, v5, v73
	;;#ASMEND
	;;#ASMSTART
	v_dot2_f32_f16 v73, v2, v6, v73
	;;#ASMEND
	;;#ASMSTART
	v_dot2_f32_f16 v73, v3, v7, v73
	;;#ASMEND
	s_wait_dscnt 0x3
	;;#ASMSTART
	v_dot2_f32_f16 v71, v0, v75, v71
	;;#ASMEND
	;;#ASMSTART
	v_dot2_f32_f16 v71, v1, v76, v71
	;;#ASMEND
	;;#ASMSTART
	v_dot2_f32_f16 v71, v2, v77, v71
	;;#ASMEND
	;;#ASMSTART
	v_dot2_f32_f16 v71, v3, v78, v71
	;;#ASMEND
	;; [unrolled: 13-line block ×5, first 2 shown]
	;;#ASMSTART
	v_dot2_f32_f16 v72, v87, v75, v72
	;;#ASMEND
	;;#ASMSTART
	v_dot2_f32_f16 v72, v88, v76, v72
	;;#ASMEND
	;; [unrolled: 3-line block ×12, first 2 shown]
	ds_load_b128 v[0:3], v36 offset:112
	ds_load_b128 v[4:7], v11 offset:368
	ds_load_b128 v[75:78], v11 offset:880
	ds_load_b128 v[79:82], v11 offset:1392
	ds_load_b128 v[83:86], v11 offset:1904
	ds_load_b128 v[87:90], v36 offset:8816
	s_wait_dscnt 0x4
	;;#ASMSTART
	v_dot2_f32_f16 v73, v0, v4, v73
	;;#ASMEND
	;;#ASMSTART
	v_dot2_f32_f16 v73, v1, v5, v73
	;;#ASMEND
	;;#ASMSTART
	v_dot2_f32_f16 v73, v2, v6, v73
	;;#ASMEND
	;;#ASMSTART
	v_dot2_f32_f16 v73, v3, v7, v73
	;;#ASMEND
	s_wait_dscnt 0x3
	;;#ASMSTART
	v_dot2_f32_f16 v71, v0, v75, v71
	;;#ASMEND
	;;#ASMSTART
	v_dot2_f32_f16 v71, v1, v76, v71
	;;#ASMEND
	;;#ASMSTART
	v_dot2_f32_f16 v71, v2, v77, v71
	;;#ASMEND
	;;#ASMSTART
	v_dot2_f32_f16 v71, v3, v78, v71
	;;#ASMEND
	;; [unrolled: 13-line block ×5, first 2 shown]
	;;#ASMSTART
	v_dot2_f32_f16 v72, v87, v75, v72
	;;#ASMEND
	;;#ASMSTART
	v_dot2_f32_f16 v72, v88, v76, v72
	;;#ASMEND
	;; [unrolled: 3-line block ×12, first 2 shown]
	ds_load_b128 v[0:3], v36 offset:128
	ds_load_b128 v[4:7], v11 offset:384
	ds_load_b128 v[75:78], v11 offset:896
	ds_load_b128 v[79:82], v11 offset:1408
	ds_load_b128 v[83:86], v11 offset:1920
	ds_load_b128 v[87:90], v36 offset:8832
	s_wait_dscnt 0x4
	;;#ASMSTART
	v_dot2_f32_f16 v73, v0, v4, v73
	;;#ASMEND
	;;#ASMSTART
	v_dot2_f32_f16 v73, v1, v5, v73
	;;#ASMEND
	;;#ASMSTART
	v_dot2_f32_f16 v73, v2, v6, v73
	;;#ASMEND
	;;#ASMSTART
	v_dot2_f32_f16 v73, v3, v7, v73
	;;#ASMEND
	s_wait_dscnt 0x3
	;;#ASMSTART
	v_dot2_f32_f16 v71, v0, v75, v71
	;;#ASMEND
	;;#ASMSTART
	v_dot2_f32_f16 v71, v1, v76, v71
	;;#ASMEND
	;;#ASMSTART
	v_dot2_f32_f16 v71, v2, v77, v71
	;;#ASMEND
	;;#ASMSTART
	v_dot2_f32_f16 v71, v3, v78, v71
	;;#ASMEND
	;; [unrolled: 13-line block ×5, first 2 shown]
	;;#ASMSTART
	v_dot2_f32_f16 v72, v87, v75, v72
	;;#ASMEND
	;;#ASMSTART
	v_dot2_f32_f16 v72, v88, v76, v72
	;;#ASMEND
	;; [unrolled: 3-line block ×12, first 2 shown]
	ds_load_b128 v[0:3], v36 offset:144
	ds_load_b128 v[4:7], v11 offset:400
	;; [unrolled: 1-line block ×6, first 2 shown]
	s_wait_dscnt 0x4
	;;#ASMSTART
	v_dot2_f32_f16 v73, v0, v4, v73
	;;#ASMEND
	;;#ASMSTART
	v_dot2_f32_f16 v73, v1, v5, v73
	;;#ASMEND
	;;#ASMSTART
	v_dot2_f32_f16 v73, v2, v6, v73
	;;#ASMEND
	;;#ASMSTART
	v_dot2_f32_f16 v73, v3, v7, v73
	;;#ASMEND
	s_wait_dscnt 0x3
	;;#ASMSTART
	v_dot2_f32_f16 v71, v0, v75, v71
	;;#ASMEND
	;;#ASMSTART
	v_dot2_f32_f16 v71, v1, v76, v71
	;;#ASMEND
	;;#ASMSTART
	v_dot2_f32_f16 v71, v2, v77, v71
	;;#ASMEND
	;;#ASMSTART
	v_dot2_f32_f16 v71, v3, v78, v71
	;;#ASMEND
	;; [unrolled: 13-line block ×5, first 2 shown]
	;;#ASMSTART
	v_dot2_f32_f16 v72, v87, v75, v72
	;;#ASMEND
	;;#ASMSTART
	v_dot2_f32_f16 v72, v88, v76, v72
	;;#ASMEND
	;; [unrolled: 3-line block ×12, first 2 shown]
	ds_load_b128 v[0:3], v36 offset:160
	ds_load_b128 v[4:7], v11 offset:416
	;; [unrolled: 1-line block ×6, first 2 shown]
	s_wait_dscnt 0x4
	;;#ASMSTART
	v_dot2_f32_f16 v73, v0, v4, v73
	;;#ASMEND
	;;#ASMSTART
	v_dot2_f32_f16 v73, v1, v5, v73
	;;#ASMEND
	;;#ASMSTART
	v_dot2_f32_f16 v73, v2, v6, v73
	;;#ASMEND
	;;#ASMSTART
	v_dot2_f32_f16 v73, v3, v7, v73
	;;#ASMEND
	s_wait_dscnt 0x3
	;;#ASMSTART
	v_dot2_f32_f16 v71, v0, v75, v71
	;;#ASMEND
	;;#ASMSTART
	v_dot2_f32_f16 v71, v1, v76, v71
	;;#ASMEND
	;;#ASMSTART
	v_dot2_f32_f16 v71, v2, v77, v71
	;;#ASMEND
	;;#ASMSTART
	v_dot2_f32_f16 v71, v3, v78, v71
	;;#ASMEND
	;; [unrolled: 13-line block ×5, first 2 shown]
	;;#ASMSTART
	v_dot2_f32_f16 v72, v87, v75, v72
	;;#ASMEND
	;;#ASMSTART
	v_dot2_f32_f16 v72, v88, v76, v72
	;;#ASMEND
	;;#ASMSTART
	v_dot2_f32_f16 v72, v89, v77, v72
	;;#ASMEND
	;;#ASMSTART
	v_dot2_f32_f16 v72, v90, v78, v72
	;;#ASMEND
	;;#ASMSTART
	v_dot2_f32_f16 v70, v87, v79, v70
	;;#ASMEND
	;;#ASMSTART
	v_dot2_f32_f16 v70, v88, v80, v70
	;;#ASMEND
	;;#ASMSTART
	v_dot2_f32_f16 v70, v89, v81, v70
	;;#ASMEND
	;;#ASMSTART
	v_dot2_f32_f16 v70, v90, v82, v70
	;;#ASMEND
	;;#ASMSTART
	v_dot2_f32_f16 v68, v87, v83, v68
	;;#ASMEND
	;;#ASMSTART
	v_dot2_f32_f16 v68, v88, v84, v68
	;;#ASMEND
	;;#ASMSTART
	v_dot2_f32_f16 v68, v89, v85, v68
	;;#ASMEND
	;;#ASMSTART
	v_dot2_f32_f16 v68, v90, v86, v68
	;;#ASMEND
	ds_load_b128 v[0:3], v36 offset:176
	ds_load_b128 v[4:7], v11 offset:432
	;; [unrolled: 1-line block ×6, first 2 shown]
	s_wait_dscnt 0x4
	;;#ASMSTART
	v_dot2_f32_f16 v73, v0, v4, v73
	;;#ASMEND
	;;#ASMSTART
	v_dot2_f32_f16 v73, v1, v5, v73
	;;#ASMEND
	;;#ASMSTART
	v_dot2_f32_f16 v73, v2, v6, v73
	;;#ASMEND
	;;#ASMSTART
	v_dot2_f32_f16 v73, v3, v7, v73
	;;#ASMEND
	s_wait_dscnt 0x3
	;;#ASMSTART
	v_dot2_f32_f16 v71, v0, v75, v71
	;;#ASMEND
	;;#ASMSTART
	v_dot2_f32_f16 v71, v1, v76, v71
	;;#ASMEND
	;;#ASMSTART
	v_dot2_f32_f16 v71, v2, v77, v71
	;;#ASMEND
	;;#ASMSTART
	v_dot2_f32_f16 v71, v3, v78, v71
	;;#ASMEND
	;; [unrolled: 13-line block ×5, first 2 shown]
	;;#ASMSTART
	v_dot2_f32_f16 v72, v87, v75, v72
	;;#ASMEND
	;;#ASMSTART
	v_dot2_f32_f16 v72, v88, v76, v72
	;;#ASMEND
	;; [unrolled: 3-line block ×12, first 2 shown]
	ds_load_b128 v[0:3], v36 offset:192
	ds_load_b128 v[4:7], v11 offset:448
	ds_load_b128 v[75:78], v11 offset:960
	ds_load_b128 v[79:82], v11 offset:1472
	ds_load_b128 v[83:86], v11 offset:1984
	ds_load_b128 v[87:90], v36 offset:8896
	s_wait_dscnt 0x4
	;;#ASMSTART
	v_dot2_f32_f16 v73, v0, v4, v73
	;;#ASMEND
	;;#ASMSTART
	v_dot2_f32_f16 v73, v1, v5, v73
	;;#ASMEND
	;;#ASMSTART
	v_dot2_f32_f16 v73, v2, v6, v73
	;;#ASMEND
	;;#ASMSTART
	v_dot2_f32_f16 v73, v3, v7, v73
	;;#ASMEND
	s_wait_dscnt 0x3
	;;#ASMSTART
	v_dot2_f32_f16 v71, v0, v75, v71
	;;#ASMEND
	;;#ASMSTART
	v_dot2_f32_f16 v71, v1, v76, v71
	;;#ASMEND
	;;#ASMSTART
	v_dot2_f32_f16 v71, v2, v77, v71
	;;#ASMEND
	;;#ASMSTART
	v_dot2_f32_f16 v71, v3, v78, v71
	;;#ASMEND
	;; [unrolled: 13-line block ×5, first 2 shown]
	;;#ASMSTART
	v_dot2_f32_f16 v72, v87, v75, v72
	;;#ASMEND
	;;#ASMSTART
	v_dot2_f32_f16 v72, v88, v76, v72
	;;#ASMEND
	;; [unrolled: 3-line block ×12, first 2 shown]
	ds_load_b128 v[0:3], v36 offset:208
	ds_load_b128 v[4:7], v11 offset:464
	;; [unrolled: 1-line block ×6, first 2 shown]
	s_wait_dscnt 0x4
	;;#ASMSTART
	v_dot2_f32_f16 v73, v0, v4, v73
	;;#ASMEND
	;;#ASMSTART
	v_dot2_f32_f16 v73, v1, v5, v73
	;;#ASMEND
	;;#ASMSTART
	v_dot2_f32_f16 v73, v2, v6, v73
	;;#ASMEND
	;;#ASMSTART
	v_dot2_f32_f16 v73, v3, v7, v73
	;;#ASMEND
	s_wait_dscnt 0x3
	;;#ASMSTART
	v_dot2_f32_f16 v71, v0, v75, v71
	;;#ASMEND
	;;#ASMSTART
	v_dot2_f32_f16 v71, v1, v76, v71
	;;#ASMEND
	;;#ASMSTART
	v_dot2_f32_f16 v71, v2, v77, v71
	;;#ASMEND
	;;#ASMSTART
	v_dot2_f32_f16 v71, v3, v78, v71
	;;#ASMEND
	;; [unrolled: 13-line block ×5, first 2 shown]
	;;#ASMSTART
	v_dot2_f32_f16 v72, v87, v75, v72
	;;#ASMEND
	;;#ASMSTART
	v_dot2_f32_f16 v72, v88, v76, v72
	;;#ASMEND
	;; [unrolled: 3-line block ×12, first 2 shown]
	ds_load_b128 v[0:3], v36 offset:224
	ds_load_b128 v[4:7], v11 offset:480
	;; [unrolled: 1-line block ×6, first 2 shown]
	s_wait_dscnt 0x4
	;;#ASMSTART
	v_dot2_f32_f16 v73, v0, v4, v73
	;;#ASMEND
	;;#ASMSTART
	v_dot2_f32_f16 v73, v1, v5, v73
	;;#ASMEND
	;;#ASMSTART
	v_dot2_f32_f16 v73, v2, v6, v73
	;;#ASMEND
	;;#ASMSTART
	v_dot2_f32_f16 v73, v3, v7, v73
	;;#ASMEND
	s_wait_dscnt 0x3
	;;#ASMSTART
	v_dot2_f32_f16 v71, v0, v75, v71
	;;#ASMEND
	;;#ASMSTART
	v_dot2_f32_f16 v71, v1, v76, v71
	;;#ASMEND
	;;#ASMSTART
	v_dot2_f32_f16 v71, v2, v77, v71
	;;#ASMEND
	;;#ASMSTART
	v_dot2_f32_f16 v71, v3, v78, v71
	;;#ASMEND
	;; [unrolled: 13-line block ×5, first 2 shown]
	;;#ASMSTART
	v_dot2_f32_f16 v72, v87, v75, v72
	;;#ASMEND
	;;#ASMSTART
	v_dot2_f32_f16 v72, v88, v76, v72
	;;#ASMEND
	;; [unrolled: 3-line block ×12, first 2 shown]
	ds_load_b128 v[0:3], v36 offset:240
	ds_load_b128 v[4:7], v11 offset:496
	;; [unrolled: 1-line block ×6, first 2 shown]
	s_wait_dscnt 0x4
	;;#ASMSTART
	v_dot2_f32_f16 v73, v0, v4, v73
	;;#ASMEND
	;;#ASMSTART
	v_dot2_f32_f16 v73, v1, v5, v73
	;;#ASMEND
	;;#ASMSTART
	v_dot2_f32_f16 v73, v2, v6, v73
	;;#ASMEND
	;;#ASMSTART
	v_dot2_f32_f16 v73, v3, v7, v73
	;;#ASMEND
	s_wait_dscnt 0x3
	;;#ASMSTART
	v_dot2_f32_f16 v71, v0, v75, v71
	;;#ASMEND
	;;#ASMSTART
	v_dot2_f32_f16 v71, v1, v76, v71
	;;#ASMEND
	;;#ASMSTART
	v_dot2_f32_f16 v71, v2, v77, v71
	;;#ASMEND
	;;#ASMSTART
	v_dot2_f32_f16 v71, v3, v78, v71
	;;#ASMEND
	;; [unrolled: 13-line block ×5, first 2 shown]
	;;#ASMSTART
	v_dot2_f32_f16 v72, v87, v75, v72
	;;#ASMEND
	;;#ASMSTART
	v_dot2_f32_f16 v72, v88, v76, v72
	;;#ASMEND
	;; [unrolled: 3-line block ×5, first 2 shown]
	v_cmp_ngt_f32_e64 s26, 0x3f200000, |v73|
	;;#ASMSTART
	v_dot2_f32_f16 v70, v88, v80, v70
	;;#ASMEND
	;;#ASMSTART
	v_dot2_f32_f16 v70, v89, v81, v70
	;;#ASMEND
	;; [unrolled: 3-line block ×7, first 2 shown]
                                        ; implicit-def: $vgpr3
	s_and_saveexec_b32 s27, s26
	s_wait_alu 0xfffe
	s_xor_b32 s26, exec_lo, s27
	s_cbranch_execz .LBB61_11
; %bb.10:                               ;   in Loop: Header=BB61_9 Depth=1
	v_add_f32_e64 v0, |v73|, |v73|
	s_delay_alu instid0(VALU_DEP_1) | instskip(SKIP_1) | instid1(VALU_DEP_2)
	v_mul_f32_e32 v1, 0x3fb8aa3b, v0
	v_cmp_ngt_f32_e32 vcc_lo, 0xc2ce8ed0, v0
	v_rndne_f32_e32 v2, v1
	v_fma_f32 v3, 0x3fb8aa3b, v0, -v1
	s_delay_alu instid0(VALU_DEP_2) | instskip(NEXT) | instid1(VALU_DEP_2)
	v_sub_f32_e32 v1, v1, v2
	v_fmac_f32_e32 v3, 0x32a5705f, v0
	v_cvt_i32_f32_e32 v2, v2
	s_delay_alu instid0(VALU_DEP_2) | instskip(NEXT) | instid1(VALU_DEP_1)
	v_add_f32_e32 v1, v1, v3
	v_exp_f32_e32 v1, v1
	s_delay_alu instid0(TRANS32_DEP_1) | instskip(SKIP_1) | instid1(VALU_DEP_1)
	v_ldexp_f32 v1, v1, v2
	s_wait_alu 0xfffd
	v_cndmask_b32_e32 v1, 0, v1, vcc_lo
	v_cmp_nlt_f32_e32 vcc_lo, 0x42b17218, v0
	s_wait_alu 0xfffd
	s_delay_alu instid0(VALU_DEP_2) | instskip(NEXT) | instid1(VALU_DEP_1)
	v_cndmask_b32_e32 v0, 0x7f800000, v1, vcc_lo
	v_add_f32_e32 v0, 1.0, v0
	s_delay_alu instid0(VALU_DEP_1) | instskip(NEXT) | instid1(TRANS32_DEP_1)
	v_rcp_f32_e32 v0, v0
	v_fma_f32 v3, v0, -2.0, 1.0
.LBB61_11:                              ;   in Loop: Header=BB61_9 Depth=1
	s_wait_alu 0xfffe
	s_and_not1_saveexec_b32 s26, s26
	s_cbranch_execz .LBB61_13
; %bb.12:                               ;   in Loop: Header=BB61_9 Depth=1
	v_mul_f32_e32 v0, v73, v73
	s_delay_alu instid0(VALU_DEP_1) | instskip(NEXT) | instid1(VALU_DEP_1)
	v_fmaak_f32 v1, s3, v0, 0x3ca908c9
	v_fmaak_f32 v1, v0, v1, 0xbd5c1c4e
	s_delay_alu instid0(VALU_DEP_1) | instskip(NEXT) | instid1(VALU_DEP_1)
	v_fmaak_f32 v1, v0, v1, 0x3e088382
	v_fmaak_f32 v1, v0, v1, 0xbeaaaa99
	s_delay_alu instid0(VALU_DEP_1) | instskip(NEXT) | instid1(VALU_DEP_1)
	v_mul_f32_e64 v1, |v73|, v1
	v_fma_f32 v3, v0, v1, |v73|
.LBB61_13:                              ;   in Loop: Header=BB61_9 Depth=1
	s_wait_alu 0xfffe
	s_or_b32 exec_lo, exec_lo, s26
	v_add_nc_u32_e32 v0, s10, v8
	v_cmp_ngt_f32_e64 s26, 0x3f200000, |v74|
                                        ; implicit-def: $vgpr4
	s_delay_alu instid0(VALU_DEP_2) | instskip(NEXT) | instid1(VALU_DEP_1)
	v_ashrrev_i32_e32 v1, 31, v0
	v_lshlrev_b64_e32 v[0:1], 1, v[0:1]
	s_delay_alu instid0(VALU_DEP_1) | instskip(SKIP_1) | instid1(VALU_DEP_2)
	v_add_co_u32 v0, vcc_lo, s34, v0
	s_wait_alu 0xfffd
	v_add_co_ci_u32_e64 v1, null, s35, v1, vcc_lo
	global_load_u16 v2, v[0:1], off
	s_and_saveexec_b32 s27, s26
	s_wait_alu 0xfffe
	s_xor_b32 s26, exec_lo, s27
	s_cbranch_execz .LBB61_15
; %bb.14:                               ;   in Loop: Header=BB61_9 Depth=1
	v_add_f32_e64 v4, |v74|, |v74|
	s_delay_alu instid0(VALU_DEP_1) | instskip(SKIP_1) | instid1(VALU_DEP_2)
	v_mul_f32_e32 v5, 0x3fb8aa3b, v4
	v_cmp_ngt_f32_e32 vcc_lo, 0xc2ce8ed0, v4
	v_rndne_f32_e32 v6, v5
	v_fma_f32 v7, 0x3fb8aa3b, v4, -v5
	s_delay_alu instid0(VALU_DEP_2) | instskip(NEXT) | instid1(VALU_DEP_2)
	v_sub_f32_e32 v5, v5, v6
	v_fmac_f32_e32 v7, 0x32a5705f, v4
	v_cvt_i32_f32_e32 v6, v6
	s_delay_alu instid0(VALU_DEP_2) | instskip(NEXT) | instid1(VALU_DEP_1)
	v_add_f32_e32 v5, v5, v7
	v_exp_f32_e32 v5, v5
	s_delay_alu instid0(TRANS32_DEP_1) | instskip(SKIP_1) | instid1(VALU_DEP_1)
	v_ldexp_f32 v5, v5, v6
	s_wait_alu 0xfffd
	v_cndmask_b32_e32 v5, 0, v5, vcc_lo
	v_cmp_nlt_f32_e32 vcc_lo, 0x42b17218, v4
	s_wait_alu 0xfffd
	s_delay_alu instid0(VALU_DEP_2) | instskip(NEXT) | instid1(VALU_DEP_1)
	v_cndmask_b32_e32 v4, 0x7f800000, v5, vcc_lo
	v_add_f32_e32 v4, 1.0, v4
	s_delay_alu instid0(VALU_DEP_1) | instskip(NEXT) | instid1(TRANS32_DEP_1)
	v_rcp_f32_e32 v4, v4
	v_fma_f32 v4, v4, -2.0, 1.0
.LBB61_15:                              ;   in Loop: Header=BB61_9 Depth=1
	s_wait_alu 0xfffe
	s_and_not1_saveexec_b32 s26, s26
	s_cbranch_execz .LBB61_17
; %bb.16:                               ;   in Loop: Header=BB61_9 Depth=1
	v_mul_f32_e32 v4, v74, v74
	s_delay_alu instid0(VALU_DEP_1) | instskip(NEXT) | instid1(VALU_DEP_1)
	v_fmaak_f32 v5, s3, v4, 0x3ca908c9
	v_fmaak_f32 v5, v4, v5, 0xbd5c1c4e
	s_delay_alu instid0(VALU_DEP_1) | instskip(NEXT) | instid1(VALU_DEP_1)
	v_fmaak_f32 v5, v4, v5, 0x3e088382
	v_fmaak_f32 v5, v4, v5, 0xbeaaaa99
	s_delay_alu instid0(VALU_DEP_1) | instskip(NEXT) | instid1(VALU_DEP_1)
	v_mul_f32_e64 v5, |v74|, v5
	v_fma_f32 v4, v4, v5, |v74|
.LBB61_17:                              ;   in Loop: Header=BB61_9 Depth=1
	s_wait_alu 0xfffe
	s_or_b32 exec_lo, exec_lo, s26
	global_load_u16 v7, v[0:1], off offset:64
	v_bfi_b32 v0, 0x7fffffff, v3, v73
	v_bfi_b32 v1, 0x7fffffff, v4, v74
	v_xor_b32_e32 v77, 16, v30
	v_xor_b32_e32 v76, 8, v30
	;; [unrolled: 1-line block ×3, first 2 shown]
	s_wait_loadcnt 0x1
	v_fma_mix_f32 v79, s5, v0, v2 op_sel_hi:[0,0,1]
	v_xor_b32_e32 v74, 2, v30
	v_cmp_gt_i32_e32 vcc_lo, 32, v77
	v_xor_b32_e32 v73, 1, v30
	v_cmp_ngt_f32_e64 s26, 0x3f200000, |v71|
	v_add_f32_e32 v0, 0x40051340, v79
                                        ; implicit-def: $vgpr82
	s_wait_loadcnt 0x0
	v_fma_mix_f32 v80, s5, v1, v7 op_sel_hi:[0,0,1]
	s_wait_alu 0xfffd
	v_cndmask_b32_e32 v1, v30, v77, vcc_lo
	v_cmp_gt_i32_e32 vcc_lo, 32, v76
	s_delay_alu instid0(VALU_DEP_3) | instskip(NEXT) | instid1(VALU_DEP_3)
	v_add_f32_e32 v3, 0x40051340, v80
	v_lshlrev_b32_e32 v81, 2, v1
	s_delay_alu instid0(VALU_DEP_2) | instskip(SKIP_4) | instid1(VALU_DEP_1)
	v_max3_num_f32 v0, v64, v0, v3
	ds_bpermute_b32 v1, v81, v0
	s_wait_dscnt 0x0
	v_max_num_f32_e32 v1, v1, v1
	s_wait_alu 0xfffd
	v_dual_max_num_f32 v0, v0, v1 :: v_dual_cndmask_b32 v3, v30, v76
	v_cmp_gt_i32_e32 vcc_lo, 32, v75
	s_delay_alu instid0(VALU_DEP_2) | instskip(SKIP_4) | instid1(VALU_DEP_1)
	v_lshlrev_b32_e32 v6, 2, v3
	ds_bpermute_b32 v1, v6, v0
	s_wait_dscnt 0x0
	v_max_num_f32_e32 v1, v1, v1
	s_wait_alu 0xfffd
	v_dual_max_num_f32 v0, v0, v1 :: v_dual_cndmask_b32 v3, v30, v75
	v_cmp_gt_i32_e32 vcc_lo, 32, v74
	s_delay_alu instid0(VALU_DEP_2)
	v_lshlrev_b32_e32 v5, 2, v3
	s_wait_alu 0xfffd
	v_cndmask_b32_e32 v3, v30, v74, vcc_lo
	v_cmp_gt_i32_e32 vcc_lo, 32, v73
	ds_bpermute_b32 v1, v5, v0
	s_wait_alu 0xfffd
	v_dual_cndmask_b32 v3, v30, v73 :: v_dual_lshlrev_b32 v4, 2, v3
	s_delay_alu instid0(VALU_DEP_1) | instskip(SKIP_2) | instid1(VALU_DEP_1)
	v_lshlrev_b32_e32 v3, 2, v3
	s_wait_dscnt 0x0
	v_max_num_f32_e32 v1, v1, v1
	v_max_num_f32_e32 v0, v0, v1
	ds_bpermute_b32 v1, v4, v0
	s_wait_dscnt 0x0
	v_max_num_f32_e32 v1, v1, v1
	s_delay_alu instid0(VALU_DEP_1)
	v_max_num_f32_e32 v0, v0, v1
	ds_bpermute_b32 v1, v3, v0
	s_and_saveexec_b32 s27, s26
	s_wait_alu 0xfffe
	s_xor_b32 s26, exec_lo, s27
	s_cbranch_execz .LBB61_19
; %bb.18:                               ;   in Loop: Header=BB61_9 Depth=1
	v_add_f32_e64 v78, |v71|, |v71|
	s_delay_alu instid0(VALU_DEP_1) | instskip(SKIP_1) | instid1(VALU_DEP_2)
	v_mul_f32_e32 v82, 0x3fb8aa3b, v78
	v_cmp_ngt_f32_e32 vcc_lo, 0xc2ce8ed0, v78
	v_rndne_f32_e32 v83, v82
	v_fma_f32 v84, 0x3fb8aa3b, v78, -v82
	s_delay_alu instid0(VALU_DEP_2) | instskip(NEXT) | instid1(VALU_DEP_2)
	v_sub_f32_e32 v82, v82, v83
	v_fmac_f32_e32 v84, 0x32a5705f, v78
	v_cvt_i32_f32_e32 v83, v83
	s_delay_alu instid0(VALU_DEP_2) | instskip(NEXT) | instid1(VALU_DEP_1)
	v_add_f32_e32 v82, v82, v84
	v_exp_f32_e32 v82, v82
	s_delay_alu instid0(TRANS32_DEP_1) | instskip(SKIP_1) | instid1(VALU_DEP_1)
	v_ldexp_f32 v82, v82, v83
	s_wait_alu 0xfffd
	v_cndmask_b32_e32 v82, 0, v82, vcc_lo
	v_cmp_nlt_f32_e32 vcc_lo, 0x42b17218, v78
	s_wait_alu 0xfffd
	s_delay_alu instid0(VALU_DEP_2) | instskip(NEXT) | instid1(VALU_DEP_1)
	v_cndmask_b32_e32 v78, 0x7f800000, v82, vcc_lo
	v_add_f32_e32 v78, 1.0, v78
	s_delay_alu instid0(VALU_DEP_1) | instskip(NEXT) | instid1(TRANS32_DEP_1)
	v_rcp_f32_e32 v78, v78
	v_fma_f32 v82, v78, -2.0, 1.0
.LBB61_19:                              ;   in Loop: Header=BB61_9 Depth=1
	s_wait_alu 0xfffe
	s_and_not1_saveexec_b32 s26, s26
	s_cbranch_execz .LBB61_21
; %bb.20:                               ;   in Loop: Header=BB61_9 Depth=1
	v_mul_f32_e32 v78, v71, v71
	s_delay_alu instid0(VALU_DEP_1) | instskip(NEXT) | instid1(VALU_DEP_1)
	v_fmaak_f32 v82, s3, v78, 0x3ca908c9
	v_fmaak_f32 v82, v78, v82, 0xbd5c1c4e
	s_delay_alu instid0(VALU_DEP_1) | instskip(NEXT) | instid1(VALU_DEP_1)
	v_fmaak_f32 v82, v78, v82, 0x3e088382
	v_fmaak_f32 v82, v78, v82, 0xbeaaaa99
	s_delay_alu instid0(VALU_DEP_1) | instskip(NEXT) | instid1(VALU_DEP_1)
	v_mul_f32_e64 v82, |v71|, v82
	v_fma_f32 v82, v78, v82, |v71|
.LBB61_21:                              ;   in Loop: Header=BB61_9 Depth=1
	s_wait_alu 0xfffe
	s_or_b32 exec_lo, exec_lo, s26
	v_cmp_ngt_f32_e64 s26, 0x3f200000, |v72|
                                        ; implicit-def: $vgpr83
	s_and_saveexec_b32 s27, s26
	s_wait_alu 0xfffe
	s_xor_b32 s26, exec_lo, s27
	s_cbranch_execz .LBB61_23
; %bb.22:                               ;   in Loop: Header=BB61_9 Depth=1
	v_add_f32_e64 v78, |v72|, |v72|
	s_delay_alu instid0(VALU_DEP_1) | instskip(SKIP_1) | instid1(VALU_DEP_2)
	v_mul_f32_e32 v83, 0x3fb8aa3b, v78
	v_cmp_ngt_f32_e32 vcc_lo, 0xc2ce8ed0, v78
	v_rndne_f32_e32 v84, v83
	v_fma_f32 v85, 0x3fb8aa3b, v78, -v83
	s_delay_alu instid0(VALU_DEP_2) | instskip(NEXT) | instid1(VALU_DEP_2)
	v_sub_f32_e32 v83, v83, v84
	v_fmac_f32_e32 v85, 0x32a5705f, v78
	v_cvt_i32_f32_e32 v84, v84
	s_delay_alu instid0(VALU_DEP_2) | instskip(NEXT) | instid1(VALU_DEP_1)
	v_add_f32_e32 v83, v83, v85
	v_exp_f32_e32 v83, v83
	s_delay_alu instid0(TRANS32_DEP_1) | instskip(SKIP_1) | instid1(VALU_DEP_1)
	v_ldexp_f32 v83, v83, v84
	s_wait_alu 0xfffd
	v_cndmask_b32_e32 v83, 0, v83, vcc_lo
	v_cmp_nlt_f32_e32 vcc_lo, 0x42b17218, v78
	s_wait_alu 0xfffd
	s_delay_alu instid0(VALU_DEP_2) | instskip(NEXT) | instid1(VALU_DEP_1)
	v_cndmask_b32_e32 v78, 0x7f800000, v83, vcc_lo
	v_add_f32_e32 v78, 1.0, v78
	s_delay_alu instid0(VALU_DEP_1) | instskip(NEXT) | instid1(TRANS32_DEP_1)
	v_rcp_f32_e32 v78, v78
	v_fma_f32 v83, v78, -2.0, 1.0
.LBB61_23:                              ;   in Loop: Header=BB61_9 Depth=1
	s_wait_alu 0xfffe
	s_and_not1_saveexec_b32 s26, s26
	s_cbranch_execz .LBB61_25
; %bb.24:                               ;   in Loop: Header=BB61_9 Depth=1
	v_mul_f32_e32 v78, v72, v72
	s_delay_alu instid0(VALU_DEP_1) | instskip(NEXT) | instid1(VALU_DEP_1)
	v_fmaak_f32 v83, s3, v78, 0x3ca908c9
	v_fmaak_f32 v83, v78, v83, 0xbd5c1c4e
	s_delay_alu instid0(VALU_DEP_1) | instskip(NEXT) | instid1(VALU_DEP_1)
	v_fmaak_f32 v83, v78, v83, 0x3e088382
	v_fmaak_f32 v83, v78, v83, 0xbeaaaa99
	s_delay_alu instid0(VALU_DEP_1) | instskip(NEXT) | instid1(VALU_DEP_1)
	v_mul_f32_e64 v83, |v72|, v83
	v_fma_f32 v83, v78, v83, |v72|
.LBB61_25:                              ;   in Loop: Header=BB61_9 Depth=1
	s_wait_alu 0xfffe
	s_or_b32 exec_lo, exec_lo, s26
	v_cvt_f32_f16_e32 v78, v2
	v_cvt_f32_f16_e32 v7, v7
	v_bfi_b32 v2, 0x7fffffff, v82, v71
	v_bfi_b32 v71, 0x7fffffff, v83, v72
	v_cmp_ngt_f32_e64 s26, 0x3f200000, |v69|
	s_delay_alu instid0(VALU_DEP_3) | instskip(NEXT) | instid1(VALU_DEP_3)
	v_fma_f32 v72, s5, v2, v78
	v_fma_f32 v82, s5, v71, v7
	s_delay_alu instid0(VALU_DEP_1) | instskip(NEXT) | instid1(VALU_DEP_1)
	v_dual_add_f32 v2, 0x40051340, v72 :: v_dual_add_f32 v71, 0x40051340, v82
	v_max3_num_f32 v2, v66, v2, v71
	ds_bpermute_b32 v71, v81, v2
	s_wait_dscnt 0x0
	v_max_num_f32_e32 v71, v71, v71
	s_delay_alu instid0(VALU_DEP_1) | instskip(SKIP_3) | instid1(VALU_DEP_1)
	v_max_num_f32_e32 v2, v2, v71
	ds_bpermute_b32 v71, v6, v2
	s_wait_dscnt 0x0
	v_max_num_f32_e32 v71, v71, v71
	v_max_num_f32_e32 v2, v2, v71
	ds_bpermute_b32 v71, v5, v2
	s_wait_dscnt 0x0
	v_max_num_f32_e32 v71, v71, v71
	s_delay_alu instid0(VALU_DEP_1) | instskip(SKIP_3) | instid1(VALU_DEP_1)
	v_max_num_f32_e32 v2, v2, v71
	ds_bpermute_b32 v71, v4, v2
	s_wait_dscnt 0x0
	v_max_num_f32_e32 v71, v71, v71
	v_max_num_f32_e32 v2, v2, v71
                                        ; implicit-def: $vgpr71
	ds_bpermute_b32 v83, v3, v2
	s_and_saveexec_b32 s27, s26
	s_wait_alu 0xfffe
	s_xor_b32 s26, exec_lo, s27
	s_cbranch_execz .LBB61_27
; %bb.26:                               ;   in Loop: Header=BB61_9 Depth=1
	v_add_f32_e64 v71, |v69|, |v69|
	s_delay_alu instid0(VALU_DEP_1) | instskip(SKIP_1) | instid1(VALU_DEP_2)
	v_mul_f32_e32 v84, 0x3fb8aa3b, v71
	v_cmp_ngt_f32_e32 vcc_lo, 0xc2ce8ed0, v71
	v_rndne_f32_e32 v85, v84
	v_fma_f32 v86, 0x3fb8aa3b, v71, -v84
	s_delay_alu instid0(VALU_DEP_2) | instskip(NEXT) | instid1(VALU_DEP_2)
	v_sub_f32_e32 v84, v84, v85
	v_fmac_f32_e32 v86, 0x32a5705f, v71
	v_cvt_i32_f32_e32 v85, v85
	s_delay_alu instid0(VALU_DEP_2) | instskip(NEXT) | instid1(VALU_DEP_1)
	v_add_f32_e32 v84, v84, v86
	v_exp_f32_e32 v84, v84
	s_delay_alu instid0(TRANS32_DEP_1) | instskip(SKIP_1) | instid1(VALU_DEP_1)
	v_ldexp_f32 v84, v84, v85
	s_wait_alu 0xfffd
	v_cndmask_b32_e32 v84, 0, v84, vcc_lo
	v_cmp_nlt_f32_e32 vcc_lo, 0x42b17218, v71
	s_wait_alu 0xfffd
	s_delay_alu instid0(VALU_DEP_2) | instskip(NEXT) | instid1(VALU_DEP_1)
	v_cndmask_b32_e32 v71, 0x7f800000, v84, vcc_lo
	v_add_f32_e32 v71, 1.0, v71
	s_delay_alu instid0(VALU_DEP_1) | instskip(NEXT) | instid1(TRANS32_DEP_1)
	v_rcp_f32_e32 v71, v71
	v_fma_f32 v71, v71, -2.0, 1.0
.LBB61_27:                              ;   in Loop: Header=BB61_9 Depth=1
	s_wait_alu 0xfffe
	s_and_not1_saveexec_b32 s26, s26
	s_cbranch_execz .LBB61_29
; %bb.28:                               ;   in Loop: Header=BB61_9 Depth=1
	v_mul_f32_e32 v71, v69, v69
	s_delay_alu instid0(VALU_DEP_1) | instskip(NEXT) | instid1(VALU_DEP_1)
	v_fmaak_f32 v84, s3, v71, 0x3ca908c9
	v_fmaak_f32 v84, v71, v84, 0xbd5c1c4e
	s_delay_alu instid0(VALU_DEP_1) | instskip(NEXT) | instid1(VALU_DEP_1)
	v_fmaak_f32 v84, v71, v84, 0x3e088382
	v_fmaak_f32 v84, v71, v84, 0xbeaaaa99
	s_delay_alu instid0(VALU_DEP_1) | instskip(NEXT) | instid1(VALU_DEP_1)
	v_mul_f32_e64 v84, |v69|, v84
	v_fma_f32 v71, v71, v84, |v69|
.LBB61_29:                              ;   in Loop: Header=BB61_9 Depth=1
	s_wait_alu 0xfffe
	s_or_b32 exec_lo, exec_lo, s26
	v_cmp_ngt_f32_e64 s26, 0x3f200000, |v70|
                                        ; implicit-def: $vgpr84
	s_and_saveexec_b32 s27, s26
	s_wait_alu 0xfffe
	s_xor_b32 s26, exec_lo, s27
	s_cbranch_execz .LBB61_31
; %bb.30:                               ;   in Loop: Header=BB61_9 Depth=1
	v_add_f32_e64 v84, |v70|, |v70|
	s_delay_alu instid0(VALU_DEP_1) | instskip(SKIP_1) | instid1(VALU_DEP_2)
	v_mul_f32_e32 v85, 0x3fb8aa3b, v84
	v_cmp_ngt_f32_e32 vcc_lo, 0xc2ce8ed0, v84
	v_rndne_f32_e32 v86, v85
	v_fma_f32 v87, 0x3fb8aa3b, v84, -v85
	s_delay_alu instid0(VALU_DEP_2) | instskip(NEXT) | instid1(VALU_DEP_2)
	v_sub_f32_e32 v85, v85, v86
	v_fmac_f32_e32 v87, 0x32a5705f, v84
	v_cvt_i32_f32_e32 v86, v86
	s_delay_alu instid0(VALU_DEP_2) | instskip(NEXT) | instid1(VALU_DEP_1)
	v_add_f32_e32 v85, v85, v87
	v_exp_f32_e32 v85, v85
	s_delay_alu instid0(TRANS32_DEP_1) | instskip(SKIP_1) | instid1(VALU_DEP_1)
	v_ldexp_f32 v85, v85, v86
	s_wait_alu 0xfffd
	v_cndmask_b32_e32 v85, 0, v85, vcc_lo
	v_cmp_nlt_f32_e32 vcc_lo, 0x42b17218, v84
	s_wait_alu 0xfffd
	s_delay_alu instid0(VALU_DEP_2) | instskip(NEXT) | instid1(VALU_DEP_1)
	v_cndmask_b32_e32 v84, 0x7f800000, v85, vcc_lo
	v_add_f32_e32 v84, 1.0, v84
	s_delay_alu instid0(VALU_DEP_1) | instskip(NEXT) | instid1(TRANS32_DEP_1)
	v_rcp_f32_e32 v84, v84
	v_fma_f32 v84, v84, -2.0, 1.0
.LBB61_31:                              ;   in Loop: Header=BB61_9 Depth=1
	s_wait_alu 0xfffe
	s_and_not1_saveexec_b32 s26, s26
	s_cbranch_execz .LBB61_33
; %bb.32:                               ;   in Loop: Header=BB61_9 Depth=1
	v_mul_f32_e32 v84, v70, v70
	s_delay_alu instid0(VALU_DEP_1) | instskip(NEXT) | instid1(VALU_DEP_1)
	v_fmaak_f32 v85, s3, v84, 0x3ca908c9
	v_fmaak_f32 v85, v84, v85, 0xbd5c1c4e
	s_delay_alu instid0(VALU_DEP_1) | instskip(NEXT) | instid1(VALU_DEP_1)
	v_fmaak_f32 v85, v84, v85, 0x3e088382
	v_fmaak_f32 v85, v84, v85, 0xbeaaaa99
	s_delay_alu instid0(VALU_DEP_1) | instskip(NEXT) | instid1(VALU_DEP_1)
	v_mul_f32_e64 v85, |v70|, v85
	v_fma_f32 v84, v84, v85, |v70|
.LBB61_33:                              ;   in Loop: Header=BB61_9 Depth=1
	s_wait_alu 0xfffe
	s_or_b32 exec_lo, exec_lo, s26
	v_bfi_b32 v69, 0x7fffffff, v71, v69
	s_delay_alu instid0(VALU_DEP_2) | instskip(SKIP_1) | instid1(VALU_DEP_3)
	v_bfi_b32 v70, 0x7fffffff, v84, v70
	v_cmp_ngt_f32_e64 s26, 0x3f200000, |v67|
                                        ; implicit-def: $vgpr86
	v_fma_f32 v69, s5, v69, v78
	s_delay_alu instid0(VALU_DEP_3) | instskip(NEXT) | instid1(VALU_DEP_1)
	v_fma_f32 v70, s5, v70, v7
	v_dual_add_f32 v71, 0x40051340, v69 :: v_dual_add_f32 v84, 0x40051340, v70
	s_delay_alu instid0(VALU_DEP_1) | instskip(SKIP_3) | instid1(VALU_DEP_1)
	v_max3_num_f32 v71, v65, v71, v84
	ds_bpermute_b32 v84, v81, v71
	s_wait_dscnt 0x0
	v_max_num_f32_e32 v84, v84, v84
	v_max_num_f32_e32 v71, v71, v84
	ds_bpermute_b32 v84, v6, v71
	s_wait_dscnt 0x0
	v_max_num_f32_e32 v84, v84, v84
	s_delay_alu instid0(VALU_DEP_1) | instskip(SKIP_3) | instid1(VALU_DEP_1)
	v_max_num_f32_e32 v71, v71, v84
	ds_bpermute_b32 v84, v5, v71
	s_wait_dscnt 0x0
	v_max_num_f32_e32 v84, v84, v84
	v_max_num_f32_e32 v71, v71, v84
	ds_bpermute_b32 v84, v4, v71
	s_wait_dscnt 0x0
	v_max_num_f32_e32 v84, v84, v84
	s_delay_alu instid0(VALU_DEP_1)
	v_max_num_f32_e32 v84, v71, v84
	ds_bpermute_b32 v85, v3, v84
	s_and_saveexec_b32 s27, s26
	s_wait_alu 0xfffe
	s_xor_b32 s26, exec_lo, s27
	s_cbranch_execz .LBB61_35
; %bb.34:                               ;   in Loop: Header=BB61_9 Depth=1
	v_add_f32_e64 v71, |v67|, |v67|
	s_delay_alu instid0(VALU_DEP_1) | instskip(SKIP_1) | instid1(VALU_DEP_2)
	v_mul_f32_e32 v86, 0x3fb8aa3b, v71
	v_cmp_ngt_f32_e32 vcc_lo, 0xc2ce8ed0, v71
	v_rndne_f32_e32 v87, v86
	v_fma_f32 v88, 0x3fb8aa3b, v71, -v86
	s_delay_alu instid0(VALU_DEP_2) | instskip(NEXT) | instid1(VALU_DEP_2)
	v_sub_f32_e32 v86, v86, v87
	v_fmac_f32_e32 v88, 0x32a5705f, v71
	v_cvt_i32_f32_e32 v87, v87
	s_delay_alu instid0(VALU_DEP_2) | instskip(NEXT) | instid1(VALU_DEP_1)
	v_add_f32_e32 v86, v86, v88
	v_exp_f32_e32 v86, v86
	s_delay_alu instid0(TRANS32_DEP_1) | instskip(SKIP_1) | instid1(VALU_DEP_1)
	v_ldexp_f32 v86, v86, v87
	s_wait_alu 0xfffd
	v_cndmask_b32_e32 v86, 0, v86, vcc_lo
	v_cmp_nlt_f32_e32 vcc_lo, 0x42b17218, v71
	s_wait_alu 0xfffd
	s_delay_alu instid0(VALU_DEP_2) | instskip(NEXT) | instid1(VALU_DEP_1)
	v_cndmask_b32_e32 v71, 0x7f800000, v86, vcc_lo
	v_add_f32_e32 v71, 1.0, v71
	s_delay_alu instid0(VALU_DEP_1) | instskip(NEXT) | instid1(TRANS32_DEP_1)
	v_rcp_f32_e32 v71, v71
	v_fma_f32 v86, v71, -2.0, 1.0
.LBB61_35:                              ;   in Loop: Header=BB61_9 Depth=1
	s_wait_alu 0xfffe
	s_and_not1_saveexec_b32 s26, s26
	s_cbranch_execz .LBB61_37
; %bb.36:                               ;   in Loop: Header=BB61_9 Depth=1
	v_mul_f32_e32 v71, v67, v67
	s_delay_alu instid0(VALU_DEP_1) | instskip(NEXT) | instid1(VALU_DEP_1)
	v_fmaak_f32 v86, s3, v71, 0x3ca908c9
	v_fmaak_f32 v86, v71, v86, 0xbd5c1c4e
	s_delay_alu instid0(VALU_DEP_1) | instskip(NEXT) | instid1(VALU_DEP_1)
	v_fmaak_f32 v86, v71, v86, 0x3e088382
	v_fmaak_f32 v86, v71, v86, 0xbeaaaa99
	s_delay_alu instid0(VALU_DEP_1) | instskip(NEXT) | instid1(VALU_DEP_1)
	v_mul_f32_e64 v86, |v67|, v86
	v_fma_f32 v86, v71, v86, |v67|
.LBB61_37:                              ;   in Loop: Header=BB61_9 Depth=1
	s_wait_alu 0xfffe
	s_or_b32 exec_lo, exec_lo, s26
	v_cmp_ngt_f32_e64 s26, 0x3f200000, |v68|
                                        ; implicit-def: $vgpr87
	s_and_saveexec_b32 s27, s26
	s_wait_alu 0xfffe
	s_xor_b32 s26, exec_lo, s27
	s_cbranch_execz .LBB61_39
; %bb.38:                               ;   in Loop: Header=BB61_9 Depth=1
	v_add_f32_e64 v71, |v68|, |v68|
	s_delay_alu instid0(VALU_DEP_1) | instskip(SKIP_1) | instid1(VALU_DEP_2)
	v_mul_f32_e32 v87, 0x3fb8aa3b, v71
	v_cmp_ngt_f32_e32 vcc_lo, 0xc2ce8ed0, v71
	v_rndne_f32_e32 v88, v87
	v_fma_f32 v89, 0x3fb8aa3b, v71, -v87
	s_delay_alu instid0(VALU_DEP_2) | instskip(NEXT) | instid1(VALU_DEP_2)
	v_sub_f32_e32 v87, v87, v88
	v_fmac_f32_e32 v89, 0x32a5705f, v71
	v_cvt_i32_f32_e32 v88, v88
	s_delay_alu instid0(VALU_DEP_2) | instskip(NEXT) | instid1(VALU_DEP_1)
	v_add_f32_e32 v87, v87, v89
	v_exp_f32_e32 v87, v87
	s_delay_alu instid0(TRANS32_DEP_1) | instskip(SKIP_1) | instid1(VALU_DEP_1)
	v_ldexp_f32 v87, v87, v88
	s_wait_alu 0xfffd
	v_cndmask_b32_e32 v87, 0, v87, vcc_lo
	v_cmp_nlt_f32_e32 vcc_lo, 0x42b17218, v71
	s_wait_alu 0xfffd
	s_delay_alu instid0(VALU_DEP_2) | instskip(NEXT) | instid1(VALU_DEP_1)
	v_cndmask_b32_e32 v71, 0x7f800000, v87, vcc_lo
	v_add_f32_e32 v71, 1.0, v71
	s_delay_alu instid0(VALU_DEP_1) | instskip(NEXT) | instid1(TRANS32_DEP_1)
	v_rcp_f32_e32 v71, v71
	v_fma_f32 v87, v71, -2.0, 1.0
.LBB61_39:                              ;   in Loop: Header=BB61_9 Depth=1
	s_wait_alu 0xfffe
	s_and_not1_saveexec_b32 s26, s26
	s_cbranch_execz .LBB61_41
; %bb.40:                               ;   in Loop: Header=BB61_9 Depth=1
	v_mul_f32_e32 v71, v68, v68
	s_delay_alu instid0(VALU_DEP_1) | instskip(NEXT) | instid1(VALU_DEP_1)
	v_fmaak_f32 v87, s3, v71, 0x3ca908c9
	v_fmaak_f32 v87, v71, v87, 0xbd5c1c4e
	s_delay_alu instid0(VALU_DEP_1) | instskip(NEXT) | instid1(VALU_DEP_1)
	v_fmaak_f32 v87, v71, v87, 0x3e088382
	v_fmaak_f32 v87, v71, v87, 0xbeaaaa99
	s_delay_alu instid0(VALU_DEP_1) | instskip(NEXT) | instid1(VALU_DEP_1)
	v_mul_f32_e64 v87, |v68|, v87
	v_fma_f32 v87, v71, v87, |v68|
.LBB61_41:                              ;   in Loop: Header=BB61_9 Depth=1
	s_wait_alu 0xfffe
	s_or_b32 exec_lo, exec_lo, s26
	s_mul_u64 s[26:27], s[10:11], s[14:15]
	v_bfi_b32 v67, 0x7fffffff, v86, v67
	s_wait_alu 0xfffe
	s_lshl_b64 s[26:27], s[26:27], 2
	v_lshlrev_b32_e32 v71, 2, v28
	s_wait_alu 0xfffe
	s_add_nc_u64 s[26:27], s[8:9], s[26:27]
	s_wait_dscnt 0x0
	s_wait_alu 0xfffe
	v_add_co_u32 v88, vcc_lo, s26, v20
	s_wait_alu 0xfffd
	v_add_co_ci_u32_e64 v89, null, s27, v21, vcc_lo
	v_add_co_u32 v90, vcc_lo, s26, v22
	s_wait_alu 0xfffd
	v_add_co_ci_u32_e64 v91, null, s27, v23, vcc_lo
	v_fmac_f32_e32 v78, s5, v67
	v_add_co_u32 v88, vcc_lo, v88, v71
	s_wait_alu 0xfffd
	v_add_co_ci_u32_e64 v89, null, 0, v89, vcc_lo
	v_add_co_u32 v92, vcc_lo, v90, v71
	s_wait_alu 0xfffd
	v_add_co_ci_u32_e64 v93, null, 0, v91, vcc_lo
	v_add_co_u32 v90, vcc_lo, s26, v24
	s_wait_alu 0xfffd
	v_add_co_ci_u32_e64 v91, null, s27, v25, vcc_lo
	v_add_co_u32 v94, vcc_lo, s26, v26
	s_wait_alu 0xfffd
	v_add_co_ci_u32_e64 v95, null, s27, v27, vcc_lo
	v_add_co_u32 v96, vcc_lo, v90, v71
	s_wait_alu 0xfffd
	v_add_co_ci_u32_e64 v97, null, 0, v91, vcc_lo
	v_add_co_u32 v100, vcc_lo, v94, v71
	s_wait_alu 0xfffd
	v_add_co_ci_u32_e64 v101, null, 0, v95, vcc_lo
	s_barrier_signal -1
	s_barrier_wait -1
	global_inv scope:SCOPE_SE
	s_clause 0x3
	global_load_b128 v[88:91], v[88:89], off
	global_load_b128 v[92:95], v[92:93], off
	;; [unrolled: 1-line block ×4, first 2 shown]
	v_bfi_b32 v68, 0x7fffffff, v87, v68
	v_dual_max_num_f32 v67, v85, v85 :: v_dual_max_num_f32 v0, v0, v0
	v_dual_max_num_f32 v1, v1, v1 :: v_dual_max_num_f32 v84, v84, v84
	s_delay_alu instid0(VALU_DEP_3) | instskip(SKIP_1) | instid1(VALU_DEP_2)
	v_dual_fmac_f32 v7, s5, v68 :: v_dual_add_f32 v68, 0x40051340, v78
	v_dual_max_num_f32 v86, v2, v2 :: v_dual_max_num_f32 v83, v83, v83
	v_dual_max_num_f32 v0, v0, v1 :: v_dual_add_f32 v85, 0x40051340, v7
	s_delay_alu instid0(VALU_DEP_4) | instskip(SKIP_1) | instid1(VALU_DEP_2)
	v_max_num_f32_e32 v2, v84, v67
	s_or_b32 s26, s10, 32
	v_dual_max_num_f32 v1, v86, v83 :: v_dual_sub_f32 v64, v64, v0
	s_delay_alu instid0(VALU_DEP_3) | instskip(SKIP_1) | instid1(VALU_DEP_3)
	v_max3_num_f32 v68, v63, v68, v85
	v_add_nc_u32_e32 v85, v38, v29
	v_dual_sub_f32 v79, v79, v0 :: v_dual_sub_f32 v66, v66, v1
	v_sub_f32_e32 v80, v80, v0
	ds_bpermute_b32 v67, v81, v68
	v_sub_f32_e32 v81, v82, v1
	v_sub_f32_e32 v70, v70, v2
	v_dual_sub_f32 v69, v69, v2 :: v_dual_mul_f32 v82, 0x3fb8aa3b, v79
	v_dual_mul_f32 v83, 0x3fb8aa3b, v80 :: v_dual_sub_f32 v72, v72, v1
	v_sub_f32_e32 v65, v65, v2
	s_delay_alu instid0(VALU_DEP_4) | instskip(NEXT) | instid1(VALU_DEP_4)
	v_mul_f32_e32 v106, 0x3fb8aa3b, v70
	v_rndne_f32_e32 v109, v82
	v_fma_f32 v108, 0x3fb8aa3b, v79, -v82
	v_dual_mul_f32 v84, 0x3fb8aa3b, v64 :: v_dual_mul_f32 v87, 0x3fb8aa3b, v81
	v_dual_mul_f32 v86, 0x3fb8aa3b, v72 :: v_dual_mul_f32 v105, 0x3fb8aa3b, v69
	s_delay_alu instid0(VALU_DEP_4) | instskip(SKIP_1) | instid1(VALU_DEP_4)
	v_sub_f32_e32 v82, v82, v109
	v_dual_mul_f32 v104, 0x3fb8aa3b, v66 :: v_dual_mul_f32 v107, 0x3fb8aa3b, v65
	v_rndne_f32_e32 v116, v87
	v_fma_f32 v110, 0x3fb8aa3b, v80, -v83
	s_wait_dscnt 0x0
	v_max_num_f32_e32 v67, v67, v67
	v_rndne_f32_e32 v111, v83
	v_fma_f32 v113, 0x3fb8aa3b, v72, -v86
	v_fma_f32 v115, 0x3fb8aa3b, v81, -v87
	v_rndne_f32_e32 v120, v105
	v_max_num_f32_e32 v67, v68, v67
	v_fma_f32 v121, 0x3fb8aa3b, v70, -v106
	v_dual_fmac_f32 v108, 0x32a5705f, v79 :: v_dual_fmac_f32 v113, 0x32a5705f, v72
	v_sub_f32_e32 v87, v87, v116
	ds_bpermute_b32 v6, v6, v67
	v_fma_f32 v112, 0x3fb8aa3b, v64, -v84
	v_rndne_f32_e32 v68, v84
	v_rndne_f32_e32 v114, v86
	v_fma_f32 v117, 0x3fb8aa3b, v66, -v104
	v_fma_f32 v119, 0x3fb8aa3b, v69, -v105
	v_dual_fmac_f32 v110, 0x32a5705f, v80 :: v_dual_sub_f32 v83, v83, v111
	v_sub_f32_e32 v105, v105, v120
	v_dual_fmac_f32 v121, 0x32a5705f, v70 :: v_dual_add_f32 v82, v82, v108
	v_dual_fmac_f32 v112, 0x32a5705f, v64 :: v_dual_fmac_f32 v115, 0x32a5705f, v81
	v_dual_sub_f32 v84, v84, v68 :: v_dual_fmac_f32 v117, 0x32a5705f, v66
	v_dual_sub_f32 v86, v86, v114 :: v_dual_fmac_f32 v119, 0x32a5705f, v69
	s_delay_alu instid0(VALU_DEP_2)
	v_dual_add_f32 v83, v83, v110 :: v_dual_add_f32 v84, v84, v112
	v_exp_f32_e32 v82, v82
	s_wait_dscnt 0x0
	v_max_num_f32_e32 v6, v6, v6
	v_cvt_i32_f32_e32 v109, v109
	v_dual_add_f32 v86, v86, v113 :: v_dual_add_f32 v87, v87, v115
	v_exp_f32_e32 v83, v83
	s_delay_alu instid0(VALU_DEP_3)
	v_max_num_f32_e32 v6, v67, v6
	v_rndne_f32_e32 v118, v104
	v_cvt_i32_f32_e32 v111, v111
	v_exp_f32_e32 v84, v84
	v_exp_f32_e32 v86, v86
	ds_bpermute_b32 v5, v5, v6
	v_ldexp_f32 v82, v82, v109
	v_cmp_ngt_f32_e32 vcc_lo, 0xc2ce8ed0, v79
	v_rndne_f32_e32 v122, v106
	v_fma_f32 v123, 0x3fb8aa3b, v65, -v107
	v_cvt_i32_f32_e32 v68, v68
	v_cvt_i32_f32_e32 v114, v114
	v_sub_f32_e32 v104, v104, v118
	v_ldexp_f32 v83, v83, v111
	s_wait_alu 0xfffd
	v_cndmask_b32_e32 v82, 0, v82, vcc_lo
	v_cmp_ngt_f32_e32 vcc_lo, 0xc2ce8ed0, v80
	v_rndne_f32_e32 v124, v107
	v_dual_sub_f32 v106, v106, v122 :: v_dual_fmac_f32 v123, 0x32a5705f, v65
	v_dual_add_f32 v104, v104, v117 :: v_dual_add_f32 v105, v105, v119
	v_exp_f32_e32 v87, v87
	v_ldexp_f32 v68, v84, v68
	v_ldexp_f32 v84, v86, v114
	s_wait_alu 0xfffd
	v_cndmask_b32_e32 v83, 0, v83, vcc_lo
	s_wait_dscnt 0x0
	v_max_num_f32_e32 v5, v5, v5
	v_cmp_ngt_f32_e32 vcc_lo, 0xc2ce8ed0, v64
	v_cvt_i32_f32_e32 v67, v116
	v_dual_sub_f32 v107, v107, v124 :: v_dual_add_f32 v106, v106, v121
	s_wait_alu 0xfffd
	v_dual_max_num_f32 v5, v6, v5 :: v_dual_cndmask_b32 v68, 0, v68
	v_exp_f32_e32 v6, v104
	v_cmp_ngt_f32_e32 vcc_lo, 0xc2ce8ed0, v72
	v_cvt_i32_f32_e32 v116, v118
	ds_bpermute_b32 v4, v4, v5
	v_add_f32_e32 v107, v107, v123
	v_exp_f32_e32 v104, v105
	v_exp_f32_e32 v105, v106
	v_ldexp_f32 v67, v87, v67
	s_wait_alu 0xfffd
	v_cndmask_b32_e32 v84, 0, v84, vcc_lo
	v_cmp_ngt_f32_e32 vcc_lo, 0xc2ce8ed0, v81
	v_cvt_i32_f32_e32 v118, v120
	v_cvt_i32_f32_e32 v120, v122
	v_exp_f32_e32 v106, v107
	v_ldexp_f32 v6, v6, v116
	s_wait_alu 0xfffd
	v_cndmask_b32_e32 v67, 0, v67, vcc_lo
	v_cmp_ngt_f32_e32 vcc_lo, 0xc2ce8ed0, v66
	v_cvt_i32_f32_e32 v122, v124
	v_ldexp_f32 v86, v104, v118
	v_ldexp_f32 v87, v105, v120
	s_wait_alu 0xfffe
	s_ashr_i32 s27, s26, 31
	s_wait_alu 0xfffd
	v_cndmask_b32_e32 v6, 0, v6, vcc_lo
	v_cmp_ngt_f32_e32 vcc_lo, 0xc2ce8ed0, v69
	v_ldexp_f32 v104, v106, v122
	s_wait_dscnt 0x0
	v_max_num_f32_e32 v4, v4, v4
	s_wait_alu 0xfffe
	s_mul_u64 s[26:27], s[26:27], s[14:15]
	s_wait_alu 0xfffd
	v_cndmask_b32_e32 v86, 0, v86, vcc_lo
	v_cmp_ngt_f32_e32 vcc_lo, 0xc2ce8ed0, v70
	v_max_num_f32_e32 v4, v5, v4
	s_wait_alu 0xfffe
	s_lshl_b64 s[26:27], s[26:27], 2
	s_wait_alu 0xfffe
	s_add_nc_u64 s[26:27], s[8:9], s[26:27]
	s_wait_alu 0xfffd
	v_cndmask_b32_e32 v5, 0, v87, vcc_lo
	v_cmp_ngt_f32_e32 vcc_lo, 0xc2ce8ed0, v65
	s_wait_alu 0xfffd
	v_cndmask_b32_e32 v87, 0, v104, vcc_lo
	v_cmp_nlt_f32_e32 vcc_lo, 0x42b17218, v79
	s_wait_alu 0xfffd
	v_cndmask_b32_e32 v79, 0x7f800000, v82, vcc_lo
	ds_bpermute_b32 v3, v3, v4
	v_cmp_nlt_f32_e32 vcc_lo, 0x42b17218, v80
	s_wait_alu 0xfffd
	v_cndmask_b32_e32 v80, 0x7f800000, v83, vcc_lo
	v_cmp_nlt_f32_e32 vcc_lo, 0x42b17218, v64
	s_wait_alu 0xfffd
	v_cndmask_b32_e32 v64, 0x7f800000, v68, vcc_lo
	v_cmp_nlt_f32_e32 vcc_lo, 0x42b17218, v72
	s_wait_dscnt 0x0
	s_wait_alu 0xfffd
	v_dual_max_num_f32 v3, v3, v3 :: v_dual_cndmask_b32 v68, 0x7f800000, v84
	v_cmp_nlt_f32_e32 vcc_lo, 0x42b17218, v81
	s_delay_alu instid0(VALU_DEP_2) | instskip(NEXT) | instid1(VALU_DEP_3)
	v_max_num_f32_e32 v3, v4, v3
	v_cvt_f16_f32_e32 v81, v68
	s_wait_alu 0xfffd
	v_cndmask_b32_e32 v72, 0x7f800000, v67, vcc_lo
	v_cmp_nlt_f32_e32 vcc_lo, 0x42b17218, v66
	v_sub_f32_e32 v78, v78, v3
	s_wait_alu 0xfffd
	v_dual_sub_f32 v7, v7, v3 :: v_dual_cndmask_b32 v6, 0x7f800000, v6
	v_cmp_nlt_f32_e32 vcc_lo, 0x42b17218, v69
	s_delay_alu instid0(VALU_DEP_2) | instskip(NEXT) | instid1(VALU_DEP_3)
	v_mul_f32_e32 v84, 0x3fb8aa3b, v7
	v_cvt_f16_f32_e32 v4, v6
	s_wait_alu 0xfffd
	v_cndmask_b32_e32 v66, 0x7f800000, v86, vcc_lo
	v_cmp_nlt_f32_e32 vcc_lo, 0x42b17218, v70
	v_cvt_f16_f32_e32 v70, v79
	v_rndne_f32_e32 v104, v84
	s_delay_alu instid0(VALU_DEP_4) | instskip(SKIP_3) | instid1(VALU_DEP_2)
	v_cvt_f16_f32_e32 v82, v66
	s_wait_alu 0xfffd
	v_cndmask_b32_e32 v5, 0x7f800000, v5, vcc_lo
	v_cmp_nlt_f32_e32 vcc_lo, 0x42b17218, v65
	v_add_f32_e32 v69, v66, v5
	v_add_f32_e32 v67, v79, v80
	;; [unrolled: 1-line block ×3, first 2 shown]
	v_cvt_f16_f32_e32 v66, v5
	v_sub_f32_e32 v5, v63, v3
	v_mul_f32_e32 v63, 0x3fb8aa3b, v78
	v_fmac_f32_e32 v67, v62, v64
	v_cvt_f16_f32_e32 v79, v80
	v_cvt_f16_f32_e32 v80, v64
	v_mul_f32_e32 v62, 0x3fb8aa3b, v5
	v_fma_f32 v64, 0x3fb8aa3b, v78, -v63
	v_rndne_f32_e32 v86, v63
	s_wait_alu 0xfffd
	v_cndmask_b32_e32 v65, 0x7f800000, v87, vcc_lo
	v_fma_f32 v87, 0x3fb8aa3b, v7, -v84
	v_fma_f32 v105, 0x3fb8aa3b, v5, -v62
	v_rndne_f32_e32 v106, v62
	v_sub_f32_e32 v63, v63, v86
	s_delay_alu instid0(VALU_DEP_4) | instskip(NEXT) | instid1(VALU_DEP_3)
	v_dual_fmac_f32 v64, 0x32a5705f, v78 :: v_dual_fmac_f32 v87, 0x32a5705f, v7
	v_dual_fmac_f32 v105, 0x32a5705f, v5 :: v_dual_sub_f32 v62, v62, v106
	v_and_b32_e32 v80, 0xffff, v80
	s_delay_alu instid0(VALU_DEP_3) | instskip(NEXT) | instid1(VALU_DEP_3)
	v_dual_add_f32 v63, v63, v64 :: v_dual_fmac_f32 v68, v61, v6
	v_dual_sub_f32 v84, v84, v104 :: v_dual_add_f32 v61, v62, v105
	v_dual_fmac_f32 v69, v60, v65 :: v_dual_and_b32 v62, 0xffff, v4
	v_pack_b32_f16 v4, v70, v81
	v_cvt_i32_f32_e32 v81, v106
	s_delay_alu instid0(VALU_DEP_4)
	v_exp_f32_e32 v61, v61
	v_exp_f32_e32 v63, v63
	v_cvt_f16_f32_e32 v83, v65
	v_cvt_i32_f32_e32 v65, v86
	v_cvt_i32_f32_e32 v70, v104
	v_cmp_ngt_f32_e32 vcc_lo, 0xc2ce8ed0, v78
	v_cvt_f16_f32_e32 v72, v72
	v_and_b32_e32 v64, 0xffff, v83
	s_delay_alu instid0(TRANS32_DEP_2) | instskip(SKIP_1) | instid1(TRANS32_DEP_1)
	v_ldexp_f32 v61, v61, v81
	v_add_f32_e32 v6, v84, v87
	v_ldexp_f32 v63, v63, v65
	v_mul_u32_u24_e32 v65, 0x10001, v80
	v_mul_u32_u24_e32 v104, 0x10001, v64
	s_delay_alu instid0(VALU_DEP_4)
	v_exp_f32_e32 v60, v6
	v_pack_b32_f16 v6, v79, v72
	v_mul_u32_u24_e32 v72, 0x10001, v62
	v_pk_mul_f16 v105, v58, v65
	v_pk_mul_f16 v106, v57, v65
	;; [unrolled: 1-line block ×6, first 2 shown]
	s_delay_alu instid0(TRANS32_DEP_1)
	v_ldexp_f32 v60, v60, v70
	s_wait_alu 0xfffd
	v_cndmask_b32_e32 v63, 0, v63, vcc_lo
	v_cmp_ngt_f32_e32 vcc_lo, 0xc2ce8ed0, v7
	s_wait_alu 0xfffd
	v_cndmask_b32_e32 v60, 0, v60, vcc_lo
	v_cmp_ngt_f32_e32 vcc_lo, 0xc2ce8ed0, v5
	s_wait_alu 0xfffd
	v_cndmask_b32_e32 v61, 0, v61, vcc_lo
	v_cmp_nlt_f32_e32 vcc_lo, 0x42b17218, v78
	s_wait_alu 0xfffd
	v_cndmask_b32_e32 v63, 0x7f800000, v63, vcc_lo
	v_cmp_nlt_f32_e32 vcc_lo, 0x42b17218, v7
	;; [unrolled: 3-line block ×3, first 2 shown]
	s_wait_alu 0xfffd
	s_delay_alu instid0(VALU_DEP_2) | instskip(SKIP_1) | instid1(VALU_DEP_2)
	v_dual_add_f32 v70, v63, v60 :: v_dual_cndmask_b32 v61, 0x7f800000, v61
	v_cvt_f16_f32_e32 v7, v60
	v_fmac_f32_e32 v70, v59, v61
	v_cvt_f16_f32_e32 v5, v63
	s_delay_alu instid0(VALU_DEP_3) | instskip(SKIP_2) | instid1(VALU_DEP_4)
	v_pack_b32_f16 v7, v66, v7
	v_cvt_f16_f32_e32 v58, v61
	v_pk_mul_f16 v66, v56, v65
	v_pack_b32_f16 v5, v82, v5
	ds_store_2addr_b64 v85, v[4:5], v[6:7] offset1:32
	s_wait_loadcnt 0x3
	ds_store_b128 v37, v[88:91]
	s_wait_loadcnt 0x2
	ds_store_b128 v39, v[92:95]
	;; [unrolled: 2-line block ×4, first 2 shown]
	s_wait_dscnt 0x0
	s_barrier_signal -1
	s_barrier_wait -1
	global_inv scope:SCOPE_SE
	ds_load_b128 v[4:7], v38
	v_and_b32_e32 v55, 0xffff, v58
	v_pk_mul_f16 v94, v53, v72
	v_pk_mul_f16 v95, v54, v72
	s_delay_alu instid0(VALU_DEP_3)
	v_mul_u32_u24_e32 v57, 0x10001, v55
	ds_load_b128 v[53:56], v38 offset:16
	v_pk_mul_f16 v46, v46, v57
	v_pk_mul_f16 v47, v47, v57
	;; [unrolled: 1-line block ×4, first 2 shown]
	ds_load_2addr_b64 v[57:60], v29 offset1:32
	ds_load_b128 v[61:64], v38 offset:32
	ds_load_b128 v[78:81], v38 offset:48
	ds_load_2addr_b64 v[82:85], v29 offset0:64 offset1:96
	ds_load_2addr_b64 v[86:89], v29 offset0:128 offset1:160
	;; [unrolled: 1-line block ×3, first 2 shown]
	s_wait_dscnt 0x7
	v_lshrrev_b32_e32 v96, 16, v4
	v_lshrrev_b32_e32 v97, 16, v5
	v_and_b32_e32 v4, 0xffff, v4
	v_and_b32_e32 v5, 0xffff, v5
	v_lshrrev_b32_e32 v98, 16, v6
	v_mul_u32_u24_e32 v96, 0x10001, v96
	v_lshrrev_b32_e32 v99, 16, v7
	v_mul_u32_u24_e32 v4, 0x10001, v4
	v_mul_u32_u24_e32 v5, 0x10001, v5
	v_and_b32_e32 v6, 0xffff, v6
	v_and_b32_e32 v7, 0xffff, v7
	v_mul_u32_u24_e32 v97, 0x10001, v97
	s_wait_dscnt 0x5
	v_pk_mul_f16 v108, v57, v4
	v_pk_mul_f16 v109, v57, v96
	v_pk_mul_f16 v110, v57, v5
	v_lshrrev_b32_e32 v100, 16, v53
	v_lshrrev_b32_e32 v101, 16, v54
	v_and_b32_e32 v53, 0xffff, v53
	v_and_b32_e32 v54, 0xffff, v54
	v_mul_u32_u24_e32 v6, 0x10001, v6
	v_mul_u32_u24_e32 v98, 0x10001, v98
	;; [unrolled: 1-line block ×4, first 2 shown]
	v_pk_fma_f16 v46, v57, v97, v46
	v_pk_fma_f16 v57, v58, v4, v105
	;; [unrolled: 1-line block ×13, first 2 shown]
	v_lshrrev_b32_e32 v102, 16, v55
	v_lshrrev_b32_e32 v103, 16, v56
	v_and_b32_e32 v55, 0xffff, v55
	v_and_b32_e32 v56, 0xffff, v56
	v_mul_u32_u24_e32 v53, 0x10001, v53
	v_mul_u32_u24_e32 v100, 0x10001, v100
	v_mul_u32_u24_e32 v54, 0x10001, v54
	v_mul_u32_u24_e32 v101, 0x10001, v101
	v_pk_fma_f16 v45, v59, v97, v45
	v_pk_fma_f16 v59, v60, v96, v95
	;; [unrolled: 1-line block ×3, first 2 shown]
	s_wait_dscnt 0x2
	v_pk_fma_f16 v46, v82, v99, v46
	v_pk_fma_f16 v52, v83, v6, v57
	;; [unrolled: 1-line block ×13, first 2 shown]
	v_mul_u32_u24_e32 v55, 0x10001, v55
	v_mul_u32_u24_e32 v102, 0x10001, v102
	;; [unrolled: 1-line block ×3, first 2 shown]
	s_wait_dscnt 0x1
	v_pk_fma_f16 v44, v86, v101, v46
	v_pk_fma_f16 v46, v87, v53, v52
	;; [unrolled: 1-line block ×11, first 2 shown]
	v_add_nc_u32_e32 v47, 0x800, v29
	v_pk_fma_f16 v45, v84, v99, v45
	v_pk_fma_f16 v51, v87, v54, v51
	;; [unrolled: 1-line block ×3, first 2 shown]
	s_wait_dscnt 0x0
	v_pk_fma_f16 v48, v90, v55, v4
	v_pk_fma_f16 v54, v90, v102, v5
	;; [unrolled: 1-line block ×3, first 2 shown]
	ds_load_2addr_b64 v[4:7], v47 offset1:32
	v_mul_u32_u24_e32 v103, 0x10001, v103
	v_pk_fma_f16 v45, v88, v101, v45
	v_pk_fma_f16 v43, v85, v99, v43
	;; [unrolled: 1-line block ×6, first 2 shown]
	v_and_b32_e32 v45, 0xffff, v61
	v_lshrrev_b32_e32 v60, 16, v61
	v_and_b32_e32 v61, 0xffff, v62
	v_lshrrev_b32_e32 v62, 16, v62
	v_pk_fma_f16 v59, v85, v98, v59
	v_pk_fma_f16 v43, v89, v101, v43
	v_pk_fma_f16 v44, v90, v103, v44
	v_pk_fma_f16 v51, v91, v56, v51
	v_pk_fma_f16 v49, v92, v56, v49
	v_pk_fma_f16 v53, v93, v56, v53
	v_mul_u32_u24_e32 v56, 0x10001, v45
	v_mul_u32_u24_e32 v60, 0x10001, v60
	;; [unrolled: 1-line block ×4, first 2 shown]
	v_pk_fma_f16 v59, v89, v100, v59
	v_pk_fma_f16 v72, v93, v103, v43
	s_wait_dscnt 0x0
	v_pk_fma_f16 v48, v4, v56, v48
	v_pk_fma_f16 v54, v4, v60, v54
	;; [unrolled: 1-line block ×5, first 2 shown]
	ds_load_2addr_b64 v[43:46], v47 offset0:64 offset1:96
	v_pk_fma_f16 v50, v91, v102, v50
	v_pk_fma_f16 v52, v91, v103, v52
	;; [unrolled: 1-line block ×13, first 2 shown]
	v_and_b32_e32 v5, 0xffff, v63
	v_lshrrev_b32_e32 v6, 16, v63
	v_and_b32_e32 v59, 0xffff, v64
	v_lshrrev_b32_e32 v60, 16, v64
	v_pk_fma_f16 v53, v7, v61, v53
	v_mul_u32_u24_e32 v61, 0x10001, v5
	v_mul_u32_u24_e32 v63, 0x10001, v6
	;; [unrolled: 1-line block ×4, first 2 shown]
	v_pk_fma_f16 v62, v7, v62, v72
	s_wait_dscnt 0x0
	v_pk_fma_f16 v48, v43, v61, v48
	v_pk_fma_f16 v54, v43, v63, v54
	;; [unrolled: 1-line block ×4, first 2 shown]
	ds_load_2addr_b64 v[4:7], v47 offset0:128 offset1:160
	v_pk_fma_f16 v65, v44, v61, v82
	v_pk_fma_f16 v50, v44, v63, v50
	;; [unrolled: 1-line block ×8, first 2 shown]
	v_and_b32_e32 v49, 0xffff, v78
	v_lshrrev_b32_e32 v51, 16, v78
	v_and_b32_e32 v61, 0xffff, v79
	v_pk_fma_f16 v45, v45, v60, v66
	v_pk_fma_f16 v56, v46, v63, v56
	v_lshrrev_b32_e32 v63, 16, v79
	v_pk_fma_f16 v53, v46, v59, v53
	v_mul_u32_u24_e32 v59, 0x10001, v49
	v_mul_u32_u24_e32 v66, 0x10001, v51
	v_mul_u32_u24_e32 v61, 0x10001, v61
	v_mul_u32_u24_e32 v63, 0x10001, v63
	v_pk_fma_f16 v46, v46, v60, v62
	s_wait_dscnt 0x0
	v_pk_fma_f16 v60, v4, v59, v48
	v_pk_fma_f16 v54, v4, v66, v54
	;; [unrolled: 1-line block ×5, first 2 shown]
	ds_load_2addr_b64 v[48:51], v47 offset0:192 offset1:224
	v_pk_fma_f16 v43, v4, v63, v43
	v_pk_fma_f16 v72, v5, v61, v72
	v_pk_fma_f16 v78, v5, v63, v44
	v_and_b32_e32 v4, 0xffff, v80
	v_lshrrev_b32_e32 v5, 16, v80
	v_pk_fma_f16 v79, v6, v59, v52
	v_pk_fma_f16 v57, v6, v66, v57
	;; [unrolled: 1-line block ×8, first 2 shown]
	v_and_b32_e32 v44, 0xffff, v81
	v_mul_u32_u24_e32 v63, 0x10001, v4
	v_mul_u32_u24_e32 v66, 0x10001, v5
	ds_load_b128 v[4:7], v38 offset:64
	v_lshrrev_b32_e32 v52, 16, v81
	v_mul_u32_u24_e32 v80, 0x10001, v44
	v_add_nc_u32_e32 v44, 0x1000, v29
	s_wait_dscnt 0x1
	v_pk_fma_f16 v82, v48, v66, v54
	v_pk_fma_f16 v60, v48, v63, v60
	v_mul_u32_u24_e32 v81, 0x10001, v52
	v_pk_fma_f16 v62, v48, v80, v62
	ds_load_2addr_b64 v[52:55], v44 offset1:32
	v_pk_fma_f16 v83, v50, v80, v58
	v_pk_fma_f16 v61, v51, v80, v61
	;; [unrolled: 1-line block ×12, first 2 shown]
	ds_load_b128 v[56:59], v38 offset:80
	s_wait_dscnt 0x2
	v_and_b32_e32 v49, 0xffff, v4
	v_lshrrev_b32_e32 v4, 16, v4
	v_and_b32_e32 v50, 0xffff, v5
	v_lshrrev_b32_e32 v5, 16, v5
	v_pk_fma_f16 v46, v51, v81, v46
	v_mul_u32_u24_e32 v80, 0x10001, v49
	v_mul_u32_u24_e32 v4, 0x10001, v4
	;; [unrolled: 1-line block ×4, first 2 shown]
	s_wait_dscnt 0x1
	v_pk_fma_f16 v60, v52, v80, v60
	v_pk_fma_f16 v81, v52, v4, v82
	;; [unrolled: 1-line block ×5, first 2 shown]
	ds_load_2addr_b64 v[48:51], v44 offset0:64 offset1:96
	v_pk_fma_f16 v64, v53, v4, v64
	v_pk_fma_f16 v65, v53, v84, v65
	;; [unrolled: 1-line block ×9, first 2 shown]
	v_and_b32_e32 v4, 0xffff, v6
	v_lshrrev_b32_e32 v6, 16, v6
	v_and_b32_e32 v66, 0xffff, v7
	v_lshrrev_b32_e32 v7, 16, v7
	v_pk_fma_f16 v46, v55, v5, v46
	v_mul_u32_u24_e32 v80, 0x10001, v4
	v_mul_u32_u24_e32 v82, 0x10001, v6
	;; [unrolled: 1-line block ×4, first 2 shown]
	ds_load_2addr_b64 v[4:7], v44 offset0:128 offset1:160
	v_pk_fma_f16 v61, v55, v84, v61
	s_wait_dscnt 0x1
	v_pk_fma_f16 v55, v48, v80, v60
	v_pk_fma_f16 v60, v48, v82, v81
	;; [unrolled: 1-line block ×8, first 2 shown]
	v_and_b32_e32 v49, 0xffff, v56
	v_pk_fma_f16 v65, v50, v80, v72
	v_pk_fma_f16 v72, v50, v82, v78
	;; [unrolled: 1-line block ×4, first 2 shown]
	v_lshrrev_b32_e32 v50, 16, v56
	v_and_b32_e32 v56, 0xffff, v57
	v_lshrrev_b32_e32 v57, 16, v57
	v_pk_fma_f16 v61, v51, v66, v61
	v_mul_u32_u24_e32 v66, 0x10001, v49
	v_pk_fma_f16 v54, v51, v80, v54
	v_pk_fma_f16 v63, v51, v82, v63
	v_mul_u32_u24_e32 v79, 0x10001, v50
	v_mul_u32_u24_e32 v56, 0x10001, v56
	v_mul_u32_u24_e32 v57, 0x10001, v57
	v_pk_fma_f16 v46, v51, v83, v46
	s_wait_dscnt 0x0
	v_pk_fma_f16 v80, v5, v66, v48
	ds_load_2addr_b64 v[48:51], v44 offset0:192 offset1:224
	v_pk_fma_f16 v55, v4, v66, v55
	v_pk_fma_f16 v60, v4, v79, v60
	;; [unrolled: 1-line block ×7, first 2 shown]
	v_and_b32_e32 v4, 0xffff, v58
	v_lshrrev_b32_e32 v5, 16, v58
	v_pk_fma_f16 v65, v6, v66, v65
	v_pk_fma_f16 v72, v6, v79, v72
	;; [unrolled: 1-line block ×8, first 2 shown]
	v_and_b32_e32 v45, 0xffff, v59
	v_lshrrev_b32_e32 v53, 16, v59
	v_mul_u32_u24_e32 v56, 0x10001, v4
	v_mul_u32_u24_e32 v57, 0x10001, v5
	ds_load_b128 v[4:7], v38 offset:96
	v_mul_u32_u24_e32 v79, 0x10001, v45
	v_mul_u32_u24_e32 v83, 0x10001, v53
	v_add_nc_u32_e32 v45, 0x1800, v29
	s_wait_dscnt 0x1
	v_pk_fma_f16 v84, v48, v56, v55
	v_pk_fma_f16 v60, v48, v57, v60
	;; [unrolled: 1-line block ×6, first 2 shown]
	ds_load_2addr_b64 v[52:55], v45 offset1:32
	v_pk_fma_f16 v64, v49, v79, v64
	v_pk_fma_f16 v81, v49, v83, v81
	;; [unrolled: 1-line block ×8, first 2 shown]
	ds_load_b128 v[56:59], v38 offset:112
	s_wait_dscnt 0x2
	v_and_b32_e32 v49, 0xffff, v4
	v_lshrrev_b32_e32 v4, 16, v4
	v_and_b32_e32 v50, 0xffff, v5
	v_lshrrev_b32_e32 v5, 16, v5
	v_pk_fma_f16 v61, v51, v79, v61
	v_mul_u32_u24_e32 v79, 0x10001, v49
	v_mul_u32_u24_e32 v4, 0x10001, v4
	v_mul_u32_u24_e32 v85, 0x10001, v50
	v_mul_u32_u24_e32 v5, 0x10001, v5
	v_pk_fma_f16 v46, v51, v83, v46
	s_wait_dscnt 0x1
	v_pk_fma_f16 v83, v52, v79, v84
	v_pk_fma_f16 v60, v52, v4, v60
	;; [unrolled: 1-line block ×5, first 2 shown]
	ds_load_2addr_b64 v[48:51], v45 offset0:64 offset1:96
	v_pk_fma_f16 v80, v53, v4, v80
	v_pk_fma_f16 v65, v54, v79, v65
	;; [unrolled: 1-line block ×5, first 2 shown]
	v_and_b32_e32 v4, 0xffff, v6
	v_lshrrev_b32_e32 v6, 16, v6
	v_and_b32_e32 v79, 0xffff, v7
	v_lshrrev_b32_e32 v7, 16, v7
	v_pk_fma_f16 v64, v53, v85, v64
	v_pk_fma_f16 v53, v53, v5, v81
	;; [unrolled: 1-line block ×4, first 2 shown]
	v_mul_u32_u24_e32 v81, 0x10001, v4
	v_mul_u32_u24_e32 v82, 0x10001, v6
	;; [unrolled: 1-line block ×3, first 2 shown]
	v_pk_fma_f16 v46, v55, v5, v46
	ds_load_2addr_b64 v[4:7], v45 offset0:128 offset1:160
	v_mul_u32_u24_e32 v79, 0x10001, v79
	v_pk_fma_f16 v61, v55, v85, v61
	s_wait_dscnt 0x1
	v_pk_fma_f16 v55, v48, v81, v83
	v_pk_fma_f16 v60, v48, v82, v60
	;; [unrolled: 1-line block ×12, first 2 shown]
	v_and_b32_e32 v49, 0xffff, v56
	v_lshrrev_b32_e32 v50, 16, v56
	v_and_b32_e32 v56, 0xffff, v57
	v_lshrrev_b32_e32 v57, 16, v57
	v_pk_fma_f16 v61, v51, v79, v61
	v_mul_u32_u24_e32 v79, 0x10001, v49
	v_mul_u32_u24_e32 v80, 0x10001, v50
	;; [unrolled: 1-line block ×4, first 2 shown]
	v_pk_fma_f16 v66, v51, v81, v66
	v_pk_fma_f16 v63, v51, v82, v63
	v_pk_fma_f16 v46, v51, v84, v46
	s_wait_dscnt 0x0
	v_pk_fma_f16 v81, v4, v79, v55
	v_pk_fma_f16 v60, v4, v80, v60
	v_pk_fma_f16 v62, v4, v56, v62
	v_pk_fma_f16 v4, v4, v57, v43
	v_pk_fma_f16 v43, v5, v79, v48
	v_pk_fma_f16 v82, v5, v80, v52
	v_pk_fma_f16 v64, v5, v56, v64
	v_pk_fma_f16 v5, v5, v57, v53
	v_and_b32_e32 v52, 0xffff, v58
	v_lshrrev_b32_e32 v53, 16, v58
	ds_load_2addr_b64 v[48:51], v45 offset0:192 offset1:224
	v_pk_fma_f16 v65, v6, v79, v65
	v_pk_fma_f16 v72, v6, v80, v72
	;; [unrolled: 1-line block ×7, first 2 shown]
	v_lshrrev_b32_e32 v46, 16, v59
	v_mul_u32_u24_e32 v80, 0x10001, v52
	v_mul_u32_u24_e32 v83, 0x10001, v53
	ds_load_b128 v[52:55], v38 offset:128
	v_pk_fma_f16 v61, v7, v56, v61
	v_mul_u32_u24_e32 v85, 0x10001, v46
	v_add_nc_u32_e32 v46, 0x2000, v29
	v_and_b32_e32 v7, 0xffff, v59
	ds_load_2addr_b64 v[56:59], v46 offset1:32
	v_mul_u32_u24_e32 v84, 0x10001, v7
	s_wait_dscnt 0x2
	v_pk_fma_f16 v81, v48, v80, v81
	v_pk_fma_f16 v60, v48, v83, v60
	;; [unrolled: 1-line block ×12, first 2 shown]
	ds_load_b128 v[4:7], v38 offset:144
	s_wait_dscnt 0x2
	v_and_b32_e32 v49, 0xffff, v52
	v_lshrrev_b32_e32 v50, 16, v52
	v_and_b32_e32 v52, 0xffff, v53
	v_lshrrev_b32_e32 v53, 16, v53
	v_pk_fma_f16 v66, v51, v80, v66
	v_pk_fma_f16 v63, v51, v83, v63
	v_mul_u32_u24_e32 v80, 0x10001, v49
	v_mul_u32_u24_e32 v83, 0x10001, v50
	;; [unrolled: 1-line block ×4, first 2 shown]
	v_pk_fma_f16 v61, v51, v84, v61
	v_pk_fma_f16 v79, v51, v85, v79
	s_wait_dscnt 0x1
	v_pk_fma_f16 v81, v56, v80, v81
	v_pk_fma_f16 v60, v56, v83, v60
	v_pk_fma_f16 v62, v56, v52, v62
	v_pk_fma_f16 v56, v56, v53, v48
	ds_load_2addr_b64 v[48:51], v46 offset0:64 offset1:96
	v_pk_fma_f16 v43, v57, v80, v43
	v_pk_fma_f16 v82, v57, v83, v82
	;; [unrolled: 1-line block ×6, first 2 shown]
	v_and_b32_e32 v80, 0xffff, v54
	v_lshrrev_b32_e32 v54, 16, v54
	v_and_b32_e32 v83, 0xffff, v55
	v_lshrrev_b32_e32 v55, 16, v55
	v_pk_fma_f16 v64, v57, v52, v64
	v_pk_fma_f16 v78, v58, v52, v78
	;; [unrolled: 1-line block ×3, first 2 shown]
	v_mul_u32_u24_e32 v52, 0x10001, v80
	v_mul_u32_u24_e32 v54, 0x10001, v54
	;; [unrolled: 1-line block ×4, first 2 shown]
	v_pk_fma_f16 v57, v57, v53, v86
	v_pk_fma_f16 v58, v58, v53, v87
	s_wait_dscnt 0x0
	v_pk_fma_f16 v166, v48, v52, v81
	v_pk_fma_f16 v167, v48, v54, v60
	;; [unrolled: 1-line block ×4, first 2 shown]
	s_wait_alu 0xfffe
	v_add_co_u32 v48, vcc_lo, s26, v20
	v_pk_fma_f16 v170, v49, v52, v43
	v_pk_fma_f16 v171, v49, v54, v82
	;; [unrolled: 1-line block ×4, first 2 shown]
	s_wait_alu 0xfffd
	v_add_co_ci_u32_e64 v49, null, s27, v21, vcc_lo
	v_add_co_u32 v64, vcc_lo, s26, v22
	v_pk_fma_f16 v174, v50, v52, v65
	s_wait_alu 0xfffd
	v_add_co_ci_u32_e64 v65, null, s27, v23, vcc_lo
	v_add_co_u32 v48, vcc_lo, v48, v71
	s_wait_alu 0xfffd
	v_add_co_ci_u32_e64 v49, null, 0, v49, vcc_lo
	v_add_co_u32 v64, vcc_lo, v64, v71
	v_pk_fma_f16 v175, v50, v54, v72
	s_wait_alu 0xfffd
	v_add_co_ci_u32_e64 v65, null, 0, v65, vcc_lo
	v_add_co_u32 v72, vcc_lo, s26, v24
	s_wait_alu 0xfffd
	v_add_co_ci_u32_e64 v146, null, s27, v25, vcc_lo
	v_add_co_u32 v147, vcc_lo, s26, v26
	;; [unrolled: 3-line block ×3, first 2 shown]
	v_lshrrev_b32_e32 v178, 16, v4
	v_add_nc_u32_e32 v43, 0x2800, v29
	v_lshrrev_b32_e32 v179, 16, v5
	v_and_b32_e32 v180, 0xffff, v4
	v_and_b32_e32 v181, 0xffff, v5
	v_add_nc_u32_e32 v5, 0x3000, v29
	v_add_nc_u32_e32 v4, 0x3800, v29
	s_wait_alu 0xfffd
	v_add_co_ci_u32_e64 v155, null, 0, v146, vcc_lo
	v_add_co_u32 v71, vcc_lo, v147, v71
	s_wait_alu 0xfffd
	v_add_co_ci_u32_e64 v72, null, 0, v148, vcc_lo
	v_pk_fma_f16 v165, v59, v53, v79
	v_pk_fma_f16 v176, v50, v163, v78
	;; [unrolled: 1-line block ×5, first 2 shown]
	ds_load_2addr_b64 v[52:55], v46 offset0:128 offset1:160
	ds_load_2addr_b64 v[56:59], v46 offset0:192 offset1:224
	ds_load_2addr_b64 v[60:63], v43 offset1:32
	ds_load_2addr_b64 v[78:81], v43 offset0:64 offset1:96
	ds_load_2addr_b64 v[82:85], v43 offset0:128 offset1:160
	ds_load_b128 v[86:89], v38 offset:160
	ds_load_b128 v[90:93], v38 offset:176
	ds_load_2addr_b64 v[94:97], v43 offset0:192 offset1:224
	ds_load_2addr_b64 v[98:101], v5 offset1:32
	ds_load_2addr_b64 v[102:105], v5 offset0:64 offset1:96
	ds_load_2addr_b64 v[106:109], v5 offset0:128 offset1:160
	ds_load_b128 v[110:113], v38 offset:192
	ds_load_b128 v[114:117], v38 offset:208
	;; [unrolled: 6-line block ×3, first 2 shown]
	ds_load_2addr_b64 v[142:145], v4 offset0:192 offset1:224
	s_wait_loadcnt_dscnt 0x0
	s_barrier_signal -1
	s_barrier_wait -1
	global_inv scope:SCOPE_SE
	s_clause 0x3
	global_load_b128 v[146:149], v[48:49], off
	global_load_b128 v[150:153], v[64:65], off
	;; [unrolled: 1-line block ×4, first 2 shown]
	v_mul_u32_u24_e32 v49, 0x10001, v180
	v_mul_u32_u24_e32 v64, 0x10001, v178
	;; [unrolled: 1-line block ×4, first 2 shown]
	v_pk_fma_f16 v48, v51, v163, v162
	v_pk_fma_f16 v51, v51, v164, v165
	s_wait_loadcnt 0x3
	ds_store_b128 v37, v[146:149]
	s_wait_loadcnt 0x2
	ds_store_b128 v39, v[150:153]
	;; [unrolled: 2-line block ×4, first 2 shown]
	v_pk_fma_f16 v72, v52, v49, v166
	v_pk_fma_f16 v162, v52, v64, v167
	;; [unrolled: 1-line block ×12, first 2 shown]
	v_and_b32_e32 v64, 0xffff, v6
	v_lshrrev_b32_e32 v6, 16, v6
	v_and_b32_e32 v66, 0xffff, v7
	v_pk_fma_f16 v166, v53, v65, v172
	v_lshrrev_b32_e32 v7, 16, v7
	v_pk_fma_f16 v48, v55, v65, v48
	v_mul_u32_u24_e32 v64, 0x10001, v64
	v_mul_u32_u24_e32 v6, 0x10001, v6
	;; [unrolled: 1-line block ×3, first 2 shown]
	v_pk_fma_f16 v53, v53, v71, v173
	v_mul_u32_u24_e32 v7, 0x10001, v7
	v_pk_fma_f16 v51, v55, v71, v51
	v_pk_fma_f16 v55, v56, v64, v72
	;; [unrolled: 1-line block ×7, first 2 shown]
	v_and_b32_e32 v54, 0xffff, v86
	v_pk_fma_f16 v52, v56, v7, v52
	v_pk_fma_f16 v56, v57, v64, v164
	;; [unrolled: 1-line block ×8, first 2 shown]
	v_lshrrev_b32_e32 v58, 16, v86
	v_and_b32_e32 v64, 0xffff, v87
	v_lshrrev_b32_e32 v86, 16, v87
	v_mul_u32_u24_e32 v54, 0x10001, v54
	v_pk_fma_f16 v48, v59, v65, v48
	v_mul_u32_u24_e32 v58, 0x10001, v58
	v_mul_u32_u24_e32 v64, 0x10001, v64
	;; [unrolled: 1-line block ×3, first 2 shown]
	v_pk_fma_f16 v7, v59, v7, v51
	v_pk_fma_f16 v51, v60, v54, v55
	;; [unrolled: 1-line block ×5, first 2 shown]
	v_and_b32_e32 v54, 0xffff, v88
	v_pk_fma_f16 v55, v60, v58, v66
	v_pk_fma_f16 v59, v60, v64, v71
	;; [unrolled: 1-line block ×8, first 2 shown]
	v_lshrrev_b32_e32 v58, 16, v88
	v_mul_u32_u24_e32 v54, 0x10001, v54
	v_pk_fma_f16 v71, v62, v64, v164
	v_pk_fma_f16 v50, v62, v65, v50
	v_and_b32_e32 v62, 0xffff, v89
	v_mul_u32_u24_e32 v58, 0x10001, v58
	v_pk_fma_f16 v51, v78, v54, v51
	v_pk_fma_f16 v56, v79, v54, v56
	;; [unrolled: 1-line block ×4, first 2 shown]
	v_and_b32_e32 v54, 0xffff, v90
	v_pk_fma_f16 v55, v78, v58, v55
	v_pk_fma_f16 v60, v79, v58, v60
	;; [unrolled: 1-line block ×4, first 2 shown]
	v_lshrrev_b32_e32 v58, 16, v90
	v_mul_u32_u24_e32 v54, 0x10001, v54
	v_mul_u32_u24_e32 v62, 0x10001, v62
	v_lshrrev_b32_e32 v72, 16, v89
	v_pk_fma_f16 v48, v63, v64, v48
	v_mul_u32_u24_e32 v58, 0x10001, v58
	v_pk_fma_f16 v51, v82, v54, v51
	v_pk_fma_f16 v56, v83, v54, v56
	;; [unrolled: 1-line block ×4, first 2 shown]
	v_and_b32_e32 v54, 0xffff, v92
	v_pk_fma_f16 v55, v82, v58, v55
	v_pk_fma_f16 v60, v83, v58, v60
	;; [unrolled: 1-line block ×4, first 2 shown]
	v_lshrrev_b32_e32 v58, 16, v92
	v_mul_u32_u24_e32 v54, 0x10001, v54
	v_pk_fma_f16 v7, v63, v65, v7
	v_pk_fma_f16 v63, v79, v62, v66
	v_and_b32_e32 v66, 0xffff, v91
	v_mul_u32_u24_e32 v58, 0x10001, v58
	v_pk_fma_f16 v51, v94, v54, v51
	v_pk_fma_f16 v56, v95, v54, v56
	v_pk_fma_f16 v57, v96, v54, v57
	v_pk_fma_f16 v49, v97, v54, v49
	v_and_b32_e32 v54, 0xffff, v110
	v_pk_fma_f16 v55, v94, v58, v55
	v_pk_fma_f16 v60, v95, v58, v60
	;; [unrolled: 1-line block ×4, first 2 shown]
	v_lshrrev_b32_e32 v58, 16, v110
	v_mul_u32_u24_e32 v54, 0x10001, v54
	v_mul_u32_u24_e32 v64, 0x10001, v72
	v_pk_fma_f16 v59, v78, v62, v59
	v_pk_fma_f16 v65, v80, v62, v71
	v_mul_u32_u24_e32 v58, 0x10001, v58
	v_pk_fma_f16 v51, v98, v54, v51
	v_pk_fma_f16 v56, v99, v54, v56
	;; [unrolled: 1-line block ×4, first 2 shown]
	v_and_b32_e32 v54, 0xffff, v112
	v_pk_fma_f16 v55, v98, v58, v55
	v_pk_fma_f16 v60, v99, v58, v60
	;; [unrolled: 1-line block ×4, first 2 shown]
	v_lshrrev_b32_e32 v58, 16, v112
	v_mul_u32_u24_e32 v54, 0x10001, v54
	v_lshrrev_b32_e32 v71, 16, v91
	v_pk_fma_f16 v48, v81, v62, v48
	v_mul_u32_u24_e32 v62, 0x10001, v66
	v_mul_u32_u24_e32 v58, 0x10001, v58
	v_pk_fma_f16 v51, v102, v54, v51
	v_pk_fma_f16 v56, v103, v54, v56
	v_pk_fma_f16 v57, v104, v54, v57
	v_pk_fma_f16 v49, v105, v54, v49
	v_and_b32_e32 v54, 0xffff, v114
	v_pk_fma_f16 v52, v78, v64, v52
	v_pk_fma_f16 v53, v79, v64, v53
	;; [unrolled: 1-line block ×3, first 2 shown]
	v_mul_u32_u24_e32 v66, 0x10001, v71
	v_pk_fma_f16 v7, v81, v64, v7
	v_pk_fma_f16 v64, v84, v62, v65
	v_and_b32_e32 v65, 0xffff, v93
	v_lshrrev_b32_e32 v71, 16, v93
	v_pk_fma_f16 v55, v102, v58, v55
	v_pk_fma_f16 v60, v103, v58, v60
	;; [unrolled: 1-line block ×4, first 2 shown]
	v_lshrrev_b32_e32 v58, 16, v114
	v_mul_u32_u24_e32 v54, 0x10001, v54
	v_pk_fma_f16 v59, v82, v62, v59
	v_pk_fma_f16 v52, v82, v66, v52
	;; [unrolled: 1-line block ×6, first 2 shown]
	v_mul_u32_u24_e32 v62, 0x10001, v65
	v_mul_u32_u24_e32 v65, 0x10001, v71
	v_pk_fma_f16 v7, v85, v66, v7
	v_and_b32_e32 v66, 0xffff, v111
	v_lshrrev_b32_e32 v71, 16, v111
	v_mul_u32_u24_e32 v58, 0x10001, v58
	v_pk_fma_f16 v51, v106, v54, v51
	v_pk_fma_f16 v56, v107, v54, v56
	;; [unrolled: 1-line block ×4, first 2 shown]
	v_and_b32_e32 v54, 0xffff, v116
	v_pk_fma_f16 v59, v94, v62, v59
	v_pk_fma_f16 v52, v94, v65, v52
	;; [unrolled: 1-line block ×7, first 2 shown]
	v_mul_u32_u24_e32 v62, 0x10001, v66
	v_mul_u32_u24_e32 v66, 0x10001, v71
	v_pk_fma_f16 v7, v97, v65, v7
	v_and_b32_e32 v65, 0xffff, v113
	v_lshrrev_b32_e32 v71, 16, v113
	v_pk_fma_f16 v55, v106, v58, v55
	v_pk_fma_f16 v60, v107, v58, v60
	;; [unrolled: 1-line block ×4, first 2 shown]
	v_lshrrev_b32_e32 v58, 16, v116
	v_mul_u32_u24_e32 v54, 0x10001, v54
	v_pk_fma_f16 v59, v98, v62, v59
	v_pk_fma_f16 v52, v98, v66, v52
	;; [unrolled: 1-line block ×7, first 2 shown]
	v_mul_u32_u24_e32 v62, 0x10001, v65
	v_mul_u32_u24_e32 v65, 0x10001, v71
	v_pk_fma_f16 v7, v101, v66, v7
	v_and_b32_e32 v66, 0xffff, v115
	v_lshrrev_b32_e32 v71, 16, v115
	v_mul_u32_u24_e32 v58, 0x10001, v58
	v_pk_fma_f16 v51, v118, v54, v51
	v_pk_fma_f16 v56, v119, v54, v56
	;; [unrolled: 1-line block ×4, first 2 shown]
	v_and_b32_e32 v54, 0xffff, v134
	v_pk_fma_f16 v59, v102, v62, v59
	v_pk_fma_f16 v52, v102, v65, v52
	;; [unrolled: 1-line block ×7, first 2 shown]
	v_mul_u32_u24_e32 v62, 0x10001, v66
	v_mul_u32_u24_e32 v66, 0x10001, v71
	v_pk_fma_f16 v7, v105, v65, v7
	v_and_b32_e32 v65, 0xffff, v117
	v_lshrrev_b32_e32 v71, 16, v117
	v_pk_fma_f16 v55, v118, v58, v55
	v_pk_fma_f16 v60, v119, v58, v60
	;; [unrolled: 1-line block ×4, first 2 shown]
	v_lshrrev_b32_e32 v58, 16, v134
	v_mul_u32_u24_e32 v54, 0x10001, v54
	v_pk_fma_f16 v59, v106, v62, v59
	v_pk_fma_f16 v52, v106, v66, v52
	;; [unrolled: 1-line block ×7, first 2 shown]
	v_mul_u32_u24_e32 v62, 0x10001, v65
	v_mul_u32_u24_e32 v65, 0x10001, v71
	v_pk_fma_f16 v7, v109, v66, v7
	v_and_b32_e32 v66, 0xffff, v135
	v_lshrrev_b32_e32 v71, 16, v135
	v_mul_u32_u24_e32 v58, 0x10001, v58
	v_pk_fma_f16 v51, v122, v54, v51
	v_pk_fma_f16 v56, v123, v54, v56
	;; [unrolled: 1-line block ×4, first 2 shown]
	v_and_b32_e32 v54, 0xffff, v136
	v_pk_fma_f16 v59, v118, v62, v59
	v_pk_fma_f16 v52, v118, v65, v52
	;; [unrolled: 1-line block ×7, first 2 shown]
	v_mul_u32_u24_e32 v62, 0x10001, v66
	v_mul_u32_u24_e32 v66, 0x10001, v71
	v_pk_fma_f16 v7, v121, v65, v7
	v_pk_fma_f16 v55, v122, v58, v55
	;; [unrolled: 1-line block ×5, first 2 shown]
	v_lshrrev_b32_e32 v58, 16, v136
	v_and_b32_e32 v65, 0xffff, v137
	v_lshrrev_b32_e32 v71, 16, v137
	v_mul_u32_u24_e32 v54, 0x10001, v54
	v_pk_fma_f16 v59, v122, v62, v59
	v_pk_fma_f16 v52, v122, v66, v52
	;; [unrolled: 1-line block ×7, first 2 shown]
	v_mul_u32_u24_e32 v58, 0x10001, v58
	v_mul_u32_u24_e32 v62, 0x10001, v65
	;; [unrolled: 1-line block ×3, first 2 shown]
	v_pk_fma_f16 v7, v125, v66, v7
	v_pk_fma_f16 v51, v126, v54, v51
	;; [unrolled: 1-line block ×5, first 2 shown]
	v_and_b32_e32 v54, 0xffff, v138
	v_and_b32_e32 v66, 0xffff, v139
	v_lshrrev_b32_e32 v71, 16, v139
	v_pk_fma_f16 v55, v126, v58, v55
	v_pk_fma_f16 v59, v126, v62, v59
	;; [unrolled: 1-line block ×8, first 2 shown]
	v_lshrrev_b32_e32 v58, 16, v138
	v_pk_fma_f16 v48, v129, v62, v48
	v_mul_u32_u24_e32 v54, 0x10001, v54
	v_mul_u32_u24_e32 v62, 0x10001, v66
	;; [unrolled: 1-line block ×3, first 2 shown]
	v_pk_fma_f16 v52, v126, v65, v52
	v_pk_fma_f16 v53, v127, v65, v53
	v_mul_u32_u24_e32 v58, 0x10001, v58
	v_pk_fma_f16 v7, v129, v65, v7
	v_pk_fma_f16 v65, v130, v54, v51
	v_pk_fma_f16 v71, v132, v66, v50
	v_pk_fma_f16 v72, v133, v54, v49
	v_and_b32_e32 v49, 0xffff, v140
	v_lshrrev_b32_e32 v50, 16, v140
	v_and_b32_e32 v51, 0xffff, v141
	v_pk_fma_f16 v55, v130, v58, v55
	v_pk_fma_f16 v59, v130, v62, v59
	;; [unrolled: 1-line block ×10, first 2 shown]
	v_lshrrev_b32_e32 v54, 16, v141
	v_mul_u32_u24_e32 v62, 0x10001, v49
	v_mul_u32_u24_e32 v78, 0x10001, v50
	;; [unrolled: 1-line block ×3, first 2 shown]
	s_wait_dscnt 0x0
	s_barrier_signal -1
	s_barrier_wait -1
	global_inv scope:SCOPE_SE
	ds_load_b128 v[48:51], v38 offset:256
	v_pk_fma_f16 v52, v130, v66, v52
	v_pk_fma_f16 v53, v131, v66, v53
	v_mul_u32_u24_e32 v80, 0x10001, v54
	v_pk_fma_f16 v7, v133, v66, v7
	v_pk_fma_f16 v66, v142, v78, v55
	;; [unrolled: 1-line block ×6, first 2 shown]
	ds_load_2addr_b64 v[52:55], v29 offset1:32
	v_pk_fma_f16 v86, v143, v78, v60
	v_pk_fma_f16 v89, v144, v62, v57
	;; [unrolled: 1-line block ×4, first 2 shown]
	ds_load_b128 v[56:59], v38 offset:272
	v_pk_fma_f16 v65, v142, v62, v65
	v_pk_fma_f16 v87, v143, v79, v63
	;; [unrolled: 1-line block ×4, first 2 shown]
	s_wait_dscnt 0x2
	v_and_b32_e32 v60, 0xffff, v48
	v_lshrrev_b32_e32 v48, 16, v48
	v_and_b32_e32 v61, 0xffff, v49
	v_lshrrev_b32_e32 v49, 16, v49
	v_pk_fma_f16 v72, v145, v62, v72
	v_mul_u32_u24_e32 v92, 0x10001, v60
	v_mul_u32_u24_e32 v48, 0x10001, v48
	v_mul_u32_u24_e32 v93, 0x10001, v61
	v_mul_u32_u24_e32 v49, 0x10001, v49
	v_pk_fma_f16 v6, v145, v78, v6
	v_pk_fma_f16 v7, v145, v80, v7
	ds_load_b128 v[60:63], v38 offset:288
	ds_load_b128 v[78:81], v38 offset:304
	s_wait_dscnt 0x3
	v_pk_fma_f16 v65, v52, v92, v65
	v_pk_fma_f16 v66, v52, v48, v66
	;; [unrolled: 1-line block ×5, first 2 shown]
	ds_load_2addr_b64 v[82:85], v29 offset0:64 offset1:96
	v_pk_fma_f16 v86, v53, v48, v86
	v_pk_fma_f16 v87, v53, v93, v87
	;; [unrolled: 1-line block ×9, first 2 shown]
	v_and_b32_e32 v48, 0xffff, v50
	v_lshrrev_b32_e32 v50, 16, v50
	v_and_b32_e32 v72, 0xffff, v51
	v_lshrrev_b32_e32 v51, 16, v51
	v_pk_fma_f16 v90, v55, v93, v91
	v_mul_u32_u24_e32 v91, 0x10001, v48
	v_mul_u32_u24_e32 v92, 0x10001, v50
	v_pk_fma_f16 v7, v55, v49, v7
	v_mul_u32_u24_e32 v93, 0x10001, v51
	ds_load_2addr_b64 v[48:51], v29 offset0:128 offset1:160
	v_mul_u32_u24_e32 v72, 0x10001, v72
	s_wait_dscnt 0x1
	v_pk_fma_f16 v55, v82, v91, v65
	v_pk_fma_f16 v65, v82, v92, v66
	v_pk_fma_f16 v52, v82, v93, v52
	v_pk_fma_f16 v86, v83, v92, v86
	v_pk_fma_f16 v66, v82, v72, v94
	v_pk_fma_f16 v82, v83, v91, v95
	v_pk_fma_f16 v87, v83, v72, v87
	v_pk_fma_f16 v83, v83, v93, v53
	v_pk_fma_f16 v88, v84, v91, v88
	v_pk_fma_f16 v89, v84, v92, v89
	v_pk_fma_f16 v64, v84, v72, v64
	v_pk_fma_f16 v84, v84, v93, v54
	v_and_b32_e32 v53, 0xffff, v56
	v_lshrrev_b32_e32 v54, 16, v56
	v_and_b32_e32 v56, 0xffff, v57
	v_lshrrev_b32_e32 v57, 16, v57
	v_pk_fma_f16 v71, v85, v91, v71
	v_pk_fma_f16 v72, v85, v72, v90
	v_mul_u32_u24_e32 v90, 0x10001, v53
	v_mul_u32_u24_e32 v91, 0x10001, v54
	;; [unrolled: 1-line block ×4, first 2 shown]
	v_pk_fma_f16 v6, v85, v92, v6
	v_pk_fma_f16 v7, v85, v93, v7
	s_wait_dscnt 0x0
	v_pk_fma_f16 v85, v48, v90, v55
	v_pk_fma_f16 v65, v48, v91, v65
	;; [unrolled: 1-line block ×4, first 2 shown]
	ds_load_2addr_b64 v[52:55], v29 offset0:192 offset1:224
	v_pk_fma_f16 v82, v49, v90, v82
	v_pk_fma_f16 v86, v49, v91, v86
	;; [unrolled: 1-line block ×8, first 2 shown]
	v_and_b32_e32 v49, 0xffff, v58
	v_lshrrev_b32_e32 v50, 16, v58
	v_and_b32_e32 v58, 0xffff, v59
	v_lshrrev_b32_e32 v59, 16, v59
	v_pk_fma_f16 v71, v51, v90, v71
	v_pk_fma_f16 v56, v51, v56, v72
	v_mul_u32_u24_e32 v72, 0x10001, v49
	v_mul_u32_u24_e32 v90, 0x10001, v50
	;; [unrolled: 1-line block ×4, first 2 shown]
	v_pk_fma_f16 v6, v51, v91, v6
	v_pk_fma_f16 v7, v51, v57, v7
	s_wait_dscnt 0x0
	v_pk_fma_f16 v57, v52, v72, v85
	v_pk_fma_f16 v65, v52, v90, v65
	;; [unrolled: 1-line block ×4, first 2 shown]
	ds_load_2addr_b64 v[48:51], v47 offset1:32
	v_pk_fma_f16 v82, v53, v72, v82
	v_pk_fma_f16 v85, v53, v90, v86
	;; [unrolled: 1-line block ×8, first 2 shown]
	v_and_b32_e32 v53, 0xffff, v60
	v_lshrrev_b32_e32 v54, 16, v60
	v_and_b32_e32 v60, 0xffff, v61
	v_lshrrev_b32_e32 v61, 16, v61
	v_pk_fma_f16 v71, v55, v72, v71
	v_pk_fma_f16 v56, v55, v58, v56
	v_mul_u32_u24_e32 v58, 0x10001, v53
	v_mul_u32_u24_e32 v72, 0x10001, v54
	;; [unrolled: 1-line block ×4, first 2 shown]
	v_pk_fma_f16 v6, v55, v90, v6
	v_pk_fma_f16 v7, v55, v59, v7
	s_wait_dscnt 0x0
	v_pk_fma_f16 v57, v48, v58, v57
	v_pk_fma_f16 v59, v48, v72, v65
	;; [unrolled: 1-line block ×4, first 2 shown]
	ds_load_2addr_b64 v[52:55], v47 offset0:64 offset1:96
	v_pk_fma_f16 v66, v49, v58, v82
	v_pk_fma_f16 v82, v49, v72, v85
	;; [unrolled: 1-line block ×8, first 2 shown]
	v_and_b32_e32 v49, 0xffff, v62
	v_lshrrev_b32_e32 v50, 16, v62
	v_and_b32_e32 v62, 0xffff, v63
	v_lshrrev_b32_e32 v63, 16, v63
	v_pk_fma_f16 v58, v51, v58, v71
	v_pk_fma_f16 v56, v51, v60, v56
	v_mul_u32_u24_e32 v60, 0x10001, v49
	v_mul_u32_u24_e32 v71, 0x10001, v50
	;; [unrolled: 1-line block ×4, first 2 shown]
	v_pk_fma_f16 v6, v51, v72, v6
	v_pk_fma_f16 v7, v51, v61, v7
	s_wait_dscnt 0x0
	v_pk_fma_f16 v57, v52, v60, v57
	v_pk_fma_f16 v59, v52, v71, v59
	;; [unrolled: 1-line block ×4, first 2 shown]
	ds_load_2addr_b64 v[48:51], v47 offset0:128 offset1:160
	v_pk_fma_f16 v65, v53, v60, v66
	v_pk_fma_f16 v66, v53, v71, v82
	;; [unrolled: 1-line block ×5, first 2 shown]
	v_lshrrev_b32_e32 v71, 16, v79
	v_pk_fma_f16 v82, v53, v63, v83
	v_pk_fma_f16 v83, v54, v60, v86
	;; [unrolled: 1-line block ×5, first 2 shown]
	v_and_b32_e32 v53, 0xffff, v78
	v_lshrrev_b32_e32 v54, 16, v78
	v_and_b32_e32 v60, 0xffff, v79
	v_mul_u32_u24_e32 v71, 0x10001, v71
	v_pk_fma_f16 v56, v55, v62, v56
	v_mul_u32_u24_e32 v62, 0x10001, v53
	v_mul_u32_u24_e32 v78, 0x10001, v54
	v_mul_u32_u24_e32 v60, 0x10001, v60
	v_pk_fma_f16 v7, v55, v63, v7
	s_wait_dscnt 0x0
	v_pk_fma_f16 v63, v48, v71, v52
	ds_load_2addr_b64 v[52:55], v47 offset0:192 offset1:224
	v_pk_fma_f16 v57, v48, v62, v57
	v_pk_fma_f16 v59, v48, v78, v59
	v_pk_fma_f16 v61, v48, v60, v61
	v_and_b32_e32 v47, 0xffff, v80
	v_lshrrev_b32_e32 v48, 16, v80
	v_pk_fma_f16 v65, v49, v62, v65
	v_pk_fma_f16 v66, v49, v78, v66
	;; [unrolled: 1-line block ×9, first 2 shown]
	v_mul_u32_u24_e32 v78, 0x10001, v47
	v_mul_u32_u24_e32 v80, 0x10001, v48
	ds_load_b128 v[47:50], v38 offset:320
	v_pk_fma_f16 v62, v51, v62, v58
	v_pk_fma_f16 v60, v51, v60, v56
	v_and_b32_e32 v56, 0xffff, v81
	v_lshrrev_b32_e32 v58, 16, v81
	v_pk_fma_f16 v7, v51, v71, v7
	s_wait_dscnt 0x1
	v_pk_fma_f16 v71, v52, v78, v57
	v_pk_fma_f16 v86, v52, v80, v59
	v_mul_u32_u24_e32 v81, 0x10001, v56
	v_mul_u32_u24_e32 v85, 0x10001, v58
	ds_load_2addr_b64 v[56:59], v44 offset1:32
	v_pk_fma_f16 v65, v53, v78, v65
	v_pk_fma_f16 v66, v53, v80, v66
	v_pk_fma_f16 v61, v52, v81, v61
	v_pk_fma_f16 v63, v52, v85, v63
	v_pk_fma_f16 v72, v53, v81, v72
	v_pk_fma_f16 v79, v53, v85, v79
	v_pk_fma_f16 v82, v54, v78, v82
	v_pk_fma_f16 v83, v54, v80, v83
	v_pk_fma_f16 v64, v54, v81, v64
	v_pk_fma_f16 v84, v54, v85, v84
	v_pk_fma_f16 v78, v55, v78, v62
	v_pk_fma_f16 v6, v55, v80, v6
	ds_load_b128 v[51:54], v38 offset:336
	s_wait_dscnt 0x2
	v_and_b32_e32 v62, 0xffff, v47
	v_lshrrev_b32_e32 v47, 16, v47
	v_and_b32_e32 v80, 0xffff, v48
	v_lshrrev_b32_e32 v48, 16, v48
	v_pk_fma_f16 v81, v55, v81, v60
	v_mul_u32_u24_e32 v87, 0x10001, v62
	v_mul_u32_u24_e32 v47, 0x10001, v47
	;; [unrolled: 1-line block ×4, first 2 shown]
	v_pk_fma_f16 v7, v55, v85, v7
	s_wait_dscnt 0x1
	v_pk_fma_f16 v55, v56, v87, v71
	v_pk_fma_f16 v71, v56, v47, v86
	;; [unrolled: 1-line block ×4, first 2 shown]
	ds_load_2addr_b64 v[60:63], v44 offset0:64 offset1:96
	v_pk_fma_f16 v65, v57, v87, v65
	v_pk_fma_f16 v66, v57, v47, v66
	;; [unrolled: 1-line block ×7, first 2 shown]
	v_and_b32_e32 v47, 0xffff, v49
	v_lshrrev_b32_e32 v49, 16, v49
	v_and_b32_e32 v83, 0xffff, v50
	v_lshrrev_b32_e32 v50, 16, v50
	v_pk_fma_f16 v64, v58, v80, v64
	v_pk_fma_f16 v58, v58, v48, v84
	;; [unrolled: 1-line block ×3, first 2 shown]
	v_mul_u32_u24_e32 v81, 0x10001, v47
	v_mul_u32_u24_e32 v84, 0x10001, v49
	;; [unrolled: 1-line block ×3, first 2 shown]
	v_pk_fma_f16 v7, v59, v48, v7
	ds_load_2addr_b64 v[47:50], v44 offset0:128 offset1:160
	v_mul_u32_u24_e32 v83, 0x10001, v83
	v_pk_fma_f16 v78, v59, v87, v78
	s_wait_dscnt 0x1
	v_pk_fma_f16 v55, v60, v81, v55
	v_pk_fma_f16 v59, v60, v84, v71
	;; [unrolled: 1-line block ×12, first 2 shown]
	v_and_b32_e32 v57, 0xffff, v51
	v_lshrrev_b32_e32 v51, 16, v51
	v_and_b32_e32 v58, 0xffff, v52
	v_lshrrev_b32_e32 v52, 16, v52
	v_pk_fma_f16 v78, v63, v81, v78
	v_pk_fma_f16 v80, v63, v83, v80
	v_mul_u32_u24_e32 v81, 0x10001, v57
	v_mul_u32_u24_e32 v51, 0x10001, v51
	;; [unrolled: 1-line block ×4, first 2 shown]
	v_pk_fma_f16 v6, v63, v84, v6
	v_pk_fma_f16 v7, v63, v86, v7
	s_wait_dscnt 0x0
	v_pk_fma_f16 v63, v47, v81, v55
	v_pk_fma_f16 v59, v47, v51, v59
	;; [unrolled: 1-line block ×4, first 2 shown]
	ds_load_2addr_b64 v[55:58], v44 offset0:192 offset1:224
	v_pk_fma_f16 v60, v48, v81, v60
	v_pk_fma_f16 v65, v48, v51, v65
	;; [unrolled: 1-line block ×10, first 2 shown]
	v_and_b32_e32 v48, 0xffff, v53
	v_lshrrev_b32_e32 v49, 16, v53
	v_pk_fma_f16 v79, v50, v82, v80
	v_and_b32_e32 v80, 0xffff, v54
	v_lshrrev_b32_e32 v81, 16, v54
	ds_load_b128 v[51:54], v38 offset:352
	v_mul_u32_u24_e32 v82, 0x10001, v48
	v_mul_u32_u24_e32 v84, 0x10001, v49
	;; [unrolled: 1-line block ×4, first 2 shown]
	v_pk_fma_f16 v7, v50, v83, v7
	s_wait_dscnt 0x1
	v_pk_fma_f16 v63, v55, v82, v63
	v_pk_fma_f16 v83, v55, v84, v59
	;; [unrolled: 1-line block ×4, first 2 shown]
	ds_load_2addr_b64 v[47:50], v45 offset1:32
	v_pk_fma_f16 v85, v56, v82, v60
	v_pk_fma_f16 v65, v56, v84, v65
	;; [unrolled: 1-line block ×8, first 2 shown]
	ds_load_b128 v[59:62], v38 offset:368
	s_wait_dscnt 0x2
	v_and_b32_e32 v56, 0xffff, v51
	v_lshrrev_b32_e32 v51, 16, v51
	v_and_b32_e32 v57, 0xffff, v52
	v_lshrrev_b32_e32 v52, 16, v52
	v_pk_fma_f16 v78, v58, v82, v78
	v_pk_fma_f16 v79, v58, v80, v79
	v_mul_u32_u24_e32 v80, 0x10001, v56
	v_mul_u32_u24_e32 v51, 0x10001, v51
	;; [unrolled: 1-line block ×4, first 2 shown]
	v_pk_fma_f16 v6, v58, v84, v6
	v_pk_fma_f16 v7, v58, v81, v7
	s_wait_dscnt 0x1
	v_pk_fma_f16 v63, v47, v80, v63
	v_pk_fma_f16 v81, v47, v51, v83
	;; [unrolled: 1-line block ×4, first 2 shown]
	ds_load_2addr_b64 v[55:58], v45 offset0:64 offset1:96
	v_pk_fma_f16 v83, v48, v80, v85
	v_pk_fma_f16 v65, v48, v51, v65
	;; [unrolled: 1-line block ×9, first 2 shown]
	v_and_b32_e32 v48, 0xffff, v53
	v_lshrrev_b32_e32 v49, 16, v53
	v_and_b32_e32 v51, 0xffff, v54
	v_lshrrev_b32_e32 v53, 16, v54
	v_pk_fma_f16 v78, v50, v80, v78
	v_pk_fma_f16 v54, v50, v82, v79
	v_mul_u32_u24_e32 v79, 0x10001, v48
	v_mul_u32_u24_e32 v80, 0x10001, v49
	;; [unrolled: 1-line block ×4, first 2 shown]
	v_pk_fma_f16 v7, v50, v52, v7
	s_wait_dscnt 0x0
	v_pk_fma_f16 v52, v55, v79, v63
	v_pk_fma_f16 v63, v55, v80, v81
	;; [unrolled: 1-line block ×4, first 2 shown]
	ds_load_2addr_b64 v[47:50], v45 offset0:128 offset1:160
	v_pk_fma_f16 v81, v56, v79, v83
	v_pk_fma_f16 v66, v57, v79, v66
	;; [unrolled: 1-line block ×3, first 2 shown]
	v_and_b32_e32 v79, 0xffff, v59
	v_pk_fma_f16 v65, v56, v80, v65
	v_pk_fma_f16 v44, v56, v51, v44
	v_pk_fma_f16 v56, v56, v53, v84
	v_pk_fma_f16 v72, v57, v80, v72
	v_mul_u32_u24_e32 v79, 0x10001, v79
	v_pk_fma_f16 v64, v57, v51, v64
	v_pk_fma_f16 v57, v57, v53, v85
	;; [unrolled: 1-line block ×3, first 2 shown]
	v_lshrrev_b32_e32 v59, 16, v59
	v_and_b32_e32 v80, 0xffff, v60
	v_lshrrev_b32_e32 v60, 16, v60
	v_pk_fma_f16 v82, v58, v51, v54
	v_pk_fma_f16 v7, v58, v53, v7
	v_mul_u32_u24_e32 v59, 0x10001, v59
	v_mul_u32_u24_e32 v80, 0x10001, v80
	s_wait_dscnt 0x0
	v_pk_fma_f16 v83, v47, v79, v52
	ds_load_2addr_b64 v[51:54], v45 offset0:192 offset1:224
	v_mul_u32_u24_e32 v60, 0x10001, v60
	v_pk_fma_f16 v63, v47, v59, v63
	v_pk_fma_f16 v71, v47, v80, v71
	;; [unrolled: 1-line block ×12, first 2 shown]
	v_and_b32_e32 v48, 0xffff, v61
	v_lshrrev_b32_e32 v49, 16, v61
	v_and_b32_e32 v59, 0xffff, v62
	v_lshrrev_b32_e32 v61, 16, v62
	ds_load_b128 v[55:58], v38 offset:384
	v_pk_fma_f16 v78, v50, v79, v78
	v_pk_fma_f16 v79, v50, v80, v82
	v_mul_u32_u24_e32 v62, 0x10001, v48
	v_mul_u32_u24_e32 v80, 0x10001, v49
	;; [unrolled: 1-line block ×4, first 2 shown]
	v_pk_fma_f16 v7, v50, v60, v7
	s_wait_dscnt 0x1
	v_pk_fma_f16 v83, v51, v62, v83
	v_pk_fma_f16 v63, v51, v80, v63
	;; [unrolled: 1-line block ×4, first 2 shown]
	ds_load_2addr_b64 v[47:50], v46 offset1:32
	v_pk_fma_f16 v81, v52, v62, v81
	v_pk_fma_f16 v65, v52, v80, v65
	;; [unrolled: 1-line block ×9, first 2 shown]
	ds_load_b128 v[59:62], v38 offset:400
	s_wait_dscnt 0x2
	v_and_b32_e32 v52, 0xffff, v55
	v_lshrrev_b32_e32 v53, 16, v55
	v_and_b32_e32 v55, 0xffff, v56
	v_lshrrev_b32_e32 v56, 16, v56
	v_pk_fma_f16 v6, v54, v80, v6
	v_pk_fma_f16 v79, v54, v82, v79
	v_mul_u32_u24_e32 v80, 0x10001, v52
	v_mul_u32_u24_e32 v82, 0x10001, v53
	;; [unrolled: 1-line block ×4, first 2 shown]
	v_pk_fma_f16 v7, v54, v85, v7
	s_wait_dscnt 0x1
	v_pk_fma_f16 v83, v47, v80, v83
	v_pk_fma_f16 v63, v47, v82, v63
	;; [unrolled: 1-line block ×4, first 2 shown]
	ds_load_2addr_b64 v[51:54], v46 offset0:64 offset1:96
	v_pk_fma_f16 v81, v48, v80, v81
	v_pk_fma_f16 v65, v48, v82, v65
	;; [unrolled: 1-line block ×8, first 2 shown]
	v_and_b32_e32 v48, 0xffff, v57
	v_lshrrev_b32_e32 v49, 16, v57
	v_and_b32_e32 v57, 0xffff, v58
	v_lshrrev_b32_e32 v58, 16, v58
	v_pk_fma_f16 v78, v50, v80, v78
	v_pk_fma_f16 v55, v50, v55, v79
	v_mul_u32_u24_e32 v79, 0x10001, v48
	v_mul_u32_u24_e32 v80, 0x10001, v49
	v_mul_u32_u24_e32 v57, 0x10001, v57
	v_mul_u32_u24_e32 v58, 0x10001, v58
	v_pk_fma_f16 v6, v50, v82, v6
	v_pk_fma_f16 v7, v50, v56, v7
	s_wait_dscnt 0x0
	v_pk_fma_f16 v56, v51, v79, v83
	v_pk_fma_f16 v63, v51, v80, v63
	;; [unrolled: 1-line block ×4, first 2 shown]
	ds_load_2addr_b64 v[47:50], v46 offset0:128 offset1:160
	v_pk_fma_f16 v81, v52, v79, v81
	v_pk_fma_f16 v65, v52, v80, v65
	;; [unrolled: 1-line block ×4, first 2 shown]
	v_and_b32_e32 v44, 0xffff, v59
	v_lshrrev_b32_e32 v45, 16, v59
	v_and_b32_e32 v59, 0xffff, v60
	v_lshrrev_b32_e32 v60, 16, v60
	v_pk_fma_f16 v66, v53, v79, v66
	v_pk_fma_f16 v64, v53, v57, v64
	;; [unrolled: 1-line block ×4, first 2 shown]
	v_mul_u32_u24_e32 v57, 0x10001, v44
	v_mul_u32_u24_e32 v79, 0x10001, v45
	;; [unrolled: 1-line block ×4, first 2 shown]
	v_pk_fma_f16 v72, v53, v80, v72
	v_pk_fma_f16 v53, v53, v58, v84
	;; [unrolled: 1-line block ×3, first 2 shown]
	s_wait_dscnt 0x0
	v_pk_fma_f16 v56, v47, v57, v56
	v_pk_fma_f16 v58, v47, v79, v63
	;; [unrolled: 1-line block ×4, first 2 shown]
	ds_load_2addr_b64 v[44:47], v46 offset0:192 offset1:224
	v_pk_fma_f16 v6, v54, v80, v6
	v_pk_fma_f16 v80, v48, v57, v81
	;; [unrolled: 1-line block ×5, first 2 shown]
	v_and_b32_e32 v51, 0xffff, v61
	v_lshrrev_b32_e32 v52, 16, v61
	v_pk_fma_f16 v66, v49, v57, v66
	v_pk_fma_f16 v72, v49, v79, v72
	;; [unrolled: 1-line block ×6, first 2 shown]
	v_mul_u32_u24_e32 v59, 0x10001, v51
	v_mul_u32_u24_e32 v61, 0x10001, v52
	ds_load_b128 v[51:54], v38 offset:416
	v_pk_fma_f16 v78, v50, v57, v78
	v_and_b32_e32 v55, 0xffff, v62
	v_lshrrev_b32_e32 v57, 16, v62
	v_pk_fma_f16 v7, v50, v60, v7
	s_wait_dscnt 0x1
	v_pk_fma_f16 v50, v44, v59, v56
	v_pk_fma_f16 v84, v44, v61, v58
	v_mul_u32_u24_e32 v82, 0x10001, v55
	v_mul_u32_u24_e32 v83, 0x10001, v57
	ds_load_2addr_b64 v[55:58], v43 offset1:32
	v_pk_fma_f16 v65, v45, v61, v65
	v_pk_fma_f16 v66, v46, v59, v66
	;; [unrolled: 1-line block ×12, first 2 shown]
	ds_load_b128 v[59:62], v38 offset:432
	s_wait_dscnt 0x2
	v_and_b32_e32 v45, 0xffff, v51
	v_lshrrev_b32_e32 v46, 16, v51
	v_and_b32_e32 v51, 0xffff, v52
	v_lshrrev_b32_e32 v52, 16, v52
	v_pk_fma_f16 v79, v47, v82, v79
	v_mul_u32_u24_e32 v81, 0x10001, v45
	v_mul_u32_u24_e32 v82, 0x10001, v46
	;; [unrolled: 1-line block ×4, first 2 shown]
	v_pk_fma_f16 v7, v47, v83, v7
	s_wait_dscnt 0x1
	v_pk_fma_f16 v50, v55, v81, v50
	v_pk_fma_f16 v83, v55, v82, v84
	;; [unrolled: 1-line block ×4, first 2 shown]
	ds_load_2addr_b64 v[44:47], v43 offset0:64 offset1:96
	v_pk_fma_f16 v71, v56, v81, v71
	v_pk_fma_f16 v65, v56, v82, v65
	;; [unrolled: 1-line block ×4, first 2 shown]
	v_and_b32_e32 v48, 0xffff, v53
	v_pk_fma_f16 v66, v57, v81, v66
	v_pk_fma_f16 v72, v57, v82, v72
	;; [unrolled: 1-line block ×5, first 2 shown]
	v_lshrrev_b32_e32 v49, 16, v53
	v_mul_u32_u24_e32 v81, 0x10001, v48
	v_pk_fma_f16 v6, v58, v82, v6
	v_and_b32_e32 v53, 0xffff, v54
	v_lshrrev_b32_e32 v54, 16, v54
	v_pk_fma_f16 v79, v58, v51, v79
	v_mul_u32_u24_e32 v82, 0x10001, v49
	v_pk_fma_f16 v7, v58, v52, v7
	v_mul_u32_u24_e32 v53, 0x10001, v53
	s_wait_dscnt 0x0
	v_pk_fma_f16 v52, v44, v81, v50
	ds_load_2addr_b64 v[48:51], v43 offset0:128 offset1:160
	v_mul_u32_u24_e32 v54, 0x10001, v54
	v_pk_fma_f16 v58, v44, v82, v83
	v_pk_fma_f16 v63, v44, v53, v63
	;; [unrolled: 1-line block ×11, first 2 shown]
	v_and_b32_e32 v45, 0xffff, v59
	v_lshrrev_b32_e32 v46, 16, v59
	v_and_b32_e32 v59, 0xffff, v60
	v_lshrrev_b32_e32 v60, 16, v60
	v_pk_fma_f16 v53, v47, v53, v79
	v_mul_u32_u24_e32 v79, 0x10001, v45
	v_mul_u32_u24_e32 v80, 0x10001, v46
	;; [unrolled: 1-line block ×4, first 2 shown]
	v_pk_fma_f16 v7, v47, v54, v7
	v_pk_fma_f16 v78, v47, v81, v78
	s_wait_dscnt 0x0
	v_pk_fma_f16 v54, v48, v80, v58
	v_pk_fma_f16 v58, v48, v59, v63
	;; [unrolled: 1-line block ×3, first 2 shown]
	ds_load_2addr_b64 v[43:46], v43 offset0:192 offset1:224
	v_pk_fma_f16 v6, v47, v82, v6
	v_pk_fma_f16 v52, v48, v79, v52
	v_and_b32_e32 v47, 0xffff, v61
	v_lshrrev_b32_e32 v48, 16, v61
	v_pk_fma_f16 v55, v49, v79, v55
	v_pk_fma_f16 v65, v49, v80, v65
	;; [unrolled: 1-line block ×10, first 2 shown]
	v_and_b32_e32 v53, 0xffff, v62
	v_lshrrev_b32_e32 v61, 16, v62
	v_mul_u32_u24_e32 v62, 0x10001, v47
	v_mul_u32_u24_e32 v79, 0x10001, v48
	ds_load_b128 v[47:50], v38 offset:448
	v_pk_fma_f16 v6, v51, v80, v6
	v_mul_u32_u24_e32 v80, 0x10001, v53
	v_pk_fma_f16 v7, v51, v60, v7
	s_wait_dscnt 0x1
	v_pk_fma_f16 v60, v43, v62, v52
	v_pk_fma_f16 v81, v43, v79, v54
	ds_load_2addr_b64 v[51:54], v5 offset1:32
	v_mul_u32_u24_e32 v61, 0x10001, v61
	v_pk_fma_f16 v82, v43, v80, v58
	v_pk_fma_f16 v65, v44, v79, v65
	;; [unrolled: 1-line block ×10, first 2 shown]
	ds_load_b128 v[55:58], v38 offset:464
	v_pk_fma_f16 v62, v46, v62, v78
	s_wait_dscnt 0x2
	v_and_b32_e32 v44, 0xffff, v47
	v_lshrrev_b32_e32 v45, 16, v47
	v_and_b32_e32 v47, 0xffff, v48
	v_lshrrev_b32_e32 v48, 16, v48
	v_pk_fma_f16 v6, v46, v79, v6
	v_mul_u32_u24_e32 v78, 0x10001, v44
	v_mul_u32_u24_e32 v79, 0x10001, v45
	;; [unrolled: 1-line block ×4, first 2 shown]
	v_pk_fma_f16 v59, v46, v80, v59
	v_pk_fma_f16 v7, v46, v61, v7
	s_wait_dscnt 0x1
	v_pk_fma_f16 v60, v51, v78, v60
	v_pk_fma_f16 v61, v51, v79, v81
	;; [unrolled: 1-line block ×4, first 2 shown]
	ds_load_2addr_b64 v[43:46], v5 offset0:64 offset1:96
	v_pk_fma_f16 v63, v52, v78, v63
	v_pk_fma_f16 v65, v52, v79, v65
	;; [unrolled: 1-line block ×6, first 2 shown]
	v_and_b32_e32 v78, 0xffff, v49
	v_lshrrev_b32_e32 v49, 16, v49
	v_and_b32_e32 v79, 0xffff, v50
	v_lshrrev_b32_e32 v50, 16, v50
	v_pk_fma_f16 v71, v52, v47, v71
	v_pk_fma_f16 v52, v52, v48, v83
	;; [unrolled: 1-line block ×5, first 2 shown]
	v_mul_u32_u24_e32 v81, 0x10001, v49
	v_mul_u32_u24_e32 v82, 0x10001, v50
	v_pk_fma_f16 v7, v54, v48, v7
	ds_load_2addr_b64 v[47:50], v5 offset0:128 offset1:160
	v_mul_u32_u24_e32 v78, 0x10001, v78
	v_mul_u32_u24_e32 v79, 0x10001, v79
	s_wait_dscnt 0x1
	v_pk_fma_f16 v52, v44, v82, v52
	v_pk_fma_f16 v53, v45, v82, v53
	;; [unrolled: 1-line block ×13, first 2 shown]
	v_and_b32_e32 v44, 0xffff, v55
	v_lshrrev_b32_e32 v45, 16, v55
	v_and_b32_e32 v55, 0xffff, v56
	v_lshrrev_b32_e32 v56, 16, v56
	v_pk_fma_f16 v62, v46, v78, v62
	v_mul_u32_u24_e32 v72, 0x10001, v44
	v_mul_u32_u24_e32 v78, 0x10001, v45
	;; [unrolled: 1-line block ×4, first 2 shown]
	v_pk_fma_f16 v59, v46, v79, v59
	v_pk_fma_f16 v7, v46, v82, v7
	s_wait_dscnt 0x0
	v_pk_fma_f16 v79, v47, v72, v54
	v_pk_fma_f16 v60, v47, v78, v60
	;; [unrolled: 1-line block ×4, first 2 shown]
	ds_load_2addr_b64 v[43:46], v5 offset0:192 offset1:224
	v_pk_fma_f16 v80, v48, v72, v51
	v_pk_fma_f16 v63, v48, v78, v63
	;; [unrolled: 1-line block ×8, first 2 shown]
	v_and_b32_e32 v48, 0xffff, v57
	v_lshrrev_b32_e32 v49, 16, v57
	v_pk_fma_f16 v59, v50, v55, v59
	v_and_b32_e32 v55, 0xffff, v58
	v_lshrrev_b32_e32 v57, 16, v58
	ds_load_b128 v[51:54], v38 offset:480
	v_pk_fma_f16 v62, v50, v72, v62
	v_pk_fma_f16 v6, v50, v78, v6
	v_mul_u32_u24_e32 v58, 0x10001, v48
	v_mul_u32_u24_e32 v72, 0x10001, v49
	;; [unrolled: 1-line block ×4, first 2 shown]
	v_pk_fma_f16 v7, v50, v56, v7
	s_wait_dscnt 0x1
	v_pk_fma_f16 v79, v43, v58, v79
	v_pk_fma_f16 v60, v43, v72, v60
	v_pk_fma_f16 v61, v43, v78, v61
	v_pk_fma_f16 v43, v43, v82, v47
	ds_load_2addr_b64 v[47:50], v4 offset1:32
	v_pk_fma_f16 v80, v44, v58, v80
	v_pk_fma_f16 v63, v44, v72, v63
	;; [unrolled: 1-line block ×9, first 2 shown]
	ds_load_b128 v[55:58], v38 offset:496
	s_wait_dscnt 0x2
	v_and_b32_e32 v44, 0xffff, v51
	v_lshrrev_b32_e32 v45, 16, v51
	v_and_b32_e32 v51, 0xffff, v52
	v_lshrrev_b32_e32 v52, 16, v52
	v_pk_fma_f16 v6, v46, v72, v6
	v_pk_fma_f16 v59, v46, v78, v59
	v_mul_u32_u24_e32 v72, 0x10001, v44
	v_mul_u32_u24_e32 v78, 0x10001, v45
	;; [unrolled: 1-line block ×4, first 2 shown]
	v_pk_fma_f16 v7, v46, v82, v7
	s_wait_dscnt 0x1
	v_pk_fma_f16 v79, v47, v72, v79
	v_pk_fma_f16 v60, v47, v78, v60
	;; [unrolled: 1-line block ×4, first 2 shown]
	ds_load_2addr_b64 v[43:46], v4 offset0:64 offset1:96
	v_pk_fma_f16 v80, v48, v72, v80
	v_pk_fma_f16 v63, v48, v78, v63
	;; [unrolled: 1-line block ×8, first 2 shown]
	v_and_b32_e32 v48, 0xffff, v53
	v_lshrrev_b32_e32 v49, 16, v53
	v_and_b32_e32 v53, 0xffff, v54
	v_lshrrev_b32_e32 v54, 16, v54
	v_pk_fma_f16 v62, v50, v72, v62
	v_pk_fma_f16 v51, v50, v51, v59
	v_mul_u32_u24_e32 v59, 0x10001, v48
	v_mul_u32_u24_e32 v72, 0x10001, v49
	;; [unrolled: 1-line block ×4, first 2 shown]
	v_pk_fma_f16 v6, v50, v78, v6
	v_pk_fma_f16 v7, v50, v52, v7
	s_wait_dscnt 0x0
	v_pk_fma_f16 v52, v43, v59, v79
	v_pk_fma_f16 v60, v43, v72, v60
	;; [unrolled: 1-line block ×4, first 2 shown]
	ds_load_2addr_b64 v[47:50], v4 offset0:128 offset1:160
	v_pk_fma_f16 v78, v44, v59, v80
	v_pk_fma_f16 v63, v44, v72, v63
	;; [unrolled: 1-line block ×8, first 2 shown]
	v_and_b32_e32 v6, 0xffff, v55
	v_lshrrev_b32_e32 v55, 16, v55
	v_and_b32_e32 v71, 0xffff, v56
	v_lshrrev_b32_e32 v56, 16, v56
	v_pk_fma_f16 v64, v45, v53, v64
	v_pk_fma_f16 v45, v45, v54, v81
	v_mul_u32_u24_e32 v55, 0x10001, v55
	v_mul_u32_u24_e32 v71, 0x10001, v71
	v_pk_fma_f16 v51, v46, v53, v51
	v_mul_u32_u24_e32 v53, 0x10001, v6
	v_pk_fma_f16 v46, v46, v54, v7
	s_wait_dscnt 0x0
	v_pk_fma_f16 v54, v47, v55, v60
	v_pk_fma_f16 v60, v47, v71, v61
	;; [unrolled: 1-line block ×4, first 2 shown]
	ds_load_2addr_b64 v[4:7], v4 offset0:192 offset1:224
	s_wait_loadcnt_dscnt 0x0
	s_barrier_signal -1
	s_barrier_wait -1
	global_inv scope:SCOPE_SE
	s_load_b32 s11, s[24:25], 0x4
	v_mul_u32_u24_e32 v56, 0x10001, v56
	v_pk_fma_f16 v52, v47, v53, v52
	v_pk_fma_f16 v65, v49, v53, v65
	;; [unrolled: 1-line block ×5, first 2 shown]
	v_and_b32_e32 v44, 0xffff, v57
	v_pk_fma_f16 v43, v47, v56, v43
	v_pk_fma_f16 v47, v48, v53, v78
	;; [unrolled: 1-line block ×3, first 2 shown]
	v_lshrrev_b32_e32 v48, 16, v57
	v_lshrrev_b32_e32 v49, 16, v58
	v_mul_u32_u24_e32 v57, 0x10001, v44
	v_and_b32_e32 v44, 0xffff, v58
	v_pk_fma_f16 v59, v50, v53, v59
	v_pk_fma_f16 v62, v50, v55, v62
	;; [unrolled: 1-line block ×3, first 2 shown]
	v_mul_u32_u24_e32 v78, 0x10001, v48
	v_mul_u32_u24_e32 v79, 0x10001, v44
	;; [unrolled: 1-line block ×3, first 2 shown]
	v_pk_fma_f16 v81, v50, v56, v46
	s_wait_kmcnt 0x0
	s_lshl_b32 s11, s11, 6
	v_pk_fma_f16 v52, v4, v57, v52
	v_pk_fma_f16 v48, v4, v78, v54
	;; [unrolled: 1-line block ×16, first 2 shown]
	s_wait_alu 0xfffe
	s_add_co_i32 s10, s11, s10
	s_wait_alu 0xfffe
	s_cmp_ge_i32 s10, s30
	s_cbranch_scc1 .LBB61_43
; %bb.42:                               ;   in Loop: Header=BB61_9 Depth=1
	v_dual_mov_b32 v64, v0 :: v_dual_mov_b32 v65, v2
	v_dual_mov_b32 v66, v1 :: v_dual_mov_b32 v63, v3
	;; [unrolled: 1-line block ×4, first 2 shown]
	s_branch .LBB61_9
.LBB61_43:
	v_mov_b32_e32 v4, v30
.LBB61_44:
	v_cmp_lt_i32_e32 vcc_lo, v77, v31
	s_cmp_lg_u64 s[12:13], 0
	s_cselect_b32 s3, -1, 0
	s_cmp_eq_u32 s4, 0
	s_wait_alu 0xfffd
	v_cndmask_b32_e32 v5, v4, v77, vcc_lo
	v_cmp_lt_i32_e32 vcc_lo, v76, v31
	s_cselect_b32 s5, -1, 0
	s_wait_alu 0xfffe
	s_and_b32 s3, s5, s3
	v_lshlrev_b32_e32 v5, 2, v5
	ds_bpermute_b32 v8, v5, v69
	s_wait_dscnt 0x0
	v_add_f32_e32 v8, v69, v8
	ds_bpermute_b32 v6, v5, v67
	ds_bpermute_b32 v7, v5, v68
	;; [unrolled: 1-line block ×3, first 2 shown]
	s_wait_dscnt 0x2
	s_wait_alu 0xfffd
	v_dual_add_f32 v6, v67, v6 :: v_dual_cndmask_b32 v9, v4, v76
	v_cmp_lt_i32_e32 vcc_lo, v75, v31
	s_delay_alu instid0(VALU_DEP_2)
	v_lshlrev_b32_e32 v9, 2, v9
	s_wait_alu 0xfffd
	v_cndmask_b32_e32 v15, v4, v75, vcc_lo
	v_cmp_lt_i32_e32 vcc_lo, v74, v31
	ds_bpermute_b32 v14, v9, v8
	s_wait_dscnt 0x0
	v_dual_add_f32 v8, v8, v14 :: v_dual_lshlrev_b32 v15, 2, v15
	ds_bpermute_b32 v10, v9, v6
	v_add_f32_e32 v5, v70, v5
	s_wait_dscnt 0x0
	v_dual_add_f32 v6, v6, v10 :: v_dual_add_f32 v7, v68, v7
	ds_bpermute_b32 v11, v9, v7
	ds_bpermute_b32 v9, v9, v5
	s_wait_dscnt 0x0
	v_add_f32_e32 v5, v5, v9
	ds_bpermute_b32 v9, v15, v6
	ds_bpermute_b32 v14, v15, v5
	s_wait_dscnt 0x1
	v_dual_add_f32 v6, v6, v9 :: v_dual_add_f32 v7, v7, v11
	ds_bpermute_b32 v11, v15, v8
	ds_bpermute_b32 v10, v15, v7
	s_wait_alu 0xfffd
	v_cndmask_b32_e32 v15, v4, v74, vcc_lo
	v_cmp_lt_i32_e32 vcc_lo, v73, v31
	s_wait_alu 0xfffd
	s_delay_alu instid0(VALU_DEP_2)
	v_dual_cndmask_b32 v4, v4, v73 :: v_dual_lshlrev_b32 v15, 2, v15
	s_wait_alu 0xfffe
	s_and_b32 vcc_lo, exec_lo, s3
	ds_bpermute_b32 v9, v15, v6
	v_lshlrev_b32_e32 v4, 2, v4
	s_wait_dscnt 0x2
	v_add_f32_e32 v8, v8, v11
	ds_bpermute_b32 v11, v15, v8
	s_wait_dscnt 0x1
	v_add_f32_e32 v6, v6, v9
	s_wait_dscnt 0x0
	v_dual_add_f32 v8, v8, v11 :: v_dual_add_f32 v5, v5, v14
	ds_bpermute_b32 v11, v4, v8
	v_add_f32_e32 v7, v7, v10
	ds_bpermute_b32 v14, v15, v5
	ds_bpermute_b32 v10, v15, v7
	s_wait_dscnt 0x1
	v_add_f32_e32 v9, v5, v14
	ds_bpermute_b32 v5, v4, v6
	s_wait_dscnt 0x1
	v_add_f32_e32 v7, v7, v10
	ds_bpermute_b32 v14, v4, v9
	ds_bpermute_b32 v10, v4, v7
	s_wait_dscnt 0x2
	v_add_f32_e32 v4, v6, v5
	s_wait_dscnt 0x0
	v_dual_add_f32 v6, v8, v11 :: v_dual_add_f32 v5, v7, v10
	v_add_f32_e32 v7, v9, v14
	s_wait_alu 0xfffe
	s_cbranch_vccz .LBB61_47
; %bb.45:
	s_ashr_i32 s29, s28, 31
	v_dual_mov_b32 v8, 0 :: v_dual_max_num_f32 v15, v1, v1
	s_lshl_b64 s[6:7], s[28:29], 2
	s_delay_alu instid0(SALU_CYCLE_1)
	s_add_nc_u64 s[6:7], s[12:13], s[6:7]
	global_load_b128 v[8:11], v8, s[6:7]
	v_max_num_f32_e32 v14, v0, v0
	s_wait_loadcnt 0x0
	v_dual_max_num_f32 v16, v2, v2 :: v_dual_max_num_f32 v17, v8, v8
	v_dual_max_num_f32 v19, v9, v9 :: v_dual_max_num_f32 v20, v10, v10
	s_delay_alu instid0(VALU_DEP_2) | instskip(NEXT) | instid1(VALU_DEP_2)
	v_dual_max_num_f32 v21, v11, v11 :: v_dual_max_num_f32 v14, v14, v17
	v_dual_max_num_f32 v15, v15, v19 :: v_dual_max_num_f32 v16, v16, v20
	v_max_num_f32_e32 v18, v3, v3
	s_delay_alu instid0(VALU_DEP_2) | instskip(SKIP_1) | instid1(VALU_DEP_3)
	v_dual_sub_f32 v8, v8, v14 :: v_dual_sub_f32 v9, v9, v15
	v_sub_f32_e32 v19, v1, v15
	v_dual_max_num_f32 v17, v18, v21 :: v_dual_sub_f32 v18, v0, v14
	v_sub_f32_e32 v20, v2, v16
	s_delay_alu instid0(VALU_DEP_2) | instskip(SKIP_3) | instid1(VALU_DEP_4)
	v_dual_sub_f32 v10, v10, v16 :: v_dual_sub_f32 v11, v11, v17
	v_dual_sub_f32 v21, v3, v17 :: v_dual_mov_b32 v0, v14
	v_dual_mov_b32 v1, v15 :: v_dual_mov_b32 v2, v16
	v_dual_mov_b32 v3, v17 :: v_dual_mul_f32 v16, 0x3fb8aa3b, v19
	v_mul_f32_e32 v23, 0x3fb8aa3b, v10
	v_dual_mul_f32 v14, 0x3fb8aa3b, v18 :: v_dual_mul_f32 v17, 0x3fb8aa3b, v9
	v_mul_f32_e32 v15, 0x3fb8aa3b, v8
	s_delay_alu instid0(VALU_DEP_4) | instskip(SKIP_3) | instid1(VALU_DEP_3)
	v_fma_f32 v31, 0x3fb8aa3b, v19, -v16
	v_rndne_f32_e32 v32, v16
	v_dual_mul_f32 v22, 0x3fb8aa3b, v20 :: v_dual_mul_f32 v25, 0x3fb8aa3b, v11
	v_rndne_f32_e32 v38, v23
	v_dual_fmac_f32 v31, 0x32a5705f, v19 :: v_dual_sub_f32 v16, v16, v32
	v_fma_f32 v26, 0x3fb8aa3b, v18, -v14
	v_rndne_f32_e32 v27, v14
	v_fma_f32 v29, 0x3fb8aa3b, v8, -v15
	v_rndne_f32_e32 v30, v15
	v_mul_f32_e32 v24, 0x3fb8aa3b, v21
	v_fma_f32 v33, 0x3fb8aa3b, v9, -v17
	v_rndne_f32_e32 v34, v17
	v_fma_f32 v35, 0x3fb8aa3b, v20, -v22
	v_rndne_f32_e32 v36, v22
	v_fma_f32 v37, 0x3fb8aa3b, v10, -v23
	v_dual_sub_f32 v23, v23, v38 :: v_dual_add_f32 v16, v16, v31
	v_dual_fmac_f32 v26, 0x32a5705f, v18 :: v_dual_fmac_f32 v29, 0x32a5705f, v8
	v_dual_sub_f32 v14, v14, v27 :: v_dual_fmac_f32 v33, 0x32a5705f, v9
	v_sub_f32_e32 v15, v15, v30
	v_fma_f32 v39, 0x3fb8aa3b, v21, -v24
	v_dual_sub_f32 v17, v17, v34 :: v_dual_sub_f32 v22, v22, v36
	s_delay_alu instid0(VALU_DEP_4) | instskip(SKIP_3) | instid1(VALU_DEP_3)
	v_dual_fmac_f32 v35, 0x32a5705f, v20 :: v_dual_add_f32 v14, v14, v26
	v_exp_f32_e32 v16, v16
	v_rndne_f32_e32 v40, v24
	v_cvt_i32_f32_e32 v32, v32
	v_dual_fmac_f32 v39, 0x32a5705f, v21 :: v_dual_add_f32 v22, v22, v35
	v_rndne_f32_e32 v42, v25
	s_delay_alu instid0(VALU_DEP_4) | instskip(SKIP_1) | instid1(VALU_DEP_3)
	v_dual_fmac_f32 v37, 0x32a5705f, v10 :: v_dual_sub_f32 v24, v24, v40
	v_exp_f32_e32 v14, v14
	v_exp_f32_e32 v22, v22
	s_delay_alu instid0(TRANS32_DEP_3)
	v_ldexp_f32 v16, v16, v32
	v_add_f32_e32 v15, v15, v29
	v_fma_f32 v41, 0x3fb8aa3b, v11, -v25
	v_cvt_i32_f32_e32 v27, v27
	v_cvt_i32_f32_e32 v36, v36
	v_dual_sub_f32 v25, v25, v42 :: v_dual_add_f32 v24, v24, v39
	v_exp_f32_e32 v15, v15
	v_cvt_i32_f32_e32 v30, v30
	v_ldexp_f32 v14, v14, v27
	v_ldexp_f32 v22, v22, v36
	v_add_f32_e32 v17, v17, v33
	v_exp_f32_e32 v24, v24
	v_cmp_ngt_f32_e32 vcc_lo, 0xc2ce8ed0, v18
	v_fmac_f32_e32 v41, 0x32a5705f, v11
	v_cvt_i32_f32_e32 v26, v40
	v_exp_f32_e32 v17, v17
	v_ldexp_f32 v15, v15, v30
	s_wait_alu 0xfffd
	v_cndmask_b32_e32 v14, 0, v14, vcc_lo
	v_cmp_ngt_f32_e32 vcc_lo, 0xc2ce8ed0, v8
	v_cvt_i32_f32_e32 v34, v34
	v_cvt_i32_f32_e32 v38, v38
	v_ldexp_f32 v24, v24, v26
	v_add_f32_e32 v23, v23, v37
	s_wait_alu 0xfffd
	v_cndmask_b32_e32 v15, 0, v15, vcc_lo
	v_cmp_ngt_f32_e32 vcc_lo, 0xc2ce8ed0, v19
	v_ldexp_f32 v17, v17, v34
	v_add_f32_e32 v25, v25, v41
	v_exp_f32_e32 v23, v23
	v_cvt_i32_f32_e32 v29, v42
	s_wait_alu 0xfffd
	v_cndmask_b32_e32 v16, 0, v16, vcc_lo
	v_cmp_ngt_f32_e32 vcc_lo, 0xc2ce8ed0, v9
	v_exp_f32_e32 v25, v25
	s_wait_alu 0xfffd
	v_cndmask_b32_e32 v17, 0, v17, vcc_lo
	v_cmp_ngt_f32_e32 vcc_lo, 0xc2ce8ed0, v20
	s_delay_alu instid0(TRANS32_DEP_2) | instskip(SKIP_3) | instid1(TRANS32_DEP_1)
	v_ldexp_f32 v23, v23, v38
	s_wait_alu 0xfffd
	v_cndmask_b32_e32 v22, 0, v22, vcc_lo
	v_cmp_ngt_f32_e32 vcc_lo, 0xc2ce8ed0, v10
	v_ldexp_f32 v25, v25, v29
	s_wait_alu 0xfffd
	v_cndmask_b32_e32 v23, 0, v23, vcc_lo
	v_cmp_ngt_f32_e32 vcc_lo, 0xc2ce8ed0, v21
	s_wait_alu 0xfffd
	v_cndmask_b32_e32 v24, 0, v24, vcc_lo
	v_cmp_ngt_f32_e32 vcc_lo, 0xc2ce8ed0, v11
	s_wait_alu 0xfffd
	v_cndmask_b32_e32 v25, 0, v25, vcc_lo
	v_cmp_nlt_f32_e32 vcc_lo, 0x42b17218, v18
	s_wait_alu 0xfffd
	v_cndmask_b32_e32 v14, 0x7f800000, v14, vcc_lo
	v_cmp_nlt_f32_e32 vcc_lo, 0x42b17218, v8
	;; [unrolled: 3-line block ×3, first 2 shown]
	s_wait_alu 0xfffd
	s_delay_alu instid0(VALU_DEP_2)
	v_dual_fmac_f32 v8, v4, v14 :: v_dual_cndmask_b32 v15, 0x7f800000, v16
	v_cmp_nlt_f32_e32 vcc_lo, 0x42b17218, v9
	v_cvt_f16_f32_e32 v4, v14
	s_wait_alu 0xfffd
	v_cndmask_b32_e32 v9, 0x7f800000, v17, vcc_lo
	v_cmp_nlt_f32_e32 vcc_lo, 0x42b17218, v20
	s_wait_alu 0xfffd
	v_cndmask_b32_e32 v16, 0x7f800000, v22, vcc_lo
	v_cmp_nlt_f32_e32 vcc_lo, 0x42b17218, v10
	s_wait_alu 0xfffd
	v_cndmask_b32_e32 v10, 0x7f800000, v23, vcc_lo
	v_cmp_nlt_f32_e32 vcc_lo, 0x42b17218, v21
	s_delay_alu instid0(VALU_DEP_2) | instskip(SKIP_4) | instid1(VALU_DEP_3)
	v_fmac_f32_e32 v10, v6, v16
	s_wait_alu 0xfffd
	v_cndmask_b32_e32 v17, 0x7f800000, v24, vcc_lo
	v_cmp_nlt_f32_e32 vcc_lo, 0x42b17218, v11
	v_cvt_f16_f32_e32 v6, v16
	v_cvt_f16_f32_e32 v14, v17
	s_delay_alu instid0(VALU_DEP_2) | instskip(SKIP_1) | instid1(VALU_DEP_3)
	v_and_b32_e32 v16, 0xffff, v6
	v_mov_b32_e32 v6, v10
	v_and_b32_e32 v14, 0xffff, v14
	s_wait_alu 0xfffd
	v_cndmask_b32_e32 v11, 0x7f800000, v25, vcc_lo
	v_mul_u32_u24_e32 v16, 0x10001, v16
	s_delay_alu instid0(VALU_DEP_3) | instskip(NEXT) | instid1(VALU_DEP_3)
	v_mul_u32_u24_e32 v14, 0x10001, v14
	v_fmac_f32_e32 v11, v7, v17
	v_dual_mov_b32 v4, v8 :: v_dual_and_b32 v7, 0xffff, v4
	v_fmac_f32_e32 v9, v5, v15
	v_cvt_f16_f32_e32 v5, v15
	v_pk_mul_f16 v44, v44, v16
	s_delay_alu instid0(VALU_DEP_4)
	v_mul_u32_u24_e32 v7, 0x10001, v7
	v_pk_mul_f16 v51, v51, v16
	v_pk_mul_f16 v49, v49, v16
	v_and_b32_e32 v15, 0xffff, v5
	v_mov_b32_e32 v5, v9
	v_pk_mul_f16 v52, v52, v7
	v_pk_mul_f16 v58, v58, v7
	;; [unrolled: 1-line block ×3, first 2 shown]
	v_mul_u32_u24_e32 v15, 0x10001, v15
	v_pk_mul_f16 v57, v57, v7
	v_pk_mul_f16 v50, v50, v16
	;; [unrolled: 1-line block ×10, first 2 shown]
	v_mov_b32_e32 v7, v11
	s_mov_b32 s3, exec_lo
	v_cmpx_gt_i32_e64 s22, v12
	s_cbranch_execnz .LBB61_48
.LBB61_46:
	s_nop 0
	s_sendmsg sendmsg(MSG_DEALLOC_VGPRS)
	s_endpgm
.LBB61_47:
	s_delay_alu instid0(VALU_DEP_1)
	v_dual_mov_b32 v11, v7 :: v_dual_mov_b32 v10, v6
	v_dual_mov_b32 v9, v5 :: v_dual_mov_b32 v8, v4
	s_mov_b32 s3, exec_lo
	v_cmpx_gt_i32_e64 s22, v12
	s_cbranch_execz .LBB61_46
.LBB61_48:
	s_load_b32 s1, s[0:1], 0xd4
	v_mov_b32_e32 v14, 1.0
	s_wait_kmcnt 0x0
	s_cmp_lg_u32 s1, 1
	s_cselect_b32 s5, -1, 0
	s_cmp_eq_u32 s1, 1
	s_cselect_b32 s3, -1, 0
	s_wait_alu 0xfffe
	s_and_b32 vcc_lo, exec_lo, s5
	s_wait_alu 0xfffe
	s_cbranch_vccnz .LBB61_50
; %bb.49:
	v_div_scale_f32 v14, null, v4, v4, 1.0
	s_delay_alu instid0(VALU_DEP_1) | instskip(NEXT) | instid1(TRANS32_DEP_1)
	v_rcp_f32_e32 v15, v14
	v_fma_f32 v16, -v14, v15, 1.0
	s_delay_alu instid0(VALU_DEP_1) | instskip(SKIP_1) | instid1(VALU_DEP_1)
	v_fmac_f32_e32 v15, v16, v15
	v_div_scale_f32 v16, vcc_lo, 1.0, v4, 1.0
	v_mul_f32_e32 v17, v16, v15
	s_delay_alu instid0(VALU_DEP_1) | instskip(NEXT) | instid1(VALU_DEP_1)
	v_fma_f32 v18, -v14, v17, v16
	v_fmac_f32_e32 v17, v18, v15
	s_delay_alu instid0(VALU_DEP_1) | instskip(SKIP_1) | instid1(VALU_DEP_1)
	v_fma_f32 v14, -v14, v17, v16
	s_wait_alu 0xfffd
	v_div_fmas_f32 v14, v14, v15, v17
	s_delay_alu instid0(VALU_DEP_1)
	v_div_fixup_f32 v14, v14, v4, 1.0
.LBB61_50:
	v_mad_co_u64_u32 v[15:16], null, s2, s22, v[12:13]
	v_cmp_eq_u32_e32 vcc_lo, 0, v13
	v_lshrrev_b32_e32 v4, 16, v58
	v_lshrrev_b32_e32 v16, 16, v52
	;; [unrolled: 1-line block ×4, first 2 shown]
	v_cvt_f32_f16_e32 v18, v52
	v_mad_co_u64_u32 v[12:13], null, v15, s23, s[28:29]
	v_cvt_f32_f16_e32 v15, v58
	v_mov_b32_e32 v24, 0
	v_cvt_f32_f16_e32 v22, v56
	v_cvt_f32_f16_e32 v4, v4
	v_cvt_f32_f16_e32 v16, v16
	v_mul_f32_e32 v17, v14, v15
	v_mad_co_u64_u32 v[12:13], null, s1, v12, s[4:5]
	v_cvt_f32_f16_e32 v13, v57
	v_cvt_f32_f16_e32 v27, v19
	v_mul_f32_e32 v15, v14, v18
	v_mul_f32_e32 v19, v14, v22
	;; [unrolled: 1-line block ×4, first 2 shown]
	v_lshl_add_u32 v23, v12, 8, v28
	v_cvt_f32_f16_e32 v13, v20
	v_mul_f32_e32 v22, v14, v27
	v_mul_f32_e32 v18, v14, v4
	s_delay_alu instid0(VALU_DEP_4) | instskip(NEXT) | instid1(VALU_DEP_4)
	v_lshlrev_b64_e32 v[25:26], 2, v[23:24]
	v_dual_mul_f32 v20, v14, v13 :: v_dual_add_nc_u32 v23, 0x80, v23
	s_delay_alu instid0(VALU_DEP_1) | instskip(NEXT) | instid1(VALU_DEP_3)
	v_lshlrev_b64_e32 v[13:14], 2, v[23:24]
	v_add_co_u32 v23, s0, s16, v25
	s_wait_alu 0xf1ff
	s_delay_alu instid0(VALU_DEP_4) | instskip(NEXT) | instid1(VALU_DEP_3)
	v_add_co_ci_u32_e64 v24, null, s17, v26, s0
	v_add_co_u32 v13, s0, s16, v13
	s_wait_alu 0xf1ff
	v_add_co_ci_u32_e64 v14, null, s17, v14, s0
	s_and_b32 s0, vcc_lo, s5
	s_clause 0x1
	global_store_b128 v[23:24], v[15:18], off
	global_store_b128 v[13:14], v[19:22], off
	s_wait_alu 0xfffe
	s_and_saveexec_b32 s2, s0
	s_cbranch_execz .LBB61_52
; %bb.51:
	v_ashrrev_i32_e32 v13, 31, v12
	v_dual_mov_b32 v15, v0 :: v_dual_mov_b32 v16, v8
	s_delay_alu instid0(VALU_DEP_2) | instskip(NEXT) | instid1(VALU_DEP_1)
	v_lshlrev_b64_e32 v[13:14], 3, v[12:13]
	v_add_co_u32 v13, vcc_lo, s18, v13
	s_wait_alu 0xfffd
	s_delay_alu instid0(VALU_DEP_2)
	v_add_co_ci_u32_e64 v14, null, s19, v14, vcc_lo
	global_store_b64 v[13:14], v[15:16], off
.LBB61_52:
	s_wait_alu 0xfffe
	s_or_b32 exec_lo, exec_lo, s2
	v_cndmask_b32_e64 v13, 0, 1, s3
	v_mov_b32_e32 v0, 1.0
	s_and_not1_b32 vcc_lo, exec_lo, s3
	s_wait_alu 0xfffe
	s_cbranch_vccnz .LBB61_54
; %bb.53:
	v_div_scale_f32 v0, null, v5, v5, 1.0
	s_delay_alu instid0(VALU_DEP_1) | instskip(NEXT) | instid1(TRANS32_DEP_1)
	v_rcp_f32_e32 v4, v0
	v_fma_f32 v8, -v0, v4, 1.0
	s_delay_alu instid0(VALU_DEP_1) | instskip(SKIP_1) | instid1(VALU_DEP_1)
	v_fmac_f32_e32 v4, v8, v4
	v_div_scale_f32 v8, vcc_lo, 1.0, v5, 1.0
	v_mul_f32_e32 v14, v8, v4
	s_delay_alu instid0(VALU_DEP_1) | instskip(NEXT) | instid1(VALU_DEP_1)
	v_fma_f32 v15, -v0, v14, v8
	v_fmac_f32_e32 v14, v15, v4
	s_delay_alu instid0(VALU_DEP_1) | instskip(SKIP_1) | instid1(VALU_DEP_1)
	v_fma_f32 v0, -v0, v14, v8
	s_wait_alu 0xfffd
	v_div_fmas_f32 v0, v0, v4, v14
	s_delay_alu instid0(VALU_DEP_1)
	v_div_fixup_f32 v0, v0, v5, 1.0
.LBB61_54:
	v_lshrrev_b32_e32 v5, 16, v55
	v_dual_mov_b32 v19, 0 :: v_dual_add_nc_u32 v4, s1, v12
	v_lshrrev_b32_e32 v8, 16, v48
	v_cvt_f32_f16_e32 v12, v55
	s_delay_alu instid0(VALU_DEP_4) | instskip(NEXT) | instid1(VALU_DEP_4)
	v_cvt_f32_f16_e32 v5, v5
	v_lshl_add_u32 v18, v4, 8, v28
	v_cvt_f32_f16_e32 v14, v48
	v_cvt_f32_f16_e32 v8, v8
	v_mul_f32_e32 v16, v0, v12
	v_mul_f32_e32 v17, v0, v5
	v_lshlrev_b64_e32 v[20:21], 2, v[18:19]
	s_delay_alu instid0(VALU_DEP_4) | instskip(SKIP_3) | instid1(VALU_DEP_4)
	v_dual_mul_f32 v15, v0, v8 :: v_dual_add_nc_u32 v18, 0x80, v18
	v_lshrrev_b32_e32 v5, 16, v54
	v_lshrrev_b32_e32 v8, 16, v53
	v_cvt_f32_f16_e32 v12, v54
	v_lshlrev_b64_e32 v[24:25], 2, v[18:19]
	v_cvt_f32_f16_e32 v26, v53
	v_cvt_f32_f16_e32 v5, v5
	v_cvt_f32_f16_e32 v8, v8
	v_add_co_u32 v22, vcc_lo, s16, v20
	s_wait_alu 0xfffd
	v_add_co_ci_u32_e64 v23, null, s17, v21, vcc_lo
	v_add_co_u32 v24, vcc_lo, s16, v24
	v_mul_f32_e32 v14, v0, v14
	v_mul_f32_e32 v21, v0, v5
	v_mul_f32_e32 v20, v0, v12
	v_mul_f32_e32 v19, v0, v8
	v_mul_f32_e32 v18, v0, v26
	s_wait_alu 0xfffd
	v_add_co_ci_u32_e64 v25, null, s17, v25, vcc_lo
	s_clause 0x1
	global_store_b128 v[22:23], v[14:17], off
	global_store_b128 v[24:25], v[18:21], off
	s_and_saveexec_b32 s2, s0
	s_cbranch_execz .LBB61_56
; %bb.55:
	v_ashrrev_i32_e32 v5, 31, v4
	v_mov_b32_e32 v8, v1
	s_delay_alu instid0(VALU_DEP_2) | instskip(NEXT) | instid1(VALU_DEP_1)
	v_lshlrev_b64_e32 v[14:15], 3, v[4:5]
	v_add_co_u32 v14, vcc_lo, s18, v14
	s_wait_alu 0xfffd
	s_delay_alu instid0(VALU_DEP_2)
	v_add_co_ci_u32_e64 v15, null, s19, v15, vcc_lo
	global_store_b64 v[14:15], v[8:9], off
.LBB61_56:
	s_wait_alu 0xfffe
	s_or_b32 exec_lo, exec_lo, s2
	v_cmp_ne_u32_e32 vcc_lo, 1, v13
	v_mov_b32_e32 v1, 1.0
	s_cbranch_vccnz .LBB61_58
; %bb.57:
	v_div_scale_f32 v0, null, v6, v6, 1.0
	s_delay_alu instid0(VALU_DEP_1) | instskip(NEXT) | instid1(TRANS32_DEP_1)
	v_rcp_f32_e32 v1, v0
	v_fma_f32 v5, -v0, v1, 1.0
	s_delay_alu instid0(VALU_DEP_1) | instskip(SKIP_1) | instid1(VALU_DEP_1)
	v_fmac_f32_e32 v1, v5, v1
	v_div_scale_f32 v5, vcc_lo, 1.0, v6, 1.0
	v_mul_f32_e32 v8, v5, v1
	s_delay_alu instid0(VALU_DEP_1) | instskip(NEXT) | instid1(VALU_DEP_1)
	v_fma_f32 v9, -v0, v8, v5
	v_fmac_f32_e32 v8, v9, v1
	s_delay_alu instid0(VALU_DEP_1) | instskip(SKIP_1) | instid1(VALU_DEP_1)
	v_fma_f32 v0, -v0, v8, v5
	s_wait_alu 0xfffd
	v_div_fmas_f32 v0, v0, v1, v8
	s_delay_alu instid0(VALU_DEP_1)
	v_div_fixup_f32 v1, v0, v6, 1.0
.LBB61_58:
	v_lshrrev_b32_e32 v6, 16, v51
	v_dual_mov_b32 v5, 0 :: v_dual_add_nc_u32 v0, s1, v4
	v_lshrrev_b32_e32 v8, 16, v44
	v_cvt_f32_f16_e32 v9, v51
	s_delay_alu instid0(VALU_DEP_4) | instskip(NEXT) | instid1(VALU_DEP_4)
	v_cvt_f32_f16_e32 v6, v6
	v_lshl_add_u32 v4, v0, 8, v28
	v_cvt_f32_f16_e32 v14, v44
	v_cvt_f32_f16_e32 v12, v8
	v_mul_f32_e32 v16, v1, v9
	v_mul_f32_e32 v17, v1, v6
	v_lshlrev_b64_e32 v[8:9], 2, v[4:5]
	v_add_nc_u32_e32 v4, 0x80, v4
	v_mul_f32_e32 v15, v1, v12
	v_lshrrev_b32_e32 v6, 16, v50
	v_lshrrev_b32_e32 v12, 16, v49
	v_cvt_f32_f16_e32 v18, v50
	v_lshlrev_b64_e32 v[4:5], 2, v[4:5]
	v_cvt_f32_f16_e32 v22, v49
	v_cvt_f32_f16_e32 v6, v6
	;; [unrolled: 1-line block ×3, first 2 shown]
	v_add_co_u32 v8, vcc_lo, s16, v8
	s_wait_alu 0xfffd
	v_add_co_ci_u32_e64 v9, null, s17, v9, vcc_lo
	v_add_co_u32 v4, vcc_lo, s16, v4
	v_mul_f32_e32 v14, v1, v14
	v_mul_f32_e32 v21, v1, v6
	;; [unrolled: 1-line block ×5, first 2 shown]
	s_wait_alu 0xfffd
	v_add_co_ci_u32_e64 v5, null, s17, v5, vcc_lo
	s_clause 0x1
	global_store_b128 v[8:9], v[14:17], off
	global_store_b128 v[4:5], v[18:21], off
	s_and_saveexec_b32 s2, s0
	s_cbranch_execz .LBB61_60
; %bb.59:
	v_ashrrev_i32_e32 v1, 31, v0
	v_mov_b32_e32 v9, v2
	s_delay_alu instid0(VALU_DEP_2) | instskip(NEXT) | instid1(VALU_DEP_1)
	v_lshlrev_b64_e32 v[4:5], 3, v[0:1]
	v_add_co_u32 v4, vcc_lo, s18, v4
	s_wait_alu 0xfffd
	s_delay_alu instid0(VALU_DEP_2)
	v_add_co_ci_u32_e64 v5, null, s19, v5, vcc_lo
	global_store_b64 v[4:5], v[9:10], off
.LBB61_60:
	s_wait_alu 0xfffe
	s_or_b32 exec_lo, exec_lo, s2
	v_cmp_ne_u32_e32 vcc_lo, 1, v13
	v_mov_b32_e32 v1, 1.0
	s_cbranch_vccnz .LBB61_62
; %bb.61:
	v_div_scale_f32 v1, null, v7, v7, 1.0
	s_delay_alu instid0(VALU_DEP_1) | instskip(NEXT) | instid1(TRANS32_DEP_1)
	v_rcp_f32_e32 v2, v1
	v_fma_f32 v4, -v1, v2, 1.0
	s_delay_alu instid0(VALU_DEP_1) | instskip(SKIP_1) | instid1(VALU_DEP_1)
	v_fmac_f32_e32 v2, v4, v2
	v_div_scale_f32 v4, vcc_lo, 1.0, v7, 1.0
	v_mul_f32_e32 v5, v4, v2
	s_delay_alu instid0(VALU_DEP_1) | instskip(NEXT) | instid1(VALU_DEP_1)
	v_fma_f32 v6, -v1, v5, v4
	v_fmac_f32_e32 v5, v6, v2
	s_delay_alu instid0(VALU_DEP_1) | instskip(SKIP_1) | instid1(VALU_DEP_1)
	v_fma_f32 v1, -v1, v5, v4
	s_wait_alu 0xfffd
	v_div_fmas_f32 v1, v1, v2, v5
	s_delay_alu instid0(VALU_DEP_1)
	v_div_fixup_f32 v1, v1, v7, 1.0
.LBB61_62:
	v_lshrrev_b32_e32 v2, 16, v47
	v_dual_mov_b32 v9, 0 :: v_dual_add_nc_u32 v0, s1, v0
	v_lshrrev_b32_e32 v4, 16, v46
	v_cvt_f32_f16_e32 v5, v47
	s_delay_alu instid0(VALU_DEP_4) | instskip(NEXT) | instid1(VALU_DEP_4)
	v_cvt_f32_f16_e32 v2, v2
	v_lshl_add_u32 v8, v0, 8, v28
	v_cvt_f32_f16_e32 v10, v46
	v_cvt_f32_f16_e32 v4, v4
	v_mul_f32_e32 v6, v1, v5
	v_mul_f32_e32 v7, v1, v2
	v_lshlrev_b64_e32 v[12:13], 2, v[8:9]
	v_add_nc_u32_e32 v8, 0x80, v8
	v_mul_f32_e32 v5, v1, v4
	v_mul_f32_e32 v4, v1, v10
	v_lshrrev_b32_e32 v2, 16, v43
	v_lshrrev_b32_e32 v10, 16, v45
	v_lshlrev_b64_e32 v[8:9], 2, v[8:9]
	v_add_co_u32 v16, vcc_lo, s16, v12
	s_delay_alu instid0(VALU_DEP_4)
	v_cvt_f32_f16_e32 v2, v2
	v_cvt_f32_f16_e32 v12, v43
	;; [unrolled: 1-line block ×4, first 2 shown]
	s_wait_alu 0xfffd
	v_add_co_ci_u32_e64 v17, null, s17, v13, vcc_lo
	v_mul_f32_e32 v15, v1, v2
	v_mul_f32_e32 v14, v1, v12
	v_mul_f32_e32 v13, v1, v10
	v_mul_f32_e32 v12, v1, v18
	v_add_co_u32 v1, vcc_lo, s16, v8
	s_wait_alu 0xfffd
	v_add_co_ci_u32_e64 v2, null, s17, v9, vcc_lo
	s_clause 0x1
	global_store_b128 v[16:17], v[4:7], off
	global_store_b128 v[1:2], v[12:15], off
	s_and_b32 exec_lo, exec_lo, s0
	s_cbranch_execz .LBB61_46
; %bb.63:
	v_ashrrev_i32_e32 v1, 31, v0
	v_mov_b32_e32 v10, v3
	s_delay_alu instid0(VALU_DEP_2) | instskip(NEXT) | instid1(VALU_DEP_1)
	v_lshlrev_b64_e32 v[0:1], 3, v[0:1]
	v_add_co_u32 v0, vcc_lo, s18, v0
	s_wait_alu 0xfffd
	s_delay_alu instid0(VALU_DEP_2)
	v_add_co_ci_u32_e64 v1, null, s19, v1, vcc_lo
	global_store_b64 v[0:1], v[10:11], off
	s_nop 0
	s_sendmsg sendmsg(MSG_DEALLOC_VGPRS)
	s_endpgm
	.section	.rodata,"a",@progbits
	.p2align	6, 0x0
	.amdhsa_kernel _ZL15flash_attn_tileILi256ELi256ELi8ELi4ELb1EEvPKcS1_S1_S1_S1_PKiPfP15HIP_vector_typeIfLj2EEffffjfiS5_IjLj3EEiiiiiiiiiiiliiliiiiil
		.amdhsa_group_segment_fixed_size 37888
		.amdhsa_private_segment_fixed_size 0
		.amdhsa_kernarg_size 464
		.amdhsa_user_sgpr_count 2
		.amdhsa_user_sgpr_dispatch_ptr 0
		.amdhsa_user_sgpr_queue_ptr 0
		.amdhsa_user_sgpr_kernarg_segment_ptr 1
		.amdhsa_user_sgpr_dispatch_id 0
		.amdhsa_user_sgpr_private_segment_size 0
		.amdhsa_wavefront_size32 1
		.amdhsa_uses_dynamic_stack 0
		.amdhsa_enable_private_segment 0
		.amdhsa_system_sgpr_workgroup_id_x 1
		.amdhsa_system_sgpr_workgroup_id_y 1
		.amdhsa_system_sgpr_workgroup_id_z 1
		.amdhsa_system_sgpr_workgroup_info 0
		.amdhsa_system_vgpr_workitem_id 1
		.amdhsa_next_free_vgpr 217
		.amdhsa_next_free_sgpr 42
		.amdhsa_reserve_vcc 1
		.amdhsa_float_round_mode_32 0
		.amdhsa_float_round_mode_16_64 0
		.amdhsa_float_denorm_mode_32 3
		.amdhsa_float_denorm_mode_16_64 3
		.amdhsa_fp16_overflow 0
		.amdhsa_workgroup_processor_mode 1
		.amdhsa_memory_ordered 1
		.amdhsa_forward_progress 1
		.amdhsa_inst_pref_size 207
		.amdhsa_round_robin_scheduling 0
		.amdhsa_exception_fp_ieee_invalid_op 0
		.amdhsa_exception_fp_denorm_src 0
		.amdhsa_exception_fp_ieee_div_zero 0
		.amdhsa_exception_fp_ieee_overflow 0
		.amdhsa_exception_fp_ieee_underflow 0
		.amdhsa_exception_fp_ieee_inexact 0
		.amdhsa_exception_int_div_zero 0
	.end_amdhsa_kernel
	.section	.text._ZL15flash_attn_tileILi256ELi256ELi8ELi4ELb1EEvPKcS1_S1_S1_S1_PKiPfP15HIP_vector_typeIfLj2EEffffjfiS5_IjLj3EEiiiiiiiiiiiliiliiiiil,"axG",@progbits,_ZL15flash_attn_tileILi256ELi256ELi8ELi4ELb1EEvPKcS1_S1_S1_S1_PKiPfP15HIP_vector_typeIfLj2EEffffjfiS5_IjLj3EEiiiiiiiiiiiliiliiiiil,comdat
.Lfunc_end61:
	.size	_ZL15flash_attn_tileILi256ELi256ELi8ELi4ELb1EEvPKcS1_S1_S1_S1_PKiPfP15HIP_vector_typeIfLj2EEffffjfiS5_IjLj3EEiiiiiiiiiiiliiliiiiil, .Lfunc_end61-_ZL15flash_attn_tileILi256ELi256ELi8ELi4ELb1EEvPKcS1_S1_S1_S1_PKiPfP15HIP_vector_typeIfLj2EEffffjfiS5_IjLj3EEiiiiiiiiiiiliiliiiiil
                                        ; -- End function
	.set _ZL15flash_attn_tileILi256ELi256ELi8ELi4ELb1EEvPKcS1_S1_S1_S1_PKiPfP15HIP_vector_typeIfLj2EEffffjfiS5_IjLj3EEiiiiiiiiiiiliiliiiiil.num_vgpr, 182
	.set _ZL15flash_attn_tileILi256ELi256ELi8ELi4ELb1EEvPKcS1_S1_S1_S1_PKiPfP15HIP_vector_typeIfLj2EEffffjfiS5_IjLj3EEiiiiiiiiiiiliiliiiiil.num_agpr, 0
	.set _ZL15flash_attn_tileILi256ELi256ELi8ELi4ELb1EEvPKcS1_S1_S1_S1_PKiPfP15HIP_vector_typeIfLj2EEffffjfiS5_IjLj3EEiiiiiiiiiiiliiliiiiil.numbered_sgpr, 42
	.set _ZL15flash_attn_tileILi256ELi256ELi8ELi4ELb1EEvPKcS1_S1_S1_S1_PKiPfP15HIP_vector_typeIfLj2EEffffjfiS5_IjLj3EEiiiiiiiiiiiliiliiiiil.num_named_barrier, 0
	.set _ZL15flash_attn_tileILi256ELi256ELi8ELi4ELb1EEvPKcS1_S1_S1_S1_PKiPfP15HIP_vector_typeIfLj2EEffffjfiS5_IjLj3EEiiiiiiiiiiiliiliiiiil.private_seg_size, 0
	.set _ZL15flash_attn_tileILi256ELi256ELi8ELi4ELb1EEvPKcS1_S1_S1_S1_PKiPfP15HIP_vector_typeIfLj2EEffffjfiS5_IjLj3EEiiiiiiiiiiiliiliiiiil.uses_vcc, 1
	.set _ZL15flash_attn_tileILi256ELi256ELi8ELi4ELb1EEvPKcS1_S1_S1_S1_PKiPfP15HIP_vector_typeIfLj2EEffffjfiS5_IjLj3EEiiiiiiiiiiiliiliiiiil.uses_flat_scratch, 0
	.set _ZL15flash_attn_tileILi256ELi256ELi8ELi4ELb1EEvPKcS1_S1_S1_S1_PKiPfP15HIP_vector_typeIfLj2EEffffjfiS5_IjLj3EEiiiiiiiiiiiliiliiiiil.has_dyn_sized_stack, 0
	.set _ZL15flash_attn_tileILi256ELi256ELi8ELi4ELb1EEvPKcS1_S1_S1_S1_PKiPfP15HIP_vector_typeIfLj2EEffffjfiS5_IjLj3EEiiiiiiiiiiiliiliiiiil.has_recursion, 0
	.set _ZL15flash_attn_tileILi256ELi256ELi8ELi4ELb1EEvPKcS1_S1_S1_S1_PKiPfP15HIP_vector_typeIfLj2EEffffjfiS5_IjLj3EEiiiiiiiiiiiliiliiiiil.has_indirect_call, 0
	.section	.AMDGPU.csdata,"",@progbits
; Kernel info:
; codeLenInByte = 26436
; TotalNumSgprs: 44
; NumVgprs: 182
; ScratchSize: 0
; MemoryBound: 0
; FloatMode: 240
; IeeeMode: 1
; LDSByteSize: 37888 bytes/workgroup (compile time only)
; SGPRBlocks: 0
; VGPRBlocks: 27
; NumSGPRsForWavesPerEU: 44
; NumVGPRsForWavesPerEU: 217
; Occupancy: 6
; WaveLimiterHint : 1
; COMPUTE_PGM_RSRC2:SCRATCH_EN: 0
; COMPUTE_PGM_RSRC2:USER_SGPR: 2
; COMPUTE_PGM_RSRC2:TRAP_HANDLER: 0
; COMPUTE_PGM_RSRC2:TGID_X_EN: 1
; COMPUTE_PGM_RSRC2:TGID_Y_EN: 1
; COMPUTE_PGM_RSRC2:TGID_Z_EN: 1
; COMPUTE_PGM_RSRC2:TIDIG_COMP_CNT: 1
	.section	.text._ZL15flash_attn_tileILi256ELi256ELi4ELi4ELb1EEvPKcS1_S1_S1_S1_PKiPfP15HIP_vector_typeIfLj2EEffffjfiS5_IjLj3EEiiiiiiiiiiiliiliiiiil,"axG",@progbits,_ZL15flash_attn_tileILi256ELi256ELi4ELi4ELb1EEvPKcS1_S1_S1_S1_PKiPfP15HIP_vector_typeIfLj2EEffffjfiS5_IjLj3EEiiiiiiiiiiiliiliiiiil,comdat
	.globl	_ZL15flash_attn_tileILi256ELi256ELi4ELi4ELb1EEvPKcS1_S1_S1_S1_PKiPfP15HIP_vector_typeIfLj2EEffffjfiS5_IjLj3EEiiiiiiiiiiiliiliiiiil ; -- Begin function _ZL15flash_attn_tileILi256ELi256ELi4ELi4ELb1EEvPKcS1_S1_S1_S1_PKiPfP15HIP_vector_typeIfLj2EEffffjfiS5_IjLj3EEiiiiiiiiiiiliiliiiiil
	.p2align	8
	.type	_ZL15flash_attn_tileILi256ELi256ELi4ELi4ELb1EEvPKcS1_S1_S1_S1_PKiPfP15HIP_vector_typeIfLj2EEffffjfiS5_IjLj3EEiiiiiiiiiiiliiliiiiil,@function
_ZL15flash_attn_tileILi256ELi256ELi4ELi4ELb1EEvPKcS1_S1_S1_S1_PKiPfP15HIP_vector_typeIfLj2EEffffjfiS5_IjLj3EEiiiiiiiiiiiliiliiiiil: ; @_ZL15flash_attn_tileILi256ELi256ELi4ELi4ELb1EEvPKcS1_S1_S1_S1_PKiPfP15HIP_vector_typeIfLj2EEffffjfiS5_IjLj3EEiiiiiiiiiiiliiliiiiil
; %bb.0:
	s_clause 0x1
	s_load_b128 s[20:23], s[0:1], 0x5c
	s_load_b64 s[28:29], s[0:1], 0x80
	s_lshr_b32 s5, ttmp7, 16
	s_load_b64 s[36:37], s[0:1], 0xb8
	s_mov_b32 s35, 0
	s_mov_b64 s[30:31], 0
	s_wait_kmcnt 0x0
	s_ashr_i32 s2, s23, 31
	s_delay_alu instid0(SALU_CYCLE_1) | instskip(NEXT) | instid1(SALU_CYCLE_1)
	s_lshr_b32 s2, s2, 30
	s_add_co_i32 s2, s23, s2
	s_delay_alu instid0(SALU_CYCLE_1) | instskip(NEXT) | instid1(SALU_CYCLE_1)
	s_ashr_i32 s2, s2, 2
	s_cvt_f32_u32 s3, s2
	s_sub_co_i32 s4, 0, s2
	s_delay_alu instid0(SALU_CYCLE_2) | instskip(NEXT) | instid1(TRANS32_DEP_1)
	v_rcp_iflag_f32_e32 v1, s3
	v_readfirstlane_b32 s3, v1
	s_mul_f32 s3, s3, 0x4f7ffffe
	s_wait_alu 0xfffe
	s_delay_alu instid0(SALU_CYCLE_2) | instskip(SKIP_1) | instid1(SALU_CYCLE_2)
	s_cvt_u32_f32 s3, s3
	s_wait_alu 0xfffe
	s_mul_i32 s4, s4, s3
	s_delay_alu instid0(SALU_CYCLE_1) | instskip(NEXT) | instid1(SALU_CYCLE_1)
	s_mul_hi_u32 s4, s3, s4
	s_add_co_i32 s3, s3, s4
	s_wait_alu 0xfffe
	s_mul_hi_u32 s3, s5, s3
	s_wait_alu 0xfffe
	s_mul_i32 s4, s3, s2
	s_add_co_i32 s6, s3, 1
	s_sub_co_i32 s4, s5, s4
	s_delay_alu instid0(SALU_CYCLE_1)
	s_sub_co_i32 s7, s4, s2
	s_cmp_ge_u32 s4, s2
	s_cselect_b32 s3, s6, s3
	s_cselect_b32 s4, s7, s4
	s_wait_alu 0xfffe
	s_add_co_i32 s6, s3, 1
	s_cmp_ge_u32 s4, s2
	s_cselect_b32 s2, s6, s3
	s_abs_i32 s3, s29
	s_abs_i32 s8, s23
	s_wait_alu 0xfffe
	s_cvt_f32_u32 s4, s3
	s_sub_co_i32 s6, 0, s3
	s_lshl_b32 s5, s5, 2
	s_mul_i32 s7, s2, s23
	v_rcp_iflag_f32_e32 v1, s4
	s_sub_co_i32 s33, s5, s7
	s_xor_b32 s5, s23, s29
	s_wait_alu 0xfffe
	s_ashr_i32 s24, s5, 31
	s_delay_alu instid0(TRANS32_DEP_1) | instskip(SKIP_2) | instid1(SALU_CYCLE_2)
	v_readfirstlane_b32 s4, v1
	s_mul_f32 s4, s4, 0x4f7ffffe
	s_wait_alu 0xfffe
	s_cvt_u32_f32 s4, s4
	s_wait_alu 0xfffe
	s_delay_alu instid0(SALU_CYCLE_2) | instskip(NEXT) | instid1(SALU_CYCLE_1)
	s_mul_i32 s6, s6, s4
	s_mul_hi_u32 s6, s4, s6
	s_delay_alu instid0(SALU_CYCLE_1) | instskip(SKIP_4) | instid1(SALU_CYCLE_1)
	s_add_co_i32 s4, s4, s6
	s_wait_alu 0xfffe
	s_mul_hi_u32 s4, s8, s4
	s_wait_alu 0xfffe
	s_mul_i32 s6, s4, s3
	s_sub_co_i32 s5, s8, s6
	s_add_co_i32 s6, s4, 1
	s_wait_alu 0xfffe
	s_sub_co_i32 s7, s5, s3
	s_cmp_ge_u32 s5, s3
	s_cselect_b32 s4, s6, s4
	s_cselect_b32 s5, s7, s5
	s_wait_alu 0xfffe
	s_add_co_i32 s6, s4, 1
	s_cmp_ge_u32 s5, s3
	s_cselect_b32 s3, s6, s4
	s_load_b512 s[4:19], s[0:1], 0x0
	s_xor_b32 s3, s3, s24
	s_wait_alu 0xfffe
	s_sub_co_i32 s38, s3, s24
	s_delay_alu instid0(SALU_CYCLE_1) | instskip(NEXT) | instid1(SALU_CYCLE_1)
	s_abs_i32 s29, s38
	s_cvt_f32_u32 s3, s29
	s_wait_alu 0xfffe
	s_delay_alu instid0(SALU_CYCLE_2) | instskip(SKIP_2) | instid1(TRANS32_DEP_1)
	v_rcp_iflag_f32_e32 v1, s3
	s_wait_kmcnt 0x0
	s_cmp_eq_u64 s[10:11], 0
	v_readfirstlane_b32 s27, v1
	s_cbranch_scc1 .LBB62_2
; %bb.1:
	s_abs_i32 s3, s36
	s_wait_alu 0xfffe
	s_cvt_f32_u32 s24, s3
	s_delay_alu instid0(SALU_CYCLE_3) | instskip(NEXT) | instid1(TRANS32_DEP_1)
	v_rcp_iflag_f32_e32 v1, s24
	v_readfirstlane_b32 s24, v1
	s_mul_f32 s24, s24, 0x4f7ffffe
	s_wait_alu 0xfffe
	s_delay_alu instid0(SALU_CYCLE_2) | instskip(SKIP_2) | instid1(SALU_CYCLE_1)
	s_cvt_u32_f32 s26, s24
	s_sub_co_i32 s24, 0, s3
	s_wait_alu 0xfffe
	s_mul_i32 s24, s24, s26
	s_wait_alu 0xfffe
	s_mul_hi_u32 s30, s26, s24
	s_load_b64 s[24:25], s[0:1], 0xc8
	s_add_co_i32 s26, s26, s30
	s_delay_alu instid0(SALU_CYCLE_1) | instskip(NEXT) | instid1(SALU_CYCLE_1)
	s_mul_hi_u32 s26, s2, s26
	s_mul_i32 s26, s26, s3
	s_delay_alu instid0(SALU_CYCLE_1) | instskip(NEXT) | instid1(SALU_CYCLE_1)
	s_sub_co_i32 s26, s2, s26
	s_sub_co_i32 s30, s26, s3
	s_cmp_ge_u32 s26, s3
	s_cselect_b32 s26, s30, s26
	s_delay_alu instid0(SALU_CYCLE_1) | instskip(SKIP_2) | instid1(SALU_CYCLE_1)
	s_sub_co_i32 s30, s26, s3
	s_cmp_ge_u32 s26, s3
	s_cselect_b32 s30, s30, s26
	s_ashr_i32 s31, s30, 31
	s_wait_kmcnt 0x0
	s_mul_u64 s[24:25], s[24:25], s[30:31]
	s_wait_alu 0xfffe
	s_add_nc_u64 s[30:31], s[10:11], s[24:25]
.LBB62_2:
	v_lshrrev_b32_e32 v1, 10, v0
	s_load_b96 s[24:26], s[0:1], 0x70
	v_and_b32_e32 v77, 0x3ff, v0
	s_delay_alu instid0(VALU_DEP_2) | instskip(NEXT) | instid1(VALU_DEP_2)
	v_bfe_u32 v1, v1, 1, 9
	v_lshlrev_b32_e32 v11, 4, v77
	s_delay_alu instid0(VALU_DEP_2) | instskip(NEXT) | instid1(VALU_DEP_1)
	v_lshl_add_u32 v76, ttmp9, 2, v1
	v_mul_hi_u32 v1, s20, v76
	s_wait_kmcnt 0x0
	s_mul_i32 s10, s33, s25
	s_mov_b32 s20, s25
	s_delay_alu instid0(VALU_DEP_1) | instskip(SKIP_1) | instid1(VALU_DEP_1)
	v_add_nc_u32_e32 v1, v76, v1
	s_ashr_i32 s11, s10, 31
	v_lshrrev_b32_e32 v1, s21, v1
	s_ashr_i32 s21, s25, 31
	s_ashr_i32 s25, s24, 31
	s_wait_alu 0xfffe
	s_lshr_b64 s[40:41], s[24:25], 2
	v_mul_lo_u32 v2, v1, s22
	v_bfe_u32 v1, v0, 10, 10
	s_lshr_b32 s3, s25, 2
	s_mul_i32 s24, s2, s26
	s_wait_alu 0xfffe
	s_ashr_i32 s25, s24, 31
	s_wait_alu 0xfffe
	s_add_nc_u64 s[4:5], s[4:5], s[24:25]
	v_sub_nc_u32_e32 v2, v76, v2
	s_wait_alu 0xfffe
	s_add_nc_u64 s[4:5], s[4:5], s[10:11]
	s_delay_alu instid0(VALU_DEP_1) | instskip(SKIP_2) | instid1(VALU_DEP_2)
	v_mad_co_u64_u32 v[3:4], null, s40, v2, 0
	v_lshlrev_b32_e32 v5, 1, v1
	s_lshr_b64 s[40:41], s[20:21], 2
	v_mov_b32_e32 v0, v4
	s_delay_alu instid0(VALU_DEP_2) | instskip(SKIP_1) | instid1(VALU_DEP_3)
	v_or_b32_e32 v19, 1, v5
	v_and_b32_e32 v97, 2, v5
	v_mad_co_u64_u32 v[4:5], null, s3, v2, v[0:1]
	s_delay_alu instid0(VALU_DEP_3)
	v_and_b32_e32 v9, 3, v19
	s_lshr_b32 s3, s21, 2
	s_wait_alu 0xfffe
	v_mad_co_u64_u32 v[7:8], null, s40, v97, 0
	v_mul_lo_u32 v10, s3, v97
	v_mad_co_u64_u32 v[5:6], null, s40, v9, 0
	v_lshlrev_b64_e32 v[3:4], 2, v[3:4]
	s_cmp_eq_u64 s[14:15], 0
	s_delay_alu instid0(VALU_DEP_3) | instskip(NEXT) | instid1(VALU_DEP_3)
	v_or_b32_e32 v8, v8, v10
	v_mov_b32_e32 v0, v6
	s_delay_alu instid0(VALU_DEP_1) | instskip(NEXT) | instid1(VALU_DEP_4)
	v_mad_co_u64_u32 v[9:10], null, s3, v9, v[0:1]
	v_add_co_u32 v0, vcc_lo, s4, v3
	s_delay_alu instid0(VALU_DEP_1) | instskip(SKIP_1) | instid1(VALU_DEP_3)
	v_add_co_ci_u32_e64 v6, null, s5, v4, vcc_lo
	v_lshlrev_b64_e32 v[3:4], 2, v[7:8]
	v_add_co_u32 v0, vcc_lo, v0, v11
	s_wait_alu 0xfffd
	s_delay_alu instid0(VALU_DEP_3) | instskip(SKIP_1) | instid1(VALU_DEP_3)
	v_add_co_ci_u32_e64 v11, null, 0, v6, vcc_lo
	v_mov_b32_e32 v6, v9
	v_add_co_u32 v7, vcc_lo, v0, v3
	s_wait_alu 0xfffd
	s_delay_alu instid0(VALU_DEP_3) | instskip(NEXT) | instid1(VALU_DEP_3)
	v_add_co_ci_u32_e64 v8, null, v11, v4, vcc_lo
	v_lshlrev_b64_e32 v[9:10], 2, v[5:6]
	s_load_b32 s3, s[0:1], 0x40
	v_lshlrev_b32_e32 v99, 3, v77
	global_load_b128 v[3:6], v[7:8], off
	v_add_co_u32 v15, vcc_lo, v0, v9
	s_wait_alu 0xfffd
	v_add_co_ci_u32_e64 v16, null, v11, v10, vcc_lo
	s_clause 0x2
	global_load_b128 v[7:10], v[7:8], off offset:512
	global_load_b128 v[11:14], v[15:16], off
	global_load_b128 v[15:18], v[15:16], off offset:512
	v_lshlrev_b32_e32 v0, 10, v1
	v_add_nc_u32_e32 v20, 0x4200, v99
	s_delay_alu instid0(VALU_DEP_1)
	v_add_nc_u32_e32 v21, v20, v0
	v_lshl_add_u32 v19, v19, 9, v20
	s_wait_loadcnt 0x3
	s_wait_kmcnt 0x0
	v_fma_mixlo_f16 v3, s3, v3, 0
	v_fma_mixlo_f16 v4, s3, v4, 0
	;; [unrolled: 1-line block ×4, first 2 shown]
	s_delay_alu instid0(VALU_DEP_4) | instskip(NEXT) | instid1(VALU_DEP_4)
	v_and_b32_e32 v3, 0xffff, v3
	v_lshlrev_b32_e32 v4, 16, v4
	s_wait_loadcnt 0x2
	v_fma_mixlo_f16 v7, s3, v7, 0
	v_fma_mixlo_f16 v8, s3, v8, 0
	;; [unrolled: 1-line block ×4, first 2 shown]
	s_wait_loadcnt 0x1
	v_fma_mixlo_f16 v11, s3, v11, 0
	v_fma_mixlo_f16 v12, s3, v12, 0
	s_wait_loadcnt 0x0
	v_fma_mixlo_f16 v15, s3, v15, 0
	v_fma_mixlo_f16 v16, s3, v16, 0
	v_lshlrev_b32_e32 v6, 16, v6
	v_and_b32_e32 v5, 0xffff, v5
	v_lshlrev_b32_e32 v8, 16, v8
	v_and_b32_e32 v7, 0xffff, v7
	v_fma_mixlo_f16 v13, s3, v13, 0
	v_fma_mixlo_f16 v14, s3, v14, 0
	;; [unrolled: 1-line block ×4, first 2 shown]
	v_lshlrev_b32_e32 v10, 16, v10
	v_and_b32_e32 v9, 0xffff, v9
	v_lshlrev_b32_e32 v12, 16, v12
	v_and_b32_e32 v11, 0xffff, v11
	v_lshlrev_b32_e32 v16, 16, v16
	v_and_b32_e32 v15, 0xffff, v15
	v_or_b32_e32 v3, v4, v3
	v_or3_b32 v4, v6, v5, 0
	v_or_b32_e32 v5, v8, v7
	v_lshlrev_b32_e32 v14, 16, v14
	v_and_b32_e32 v13, 0xffff, v13
	v_lshlrev_b32_e32 v18, 16, v18
	v_and_b32_e32 v17, 0xffff, v17
	v_or3_b32 v6, v10, v9, 0
	v_or_b32_e32 v7, v12, v11
	v_or_b32_e32 v9, v16, v15
	v_or3_b32 v3, 0, 0, v3
	v_or3_b32 v5, 0, 0, v5
	;; [unrolled: 1-line block ×6, first 2 shown]
	ds_store_2addr_b64 v21, v[3:4], v[5:6] offset1:32
	ds_store_2addr_b64 v19, v[7:8], v[9:10] offset1:32
	s_wait_dscnt 0x0
	s_barrier_signal -1
	s_barrier_wait -1
	global_inv scope:SCOPE_SE
	s_cbranch_scc1 .LBB62_4
; %bb.3:
	s_load_b32 s3, s[0:1], 0xd0
	s_mov_b32 s5, 0
	s_wait_kmcnt 0x0
	s_mul_i32 s3, s3, s2
	s_wait_alu 0xfffe
	s_add_co_i32 s4, s3, ttmp9
	s_wait_alu 0xfffe
	s_lshl_b64 s[4:5], s[4:5], 2
	s_wait_alu 0xfffe
	s_add_nc_u64 s[4:5], s[14:15], s[4:5]
	s_load_b32 s28, s[4:5], 0x0
.LBB62_4:
	s_and_b32 s4, ttmp7, 0xffff
	v_lshlrev_b32_e32 v98, 2, v77
	v_mbcnt_lo_u32_b32 v100, -1, 0
	s_wait_alu 0xfffe
	s_lshl_b32 s10, s4, 5
	s_wait_kmcnt 0x0
	s_cmp_lt_i32 s10, s28
	s_cbranch_scc1 .LBB62_7
; %bb.5:
	v_mbcnt_lo_u32_b32 v3, -1, 0
	v_mov_b32_e32 v101, 32
	s_delay_alu instid0(VALU_DEP_2)
	v_xor_b32_e32 v118, 16, v3
	v_xor_b32_e32 v114, 8, v3
	;; [unrolled: 1-line block ×5, first 2 shown]
	s_mov_b32 s3, 0
	s_cbranch_execz .LBB62_8
; %bb.6:
	v_dual_mov_b32 v69, 0 :: v_dual_mov_b32 v96, 0xfeffffff
	v_dual_mov_b32 v119, 0 :: v_dual_mov_b32 v120, 0
	;; [unrolled: 1-line block ×6, first 2 shown]
	s_branch .LBB62_20
.LBB62_7:
                                        ; implicit-def: $vgpr3
                                        ; implicit-def: $vgpr101
                                        ; implicit-def: $vgpr118
                                        ; implicit-def: $vgpr114
                                        ; implicit-def: $vgpr115
                                        ; implicit-def: $vgpr116
                                        ; implicit-def: $vgpr117
	s_mov_b32 s3, 0
.LBB62_8:
	s_mul_f32 s5, s27, 0x4f7ffffe
	s_clause 0x1
	s_load_b128 s[24:27], s[0:1], 0x98
	s_load_b64 s[20:21], s[0:1], 0x8c
	s_sub_co_i32 s14, 0, s29
	s_abs_i32 s34, s33
	s_cvt_u32_f32 s11, s5
	s_clause 0x1
	s_load_b32 s5, s[0:1], 0x54
	s_load_b64 s[40:41], s[0:1], 0xa8
	s_mov_b32 s15, s35
	s_mul_i32 s14, s14, s11
	s_ashr_i32 s36, s37, 1
	s_mul_hi_u32 s14, s11, s14
	v_dual_mov_b32 v19, 0 :: v_dual_add_nc_u32 v108, 0x4200, v0
	s_add_co_i32 s14, s11, s14
	s_ashr_i32 s11, s33, 31
	s_mul_u64 s[14:15], s[34:35], s[14:15]
	s_ashr_i32 s14, s38, 31
	s_mul_i32 s35, s15, s29
	s_xor_b32 s11, s11, s14
	s_add_co_i32 s37, s15, 1
	s_wait_kmcnt 0x0
	s_ashr_i32 s14, s26, 2
	s_sub_co_i32 s26, s34, s35
	s_ashr_i32 s20, s20, 2
	s_sub_co_i32 s34, s26, s29
	s_cmp_ge_u32 s26, s29
	s_mul_u64 s[24:25], s[24:25], s[2:3]
	s_cselect_b32 s15, s37, s15
	s_cselect_b32 s26, s34, s26
	s_add_co_i32 s37, s15, 1
	s_cmp_ge_u32 s26, s29
	s_mul_u64 s[34:35], s[40:41], s[2:3]
	s_cselect_b32 s3, s37, s15
	s_wait_alu 0xfffe
	v_mul_lo_u32 v3, s20, v1
	v_mul_lo_u32 v9, s14, v1
	s_xor_b32 s3, s3, s11
	s_add_nc_u64 s[6:7], s[6:7], s[24:25]
	s_wait_alu 0xfffe
	s_sub_co_i32 s3, s3, s11
	s_lshl_b32 s11, s20, 3
	s_wait_alu 0xfffe
	s_mul_i32 s24, s3, s21
	s_mul_i32 s26, s3, s27
	s_lshl_b32 s3, s14, 3
	v_dual_mov_b32 v22, 0 :: v_dual_add_nc_u32 v5, s11, v3
	s_wait_alu 0xfffe
	v_dual_mov_b32 v20, 0 :: v_dual_add_nc_u32 v13, s3, v9
	v_dual_mov_b32 v25, 0xfeffffff :: v_dual_lshlrev_b32 v102, 2, v98
	s_delay_alu instid0(VALU_DEP_3) | instskip(NEXT) | instid1(VALU_DEP_3)
	v_dual_mov_b32 v16, 0 :: v_dual_add_nc_u32 v7, s11, v5
	v_dual_mov_b32 v21, 0 :: v_dual_add_nc_u32 v0, s3, v13
	s_delay_alu instid0(VALU_DEP_3) | instskip(NEXT) | instid1(VALU_DEP_3)
	v_mad_u32_u24 v103, 0x210, v1, v102
	v_dual_mov_b32 v68, 0 :: v_dual_add_nc_u32 v11, s11, v7
	s_delay_alu instid0(VALU_DEP_3)
	v_dual_mov_b32 v24, 0xfeffffff :: v_dual_add_nc_u32 v17, s3, v0
	v_ashrrev_i32_e32 v4, 31, v3
	v_ashrrev_i32_e32 v6, 31, v5
	;; [unrolled: 1-line block ×4, first 2 shown]
	v_lshl_add_u32 v109, v1, 9, v102
	v_lshl_add_u32 v110, v1, 7, 0x6200
	v_ashrrev_i32_e32 v10, 31, v9
	v_ashrrev_i32_e32 v14, 31, v13
	;; [unrolled: 1-line block ×4, first 2 shown]
	v_mad_co_u64_u32 v[78:79], null, v2, s36, v[77:78]
	v_lshlrev_b64_e32 v[79:80], 2, v[3:4]
	v_lshlrev_b64_e32 v[81:82], 2, v[5:6]
	;; [unrolled: 1-line block ×8, first 2 shown]
	v_dual_mov_b32 v101, 32 :: v_dual_add_nc_u32 v104, 0x1080, v103
	v_dual_mov_b32 v18, 0 :: v_dual_add_nc_u32 v105, 0x2100, v103
	v_dual_mov_b32 v17, 0 :: v_dual_add_nc_u32 v106, 0x3180, v103
	v_mul_u32_u24_e32 v107, 0x210, v77
	v_add_nc_u32_e32 v111, 0x1000, v109
	v_dual_mov_b32 v69, 0 :: v_dual_add_nc_u32 v112, 0x2000, v109
	v_add_nc_u32_e32 v113, 0x3000, v109
	v_mov_b32_e32 v23, 0
	s_add_nc_u64 s[8:9], s[8:9], s[34:35]
	s_ashr_i32 s25, s24, 31
	s_ashr_i32 s27, s26, 31
	s_wait_alu 0xfffe
	s_add_nc_u64 s[6:7], s[6:7], s[24:25]
	s_add_nc_u64 s[8:9], s[8:9], s[26:27]
	s_ashr_i32 s21, s20, 31
	s_ashr_i32 s15, s14, 31
	s_add_nc_u64 s[24:25], s[0:1], 0xd0
	s_mov_b32 s3, 0xbbbac73d
.LBB62_9:                               ; =>This Inner Loop Header: Depth=1
	s_ashr_i32 s11, s10, 31
	v_mov_b32_e32 v26, 0
	s_wait_alu 0xfffe
	s_mul_u64 s[26:27], s[10:11], s[20:21]
	s_wait_alu 0xfffe
	s_lshl_b64 s[26:27], s[26:27], 2
	s_wait_alu 0xfffe
	s_add_nc_u64 s[26:27], s[6:7], s[26:27]
	s_wait_alu 0xfffe
	v_add_co_u32 v0, vcc_lo, s26, v79
	s_wait_alu 0xfffd
	v_add_co_ci_u32_e64 v1, null, s27, v80, vcc_lo
	v_add_co_u32 v2, vcc_lo, s26, v81
	s_wait_alu 0xfffd
	v_add_co_ci_u32_e64 v3, null, s27, v82, vcc_lo
	v_add_co_u32 v0, vcc_lo, v0, v102
	s_wait_alu 0xfffd
	v_add_co_ci_u32_e64 v1, null, 0, v1, vcc_lo
	v_add_co_u32 v4, vcc_lo, v2, v102
	s_wait_alu 0xfffd
	v_add_co_ci_u32_e64 v5, null, 0, v3, vcc_lo
	v_add_co_u32 v2, vcc_lo, s26, v83
	s_wait_alu 0xfffd
	v_add_co_ci_u32_e64 v3, null, s27, v84, vcc_lo
	v_add_co_u32 v6, vcc_lo, s26, v85
	s_wait_alu 0xfffd
	v_add_co_ci_u32_e64 v7, null, s27, v86, vcc_lo
	v_add_co_u32 v8, vcc_lo, v2, v102
	s_wait_alu 0xfffd
	v_add_co_ci_u32_e64 v9, null, 0, v3, vcc_lo
	v_add_co_u32 v12, vcc_lo, v6, v102
	s_wait_alu 0xfffd
	v_add_co_ci_u32_e64 v13, null, 0, v7, vcc_lo
	s_clause 0x3
	global_load_b128 v[0:3], v[0:1], off
	global_load_b128 v[4:7], v[4:5], off
	;; [unrolled: 1-line block ×4, first 2 shown]
	s_wait_loadcnt 0x3
	ds_store_b128 v103, v[0:3]
	s_wait_loadcnt 0x2
	ds_store_b128 v104, v[4:7]
	;; [unrolled: 2-line block ×4, first 2 shown]
	s_wait_dscnt 0x0
	s_barrier_signal -1
	s_barrier_wait -1
	global_inv scope:SCOPE_SE
	ds_load_b128 v[1:4], v107
	ds_load_b128 v[5:8], v108
	ds_load_b128 v[9:12], v108 offset:512
	v_dual_mov_b32 v0, 0 :: v_dual_add_nc_u32 v13, s10, v78
	s_wait_dscnt 0x1
	;;#ASMSTART
	v_dot2_f32_f16 v0, v1, v5, v0
	;;#ASMEND
	;;#ASMSTART
	v_dot2_f32_f16 v0, v2, v6, v0
	;;#ASMEND
	;;#ASMSTART
	v_dot2_f32_f16 v0, v3, v7, v0
	;;#ASMEND
	;;#ASMSTART
	v_dot2_f32_f16 v0, v4, v8, v0
	;;#ASMEND
	s_wait_dscnt 0x0
	;;#ASMSTART
	v_dot2_f32_f16 v26, v1, v9, v26
	;;#ASMEND
	;;#ASMSTART
	v_dot2_f32_f16 v26, v2, v10, v26
	;;#ASMEND
	;;#ASMSTART
	v_dot2_f32_f16 v26, v3, v11, v26
	;;#ASMEND
	;;#ASMSTART
	v_dot2_f32_f16 v26, v4, v12, v26
	;;#ASMEND
	ds_load_b128 v[1:4], v107 offset:16
	ds_load_b128 v[5:8], v108 offset:16
	ds_load_b128 v[9:12], v108 offset:528
	s_wait_dscnt 0x1
	;;#ASMSTART
	v_dot2_f32_f16 v0, v1, v5, v0
	;;#ASMEND
	;;#ASMSTART
	v_dot2_f32_f16 v0, v2, v6, v0
	;;#ASMEND
	;;#ASMSTART
	v_dot2_f32_f16 v0, v3, v7, v0
	;;#ASMEND
	;;#ASMSTART
	v_dot2_f32_f16 v0, v4, v8, v0
	;;#ASMEND
	s_wait_dscnt 0x0
	;;#ASMSTART
	v_dot2_f32_f16 v26, v1, v9, v26
	;;#ASMEND
	;;#ASMSTART
	v_dot2_f32_f16 v26, v2, v10, v26
	;;#ASMEND
	;;#ASMSTART
	v_dot2_f32_f16 v26, v3, v11, v26
	;;#ASMEND
	;;#ASMSTART
	v_dot2_f32_f16 v26, v4, v12, v26
	;;#ASMEND
	ds_load_b128 v[1:4], v107 offset:32
	ds_load_b128 v[5:8], v108 offset:32
	ds_load_b128 v[9:12], v108 offset:544
	;; [unrolled: 29-line block ×30, first 2 shown]
	s_wait_dscnt 0x1
	;;#ASMSTART
	v_dot2_f32_f16 v0, v1, v5, v0
	;;#ASMEND
	;;#ASMSTART
	v_dot2_f32_f16 v0, v2, v6, v0
	;;#ASMEND
	;; [unrolled: 3-line block ×4, first 2 shown]
	s_wait_dscnt 0x0
	;;#ASMSTART
	v_dot2_f32_f16 v26, v1, v9, v26
	;;#ASMEND
	;;#ASMSTART
	v_dot2_f32_f16 v26, v2, v10, v26
	;;#ASMEND
	;; [unrolled: 3-line block ×4, first 2 shown]
	ds_load_b128 v[1:4], v107 offset:496
	ds_load_b128 v[5:8], v108 offset:496
	v_ashrrev_i32_e32 v14, 31, v13
	ds_load_b128 v[9:12], v108 offset:1008
	s_wait_dscnt 0x1
	;;#ASMSTART
	v_dot2_f32_f16 v0, v1, v5, v0
	;;#ASMEND
	v_lshlrev_b64_e32 v[13:14], 1, v[13:14]
	;;#ASMSTART
	v_dot2_f32_f16 v0, v2, v6, v0
	;;#ASMEND
	;;#ASMSTART
	v_dot2_f32_f16 v0, v3, v7, v0
	;;#ASMEND
	;; [unrolled: 3-line block ×3, first 2 shown]
	s_wait_dscnt 0x0
	;;#ASMSTART
	v_dot2_f32_f16 v26, v1, v9, v26
	;;#ASMEND
	;;#ASMSTART
	v_dot2_f32_f16 v26, v2, v10, v26
	;;#ASMEND
	v_add_co_u32 v13, vcc_lo, s30, v13
	s_wait_alu 0xfffd
	v_add_co_ci_u32_e64 v14, null, s31, v14, vcc_lo
	;;#ASMSTART
	v_dot2_f32_f16 v26, v3, v11, v26
	;;#ASMEND
	;;#ASMSTART
	v_dot2_f32_f16 v26, v4, v12, v26
	;;#ASMEND
	v_cmp_ngt_f32_e64 s26, 0x3f200000, |v0|
	global_load_u16 v28, v[13:14], off
                                        ; implicit-def: $vgpr1
	s_and_saveexec_b32 s27, s26
	s_wait_alu 0xfffe
	s_xor_b32 s26, exec_lo, s27
	s_cbranch_execz .LBB62_11
; %bb.10:                               ;   in Loop: Header=BB62_9 Depth=1
	v_add_f32_e64 v1, |v0|, |v0|
	s_delay_alu instid0(VALU_DEP_1) | instskip(SKIP_1) | instid1(VALU_DEP_2)
	v_mul_f32_e32 v2, 0x3fb8aa3b, v1
	v_cmp_ngt_f32_e32 vcc_lo, 0xc2ce8ed0, v1
	v_rndne_f32_e32 v3, v2
	v_fma_f32 v4, 0x3fb8aa3b, v1, -v2
	s_delay_alu instid0(VALU_DEP_2) | instskip(NEXT) | instid1(VALU_DEP_2)
	v_sub_f32_e32 v2, v2, v3
	v_fmac_f32_e32 v4, 0x32a5705f, v1
	v_cvt_i32_f32_e32 v3, v3
	s_delay_alu instid0(VALU_DEP_2) | instskip(NEXT) | instid1(VALU_DEP_1)
	v_add_f32_e32 v2, v2, v4
	v_exp_f32_e32 v2, v2
	s_delay_alu instid0(TRANS32_DEP_1) | instskip(SKIP_1) | instid1(VALU_DEP_1)
	v_ldexp_f32 v2, v2, v3
	s_wait_alu 0xfffd
	v_cndmask_b32_e32 v2, 0, v2, vcc_lo
	v_cmp_nlt_f32_e32 vcc_lo, 0x42b17218, v1
	s_wait_alu 0xfffd
	s_delay_alu instid0(VALU_DEP_2) | instskip(NEXT) | instid1(VALU_DEP_1)
	v_cndmask_b32_e32 v1, 0x7f800000, v2, vcc_lo
	v_add_f32_e32 v1, 1.0, v1
	s_delay_alu instid0(VALU_DEP_1) | instskip(NEXT) | instid1(TRANS32_DEP_1)
	v_rcp_f32_e32 v1, v1
	v_fma_f32 v1, v1, -2.0, 1.0
.LBB62_11:                              ;   in Loop: Header=BB62_9 Depth=1
	s_wait_alu 0xfffe
	s_and_not1_saveexec_b32 s26, s26
	s_cbranch_execz .LBB62_13
; %bb.12:                               ;   in Loop: Header=BB62_9 Depth=1
	v_mul_f32_e32 v1, v0, v0
	s_delay_alu instid0(VALU_DEP_1) | instskip(NEXT) | instid1(VALU_DEP_1)
	v_fmaak_f32 v2, s3, v1, 0x3ca908c9
	v_fmaak_f32 v2, v1, v2, 0xbd5c1c4e
	s_delay_alu instid0(VALU_DEP_1) | instskip(NEXT) | instid1(VALU_DEP_1)
	v_fmaak_f32 v2, v1, v2, 0x3e088382
	v_fmaak_f32 v2, v1, v2, 0xbeaaaa99
	s_delay_alu instid0(VALU_DEP_1) | instskip(NEXT) | instid1(VALU_DEP_1)
	v_mul_f32_e64 v2, |v0|, v2
	v_fma_f32 v1, v1, v2, |v0|
.LBB62_13:                              ;   in Loop: Header=BB62_9 Depth=1
	s_wait_alu 0xfffe
	s_or_b32 exec_lo, exec_lo, s26
	s_delay_alu instid0(VALU_DEP_1)
	v_bfi_b32 v0, 0x7fffffff, v1, v0
	v_xor_b32_e32 v118, 16, v100
	v_xor_b32_e32 v114, 8, v100
	;; [unrolled: 1-line block ×4, first 2 shown]
	s_wait_loadcnt 0x0
	v_fma_mix_f32 v27, s5, v0, v28 op_sel_hi:[0,0,1]
	v_cmp_gt_i32_e32 vcc_lo, 32, v118
	v_xor_b32_e32 v117, 1, v100
	v_cmp_ngt_f32_e64 s26, 0x3f200000, |v26|
                                        ; implicit-def: $vgpr36
	s_wait_alu 0xfffd
	v_dual_add_f32 v1, 0x40051340, v27 :: v_dual_cndmask_b32 v0, v100, v118
	v_max_num_f32_e32 v2, v25, v25
	v_cmp_gt_i32_e32 vcc_lo, 32, v114
	s_delay_alu instid0(VALU_DEP_2) | instskip(SKIP_3) | instid1(VALU_DEP_2)
	v_dual_max_num_f32 v0, v2, v1 :: v_dual_lshlrev_b32 v29, 2, v0
	s_wait_alu 0xfffd
	v_cndmask_b32_e32 v2, v100, v114, vcc_lo
	v_cmp_gt_i32_e32 vcc_lo, 32, v115
	v_lshlrev_b32_e32 v30, 2, v2
	s_wait_alu 0xfffd
	v_cndmask_b32_e32 v2, v100, v115, vcc_lo
	v_cmp_gt_i32_e32 vcc_lo, 32, v116
	s_delay_alu instid0(VALU_DEP_2)
	v_lshlrev_b32_e32 v31, 2, v2
	ds_bpermute_b32 v1, v29, v0
	s_wait_alu 0xfffd
	v_cndmask_b32_e32 v2, v100, v116, vcc_lo
	v_cmp_gt_i32_e32 vcc_lo, 32, v117
	s_wait_dscnt 0x0
	v_max_num_f32_e32 v1, v1, v1
	s_delay_alu instid0(VALU_DEP_1) | instskip(SKIP_3) | instid1(VALU_DEP_1)
	v_max_num_f32_e32 v0, v0, v1
	ds_bpermute_b32 v1, v30, v0
	s_wait_dscnt 0x0
	v_max_num_f32_e32 v1, v1, v1
	v_max_num_f32_e32 v0, v0, v1
	ds_bpermute_b32 v1, v31, v0
	s_wait_dscnt 0x0
	v_max_num_f32_e32 v1, v1, v1
	s_delay_alu instid0(VALU_DEP_1)
	v_max_num_f32_e32 v0, v0, v1
	v_lshlrev_b32_e32 v32, 2, v2
	s_wait_alu 0xfffd
	v_cndmask_b32_e32 v2, v100, v117, vcc_lo
	ds_bpermute_b32 v1, v32, v0
	s_wait_dscnt 0x0
	v_dual_max_num_f32 v1, v1, v1 :: v_dual_lshlrev_b32 v34, 2, v2
	s_delay_alu instid0(VALU_DEP_1)
	v_max_num_f32_e32 v33, v0, v1
	ds_bpermute_b32 v35, v34, v33
	s_and_saveexec_b32 s27, s26
	s_wait_alu 0xfffe
	s_xor_b32 s26, exec_lo, s27
	s_cbranch_execz .LBB62_15
; %bb.14:                               ;   in Loop: Header=BB62_9 Depth=1
	v_add_f32_e64 v0, |v26|, |v26|
	s_delay_alu instid0(VALU_DEP_1) | instskip(SKIP_1) | instid1(VALU_DEP_2)
	v_mul_f32_e32 v1, 0x3fb8aa3b, v0
	v_cmp_ngt_f32_e32 vcc_lo, 0xc2ce8ed0, v0
	v_rndne_f32_e32 v2, v1
	v_fma_f32 v3, 0x3fb8aa3b, v0, -v1
	s_delay_alu instid0(VALU_DEP_2) | instskip(NEXT) | instid1(VALU_DEP_2)
	v_sub_f32_e32 v1, v1, v2
	v_fmac_f32_e32 v3, 0x32a5705f, v0
	v_cvt_i32_f32_e32 v2, v2
	s_delay_alu instid0(VALU_DEP_2) | instskip(NEXT) | instid1(VALU_DEP_1)
	v_add_f32_e32 v1, v1, v3
	v_exp_f32_e32 v1, v1
	s_delay_alu instid0(TRANS32_DEP_1) | instskip(SKIP_1) | instid1(VALU_DEP_1)
	v_ldexp_f32 v1, v1, v2
	s_wait_alu 0xfffd
	v_cndmask_b32_e32 v1, 0, v1, vcc_lo
	v_cmp_nlt_f32_e32 vcc_lo, 0x42b17218, v0
	s_wait_alu 0xfffd
	s_delay_alu instid0(VALU_DEP_2) | instskip(NEXT) | instid1(VALU_DEP_1)
	v_cndmask_b32_e32 v0, 0x7f800000, v1, vcc_lo
	v_add_f32_e32 v0, 1.0, v0
	s_delay_alu instid0(VALU_DEP_1) | instskip(NEXT) | instid1(TRANS32_DEP_1)
	v_rcp_f32_e32 v0, v0
	v_fma_f32 v36, v0, -2.0, 1.0
.LBB62_15:                              ;   in Loop: Header=BB62_9 Depth=1
	s_wait_alu 0xfffe
	s_and_not1_saveexec_b32 s26, s26
	s_cbranch_execz .LBB62_17
; %bb.16:                               ;   in Loop: Header=BB62_9 Depth=1
	v_mul_f32_e32 v0, v26, v26
	s_delay_alu instid0(VALU_DEP_1) | instskip(NEXT) | instid1(VALU_DEP_1)
	v_fmaak_f32 v1, s3, v0, 0x3ca908c9
	v_fmaak_f32 v1, v0, v1, 0xbd5c1c4e
	s_delay_alu instid0(VALU_DEP_1) | instskip(NEXT) | instid1(VALU_DEP_1)
	v_fmaak_f32 v1, v0, v1, 0x3e088382
	v_fmaak_f32 v1, v0, v1, 0xbeaaaa99
	s_delay_alu instid0(VALU_DEP_1) | instskip(NEXT) | instid1(VALU_DEP_1)
	v_mul_f32_e64 v1, |v26|, v1
	v_fma_f32 v36, v0, v1, |v26|
.LBB62_17:                              ;   in Loop: Header=BB62_9 Depth=1
	s_wait_alu 0xfffe
	s_or_b32 exec_lo, exec_lo, s26
	s_mul_u64 s[26:27], s[10:11], s[14:15]
	s_wait_dscnt 0x0
	s_wait_alu 0xfffe
	s_lshl_b64 s[26:27], s[26:27], 2
	s_barrier_signal -1
	s_wait_alu 0xfffe
	s_add_nc_u64 s[26:27], s[8:9], s[26:27]
	s_barrier_wait -1
	s_wait_alu 0xfffe
	v_add_co_u32 v0, vcc_lo, s26, v87
	s_wait_alu 0xfffd
	v_add_co_ci_u32_e64 v1, null, s27, v88, vcc_lo
	v_add_co_u32 v2, vcc_lo, s26, v89
	s_wait_alu 0xfffd
	v_add_co_ci_u32_e64 v3, null, s27, v90, vcc_lo
	;; [unrolled: 3-line block ×8, first 2 shown]
	global_inv scope:SCOPE_SE
	s_clause 0x3
	global_load_b128 v[0:3], v[0:1], off
	global_load_b128 v[4:7], v[4:5], off
	;; [unrolled: 1-line block ×4, first 2 shown]
	v_cvt_f32_f16_e32 v28, v28
	v_bfi_b32 v26, 0x7fffffff, v36, v26
	v_add_nc_u32_e32 v74, 0x2800, v99
	v_add_nc_u32_e32 v53, 0x2000, v99
	;; [unrolled: 1-line block ×3, first 2 shown]
	s_delay_alu instid0(VALU_DEP_4) | instskip(SKIP_1) | instid1(VALU_DEP_2)
	v_dual_fmac_f32 v28, s5, v26 :: v_dual_add_nc_u32 v121, 0x3000, v99
	v_max_num_f32_e32 v26, v24, v24
	v_add_f32_e32 v36, 0x40051340, v28
	s_delay_alu instid0(VALU_DEP_1) | instskip(SKIP_3) | instid1(VALU_DEP_1)
	v_max_num_f32_e32 v26, v26, v36
	ds_bpermute_b32 v29, v29, v26
	s_wait_dscnt 0x0
	v_max_num_f32_e32 v29, v29, v29
	v_max_num_f32_e32 v26, v26, v29
	ds_bpermute_b32 v29, v30, v26
	s_wait_dscnt 0x0
	v_dual_max_num_f32 v30, v35, v35 :: v_dual_max_num_f32 v29, v29, v29
	s_delay_alu instid0(VALU_DEP_1) | instskip(SKIP_3) | instid1(VALU_DEP_2)
	v_max_num_f32_e32 v26, v26, v29
	ds_bpermute_b32 v29, v31, v26
	v_max_num_f32_e32 v31, v33, v33
	v_add_nc_u32_e32 v33, 0x800, v99
	v_max_num_f32_e32 v95, v31, v30
	v_add_nc_u32_e32 v31, v110, v98
	s_delay_alu instid0(VALU_DEP_2) | instskip(NEXT) | instid1(VALU_DEP_1)
	v_sub_f32_e32 v25, v25, v95
	v_dual_sub_f32 v27, v27, v95 :: v_dual_mul_f32 v30, 0x3fb8aa3b, v25
	v_cmp_ngt_f32_e32 vcc_lo, 0xc2ce8ed0, v25
	s_wait_dscnt 0x0
	v_max_num_f32_e32 v29, v29, v29
	s_delay_alu instid0(VALU_DEP_1) | instskip(SKIP_2) | instid1(VALU_DEP_1)
	v_max_num_f32_e32 v26, v26, v29
	ds_bpermute_b32 v29, v32, v26
	v_mul_f32_e32 v32, 0x3fb8aa3b, v27
	v_rndne_f32_e32 v35, v32
	s_wait_dscnt 0x0
	v_max_num_f32_e32 v29, v29, v29
	s_delay_alu instid0(VALU_DEP_1) | instskip(SKIP_4) | instid1(VALU_DEP_1)
	v_max_num_f32_e32 v26, v26, v29
	ds_bpermute_b32 v29, v34, v26
	v_fma_f32 v34, 0x3fb8aa3b, v25, -v30
	s_wait_dscnt 0x0
	v_max_num_f32_e32 v29, v29, v29
	v_max_num_f32_e32 v96, v26, v29
	v_fma_f32 v29, 0x3fb8aa3b, v27, -v32
	v_rndne_f32_e32 v26, v30
	v_sub_f32_e32 v32, v32, v35
	s_delay_alu instid0(VALU_DEP_3) | instskip(NEXT) | instid1(VALU_DEP_3)
	v_dual_fmac_f32 v29, 0x32a5705f, v27 :: v_dual_sub_f32 v28, v28, v96
	v_sub_f32_e32 v30, v30, v26
	v_cvt_i32_f32_e32 v26, v26
	v_sub_f32_e32 v24, v24, v96
	s_delay_alu instid0(VALU_DEP_4) | instskip(NEXT) | instid1(VALU_DEP_1)
	v_dual_add_f32 v29, v32, v29 :: v_dual_mul_f32 v38, 0x3fb8aa3b, v28
	v_exp_f32_e32 v29, v29
	s_delay_alu instid0(VALU_DEP_1) | instskip(SKIP_2) | instid1(VALU_DEP_2)
	v_fma_f32 v39, 0x3fb8aa3b, v28, -v38
	v_fmac_f32_e32 v34, 0x32a5705f, v25
	v_rndne_f32_e32 v40, v38
	v_dual_fmac_f32 v39, 0x32a5705f, v28 :: v_dual_add_f32 v30, v30, v34
	s_delay_alu instid0(VALU_DEP_2) | instskip(NEXT) | instid1(VALU_DEP_2)
	v_sub_f32_e32 v38, v38, v40
	v_exp_f32_e32 v30, v30
	s_delay_alu instid0(TRANS32_DEP_1) | instskip(SKIP_1) | instid1(VALU_DEP_1)
	v_ldexp_f32 v26, v30, v26
	s_wait_alu 0xfffd
	v_cndmask_b32_e32 v26, 0, v26, vcc_lo
	v_cmp_nlt_f32_e32 vcc_lo, 0x42b17218, v25
	s_wait_alu 0xfffd
	s_delay_alu instid0(VALU_DEP_2) | instskip(SKIP_2) | instid1(VALU_DEP_1)
	v_cndmask_b32_e32 v25, 0x7f800000, v26, vcc_lo
	v_cmp_ngt_f32_e32 vcc_lo, 0xc2ce8ed0, v27
	v_mul_f32_e32 v36, 0x3fb8aa3b, v24
	v_fma_f32 v32, 0x3fb8aa3b, v24, -v36
	v_rndne_f32_e32 v34, v36
	s_delay_alu instid0(VALU_DEP_2) | instskip(NEXT) | instid1(VALU_DEP_2)
	v_fmac_f32_e32 v32, 0x32a5705f, v24
	v_sub_f32_e32 v36, v36, v34
	v_cvt_i32_f32_e32 v34, v34
	s_delay_alu instid0(VALU_DEP_2) | instskip(SKIP_1) | instid1(VALU_DEP_2)
	v_add_f32_e32 v32, v36, v32
	v_add_f32_e32 v36, v38, v39
	v_exp_f32_e32 v30, v32
	v_cvt_i32_f32_e32 v32, v35
	s_delay_alu instid0(VALU_DEP_2) | instskip(NEXT) | instid1(VALU_DEP_1)
	v_exp_f32_e32 v35, v36
	v_ldexp_f32 v29, v29, v32
	v_cvt_i32_f32_e32 v32, v40
	s_delay_alu instid0(TRANS32_DEP_2) | instskip(SKIP_1) | instid1(VALU_DEP_3)
	v_ldexp_f32 v26, v30, v34
	s_wait_alu 0xfffd
	v_cndmask_b32_e32 v29, 0, v29, vcc_lo
	v_cmp_ngt_f32_e32 vcc_lo, 0xc2ce8ed0, v24
	s_delay_alu instid0(TRANS32_DEP_1)
	v_ldexp_f32 v30, v35, v32
	v_cvt_f16_f32_e32 v32, v25
	s_wait_alu 0xfffd
	v_cndmask_b32_e32 v26, 0, v26, vcc_lo
	v_cmp_ngt_f32_e32 vcc_lo, 0xc2ce8ed0, v28
	s_wait_alu 0xfffd
	v_cndmask_b32_e32 v30, 0, v30, vcc_lo
	v_cmp_nlt_f32_e32 vcc_lo, 0x42b17218, v24
	s_wait_alu 0xfffd
	v_cndmask_b32_e32 v24, 0x7f800000, v26, vcc_lo
	v_cmp_nlt_f32_e32 vcc_lo, 0x42b17218, v27
	v_and_b32_e32 v26, 0xffff, v32
	s_delay_alu instid0(VALU_DEP_3)
	v_cvt_f16_f32_e32 v27, v24
	s_wait_alu 0xfffd
	v_cndmask_b32_e32 v120, 0x7f800000, v29, vcc_lo
	v_cmp_nlt_f32_e32 vcc_lo, 0x42b17218, v28
	v_mul_u32_u24_e32 v166, 0x10001, v26
	v_and_b32_e32 v27, 0xffff, v27
	s_delay_alu instid0(VALU_DEP_4)
	v_cvt_f16_f32_e32 v28, v120
	s_wait_alu 0xfffd
	v_cndmask_b32_e32 v119, 0x7f800000, v30, vcc_lo
	v_pk_mul_f16 v75, v21, v166
	v_add_nc_u32_e32 v52, 0x1800, v99
	v_mul_u32_u24_e32 v167, 0x10001, v27
	v_fmac_f32_e32 v120, v22, v25
	v_cvt_f16_f32_e32 v26, v119
	v_pk_mul_f16 v168, v19, v166
	v_pk_mul_f16 v169, v20, v166
	v_fmac_f32_e32 v119, v23, v24
	v_pk_mul_f16 v170, v18, v167
	v_pack_b32_f16 v21, v28, v26
	v_pk_mul_f16 v171, v17, v167
	v_pk_mul_f16 v172, v16, v167
	ds_store_b32 v31, v21
	s_wait_loadcnt 0x3
	ds_store_b128 v109, v[0:3]
	s_wait_loadcnt 0x2
	ds_store_b128 v111, v[4:7]
	;; [unrolled: 2-line block ×4, first 2 shown]
	s_wait_dscnt 0x0
	s_barrier_signal -1
	s_barrier_wait -1
	global_inv scope:SCOPE_SE
	ds_load_2addr_b64 v[70:73], v99 offset1:32
	ds_load_b128 v[122:125], v110
	ds_load_b128 v[126:129], v110 offset:16
	ds_load_b128 v[130:133], v110 offset:32
	;; [unrolled: 1-line block ×3, first 2 shown]
	ds_load_2addr_b64 v[138:141], v99 offset0:64 offset1:96
	ds_load_2addr_b64 v[142:145], v99 offset0:128 offset1:160
	ds_load_2addr_b64 v[146:149], v99 offset0:192 offset1:224
	ds_load_2addr_b64 v[150:153], v33 offset1:32
	ds_load_2addr_b64 v[154:157], v33 offset0:64 offset1:96
	ds_load_2addr_b64 v[60:63], v33 offset0:128 offset1:160
	ds_load_2addr_b64 v[56:59], v33 offset0:192 offset1:224
	ds_load_2addr_b64 v[48:51], v37 offset1:32
	;; [unrolled: 4-line block ×5, first 2 shown]
	ds_load_b128 v[158:161], v110 offset:64
	ds_load_b128 v[162:165], v110 offset:80
	ds_load_2addr_b64 v[52:55], v74 offset0:64 offset1:96
	ds_load_2addr_b64 v[64:67], v74 offset0:128 offset1:160
	s_wait_dscnt 0x1b
	v_lshrrev_b32_e32 v173, 16, v122
	v_and_b32_e32 v122, 0xffff, v122
	v_lshrrev_b32_e32 v176, 16, v125
	v_and_b32_e32 v177, 0xffff, v125
	v_lshrrev_b32_e32 v174, 16, v123
	v_mul_u32_u24_e32 v125, 0x10001, v173
	v_mul_u32_u24_e32 v122, 0x10001, v122
	v_and_b32_e32 v123, 0xffff, v123
	s_wait_dscnt 0x1a
	v_lshrrev_b32_e32 v178, 16, v126
	v_and_b32_e32 v179, 0xffff, v126
	v_lshrrev_b32_e32 v180, 16, v127
	v_and_b32_e32 v181, 0xffff, v127
	;; [unrolled: 2-line block ×3, first 2 shown]
	v_pk_fma_f16 v126, v71, v122, v75
	v_pk_fma_f16 v127, v72, v122, v168
	;; [unrolled: 1-line block ×3, first 2 shown]
	v_pk_mul_f16 v122, v70, v122
	v_pk_mul_f16 v70, v70, v125
	v_lshrrev_b32_e32 v175, 16, v124
	v_and_b32_e32 v124, 0xffff, v124
	v_lshrrev_b32_e32 v184, 16, v129
	v_and_b32_e32 v185, 0xffff, v129
	s_wait_dscnt 0x19
	v_lshrrev_b32_e32 v186, 16, v130
	v_and_b32_e32 v187, 0xffff, v130
	v_lshrrev_b32_e32 v188, 16, v131
	v_and_b32_e32 v189, 0xffff, v131
	;; [unrolled: 2-line block ×3, first 2 shown]
	v_pk_fma_f16 v129, v71, v125, v170
	v_pk_fma_f16 v130, v72, v125, v171
	;; [unrolled: 1-line block ×3, first 2 shown]
	v_mul_u32_u24_e32 v123, 0x10001, v123
	v_pk_fma_f16 v122, v69, v166, v122
	v_pk_fma_f16 v125, v68, v167, v70
	v_mul_u32_u24_e32 v132, 0x10001, v174
	v_lshrrev_b32_e32 v192, 16, v133
	v_and_b32_e32 v193, 0xffff, v133
	s_wait_dscnt 0x17
	v_pk_fma_f16 v126, v139, v123, v126
	v_pk_fma_f16 v127, v140, v123, v127
	;; [unrolled: 1-line block ×8, first 2 shown]
	v_mul_u32_u24_e32 v123, 0x10001, v124
	v_mul_u32_u24_e32 v133, 0x10001, v175
	v_lshrrev_b32_e32 v194, 16, v134
	v_and_b32_e32 v195, 0xffff, v134
	v_lshrrev_b32_e32 v196, 16, v135
	v_and_b32_e32 v197, 0xffff, v135
	;; [unrolled: 2-line block ×4, first 2 shown]
	s_wait_dscnt 0x3
	v_lshrrev_b32_e32 v138, 16, v159
	v_and_b32_e32 v139, 0xffff, v159
	v_lshrrev_b32_e32 v140, 16, v160
	v_and_b32_e32 v141, 0xffff, v160
	;; [unrolled: 2-line block ×3, first 2 shown]
	v_pk_fma_f16 v134, v143, v123, v126
	v_pk_fma_f16 v135, v144, v123, v127
	;; [unrolled: 1-line block ×4, first 2 shown]
	v_mul_u32_u24_e32 v161, 0x10001, v177
	v_pk_fma_f16 v143, v143, v133, v129
	v_pk_fma_f16 v130, v144, v133, v130
	;; [unrolled: 1-line block ×4, first 2 shown]
	v_mul_u32_u24_e32 v133, 0x10001, v176
	s_wait_dscnt 0x2
	v_lshrrev_b32_e32 v142, 16, v162
	v_pk_fma_f16 v134, v147, v161, v134
	v_pk_fma_f16 v135, v148, v161, v135
	;; [unrolled: 1-line block ×4, first 2 shown]
	v_and_b32_e32 v144, 0xffff, v162
	v_pk_fma_f16 v143, v147, v133, v143
	v_pk_fma_f16 v145, v148, v133, v130
	;; [unrolled: 1-line block ×4, first 2 shown]
	v_lshrrev_b32_e32 v148, 16, v163
	v_and_b32_e32 v149, 0xffff, v163
	v_lshrrev_b32_e32 v161, 16, v164
	v_mul_u32_u24_e32 v130, 0x10001, v179
	v_and_b32_e32 v162, 0xffff, v164
	v_lshrrev_b32_e32 v163, 16, v165
	v_and_b32_e32 v164, 0xffff, v165
	v_mul_u32_u24_e32 v165, 0x10001, v178
	v_pk_fma_f16 v167, v151, v130, v134
	v_pk_fma_f16 v172, v152, v130, v135
	v_pk_fma_f16 v173, v153, v130, v136
	v_pk_fma_f16 v174, v150, v130, v137
	v_mul_u32_u24_e32 v175, 0x10001, v181
	v_pk_fma_f16 v143, v151, v165, v143
	v_pk_fma_f16 v145, v152, v165, v145
	v_pk_fma_f16 v147, v153, v165, v147
	v_pk_fma_f16 v146, v150, v165, v146
	;; [unrolled: 5-line block ×3, first 2 shown]
	v_pk_fma_f16 v143, v155, v151, v143
	v_pk_fma_f16 v145, v156, v151, v145
	;; [unrolled: 1-line block ×4, first 2 shown]
	v_mul_u32_u24_e32 v155, 0x10001, v183
	v_mul_u32_u24_e32 v156, 0x10001, v182
	v_mul_u32_u24_e32 v157, 0x10001, v185
	v_mul_u32_u24_e32 v172, 0x10001, v184
	v_mul_u32_u24_e32 v173, 0x10001, v187
	v_pk_fma_f16 v152, v61, v155, v152
	v_pk_fma_f16 v153, v62, v155, v153
	;; [unrolled: 1-line block ×8, first 2 shown]
	v_mul_u32_u24_e32 v174, 0x10001, v186
	v_pk_fma_f16 v145, v57, v157, v152
	v_pk_fma_f16 v146, v58, v157, v153
	v_pk_fma_f16 v147, v59, v157, v165
	v_pk_fma_f16 v57, v57, v172, v61
	v_pk_fma_f16 v58, v58, v172, v62
	v_pk_fma_f16 v59, v59, v172, v63
	v_pk_fma_f16 v61, v56, v157, v143
	v_pk_fma_f16 v56, v56, v172, v60
	v_mul_u32_u24_e32 v175, 0x10001, v189
	v_mul_u32_u24_e32 v176, 0x10001, v188
	v_pk_fma_f16 v60, v49, v173, v145
	v_pk_fma_f16 v62, v50, v173, v146
	v_pk_fma_f16 v63, v51, v173, v147
	v_pk_fma_f16 v49, v49, v174, v57
	v_pk_fma_f16 v50, v50, v174, v58
	v_pk_fma_f16 v51, v51, v174, v59
	v_pk_fma_f16 v57, v48, v173, v61
	v_pk_fma_f16 v48, v48, v174, v56
	v_mul_u32_u24_e32 v177, 0x10001, v191
	;; [unrolled: 10-line block ×6, first 2 shown]
	v_mul_u32_u24_e32 v168, 0x10001, v168
	v_pk_fma_f16 v36, v29, v183, v40
	v_pk_fma_f16 v29, v29, v184, v33
	;; [unrolled: 1-line block ×8, first 2 shown]
	v_lshrrev_b32_e32 v166, 16, v158
	v_and_b32_e32 v158, 0xffff, v158
	v_mul_u32_u24_e32 v171, 0x10001, v171
	v_mul_u32_u24_e32 v170, 0x10001, v170
	v_pk_fma_f16 v32, v25, v169, v36
	v_pk_fma_f16 v25, v25, v168, v29
	v_pk_fma_f16 v29, v26, v169, v33
	v_pk_fma_f16 v26, v26, v168, v30
	v_pk_fma_f16 v30, v27, v169, v34
	v_pk_fma_f16 v27, v27, v168, v31
	v_pk_fma_f16 v31, v24, v169, v35
	v_pk_fma_f16 v24, v24, v168, v28
	v_mul_u32_u24_e32 v158, 0x10001, v158
	v_mul_u32_u24_e32 v166, 0x10001, v166
	v_pk_fma_f16 v28, v17, v171, v32
	v_pk_fma_f16 v17, v17, v170, v25
	v_pk_fma_f16 v25, v18, v171, v29
	v_pk_fma_f16 v18, v18, v170, v26
	v_pk_fma_f16 v26, v19, v171, v30
	v_pk_fma_f16 v19, v19, v170, v27
	v_pk_fma_f16 v27, v16, v171, v31
	v_pk_fma_f16 v16, v16, v170, v24
	;; [unrolled: 10-line block ×4, first 2 shown]
	ds_load_b128 v[122:125], v110 offset:96
	ds_load_b128 v[134:137], v110 offset:112
	v_mul_u32_u24_e32 v160, 0x10001, v160
	v_mul_u32_u24_e32 v159, 0x10001, v159
	v_pk_fma_f16 v8, v1, v141, v16
	v_pk_fma_f16 v1, v1, v140, v5
	v_pk_fma_f16 v5, v2, v141, v9
	v_pk_fma_f16 v2, v2, v140, v6
	v_pk_fma_f16 v6, v3, v141, v10
	v_pk_fma_f16 v3, v3, v140, v7
	v_pk_fma_f16 v7, v0, v141, v11
	v_pk_fma_f16 v0, v0, v140, v4
	ds_load_2addr_b64 v[72:75], v74 offset0:192 offset1:224
	v_mul_u32_u24_e32 v144, 0x10001, v144
	v_mul_u32_u24_e32 v142, 0x10001, v142
	v_pk_fma_f16 v1, v13, v159, v1
	v_pk_fma_f16 v2, v14, v159, v2
	;; [unrolled: 1-line block ×4, first 2 shown]
	ds_load_2addr_b64 v[68:71], v121 offset1:32
	v_mul_u32_u24_e32 v149, 0x10001, v149
	v_mul_u32_u24_e32 v148, 0x10001, v148
	v_pk_fma_f16 v4, v13, v160, v8
	v_pk_fma_f16 v3, v15, v159, v3
	;; [unrolled: 1-line block ×6, first 2 shown]
	ds_load_2addr_b64 v[126:129], v121 offset0:64 offset1:96
	v_mul_u32_u24_e32 v162, 0x10001, v162
	v_mul_u32_u24_e32 v161, 0x10001, v161
	v_pk_fma_f16 v5, v14, v160, v5
	v_pk_fma_f16 v6, v15, v160, v6
	;; [unrolled: 1-line block ×4, first 2 shown]
	s_wait_dscnt 0x6
	v_pk_fma_f16 v1, v53, v148, v1
	v_pk_fma_f16 v2, v54, v148, v2
	;; [unrolled: 1-line block ×4, first 2 shown]
	s_wait_dscnt 0x4
	v_lshrrev_b32_e32 v150, 16, v122
	v_and_b32_e32 v122, 0xffff, v122
	v_mul_u32_u24_e32 v164, 0x10001, v164
	v_mul_u32_u24_e32 v163, 0x10001, v163
	v_pk_fma_f16 v5, v22, v144, v5
	v_pk_fma_f16 v6, v23, v144, v6
	;; [unrolled: 1-line block ×8, first 2 shown]
	ds_load_2addr_b64 v[130:133], v121 offset0:128 offset1:160
	v_lshrrev_b32_e32 v151, 16, v123
	v_and_b32_e32 v123, 0xffff, v123
	v_mul_u32_u24_e32 v122, 0x10001, v122
	v_mul_u32_u24_e32 v150, 0x10001, v150
	v_pk_fma_f16 v5, v54, v149, v5
	v_pk_fma_f16 v6, v55, v149, v6
	;; [unrolled: 1-line block ×4, first 2 shown]
	s_wait_dscnt 0x3
	v_pk_fma_f16 v1, v73, v163, v1
	v_pk_fma_f16 v2, v74, v163, v2
	;; [unrolled: 1-line block ×4, first 2 shown]
	v_mul_u32_u24_e32 v123, 0x10001, v123
	v_mul_u32_u24_e32 v151, 0x10001, v151
	v_pk_fma_f16 v5, v66, v162, v5
	v_pk_fma_f16 v6, v67, v162, v6
	;; [unrolled: 1-line block ×4, first 2 shown]
	s_wait_dscnt 0x2
	v_pk_fma_f16 v1, v69, v150, v1
	v_pk_fma_f16 v8, v70, v150, v2
	;; [unrolled: 1-line block ×4, first 2 shown]
	v_and_b32_e32 v154, 0xffff, v124
	v_pk_fma_f16 v5, v74, v164, v5
	v_pk_fma_f16 v6, v75, v164, v6
	v_pk_fma_f16 v4, v69, v122, v4
	v_pk_fma_f16 v7, v71, v150, v3
	s_wait_dscnt 0x1
	v_pk_fma_f16 v9, v126, v123, v2
	v_pk_fma_f16 v10, v126, v151, v0
	;; [unrolled: 1-line block ×3, first 2 shown]
	ds_load_2addr_b64 v[0:3], v121 offset0:192 offset1:224
	v_pk_fma_f16 v5, v70, v122, v5
	v_pk_fma_f16 v6, v71, v122, v6
	;; [unrolled: 1-line block ×3, first 2 shown]
	v_mul_u32_u24_e32 v13, 0x10001, v154
	v_add_nc_u32_e32 v17, 0x3800, v99
	v_lshrrev_b32_e32 v124, 16, v124
	v_pk_fma_f16 v12, v128, v123, v5
	v_pk_fma_f16 v15, v129, v123, v6
	;; [unrolled: 1-line block ×3, first 2 shown]
	s_wait_dscnt 0x1
	v_pk_fma_f16 v18, v131, v13, v4
	v_and_b32_e32 v19, 0xffff, v125
	ds_load_2addr_b64 v[4:7], v17 offset1:32
	v_mul_u32_u24_e32 v14, 0x10001, v124
	v_lshrrev_b32_e32 v20, 16, v125
	v_pk_fma_f16 v8, v128, v151, v8
	v_mul_u32_u24_e32 v19, 0x10001, v19
	v_pk_fma_f16 v9, v130, v13, v9
	v_pk_fma_f16 v10, v130, v14, v10
	;; [unrolled: 1-line block ×3, first 2 shown]
	v_mul_u32_u24_e32 v20, 0x10001, v20
	v_pk_fma_f16 v21, v132, v14, v8
	v_pk_fma_f16 v14, v133, v14, v16
	s_wait_dscnt 0x1
	v_pk_fma_f16 v16, v1, v19, v18
	v_and_b32_e32 v18, 0xffff, v134
	v_lshrrev_b32_e32 v22, 16, v134
	v_pk_fma_f16 v12, v132, v13, v12
	v_pk_fma_f16 v13, v133, v13, v15
	;; [unrolled: 1-line block ×5, first 2 shown]
	ds_load_2addr_b64 v[8:11], v17 offset0:64 offset1:96
	v_mul_u32_u24_e32 v18, 0x10001, v18
	v_mul_u32_u24_e32 v22, 0x10001, v22
	v_pk_fma_f16 v12, v2, v19, v12
	v_pk_fma_f16 v2, v2, v20, v21
	;; [unrolled: 1-line block ×4, first 2 shown]
	s_wait_dscnt 0x1
	v_pk_fma_f16 v15, v4, v18, v15
	v_pk_fma_f16 v4, v4, v22, v0
	v_and_b32_e32 v0, 0xffff, v135
	v_lshrrev_b32_e32 v3, 16, v135
	v_pk_fma_f16 v16, v5, v18, v16
	v_pk_fma_f16 v5, v5, v22, v1
	;; [unrolled: 1-line block ×4, first 2 shown]
	v_mul_u32_u24_e32 v19, 0x10001, v0
	v_mul_u32_u24_e32 v20, 0x10001, v3
	ds_load_2addr_b64 v[0:3], v17 offset0:128 offset1:160
	v_pk_fma_f16 v13, v7, v18, v13
	v_pk_fma_f16 v7, v7, v22, v14
	s_wait_dscnt 0x1
	v_pk_fma_f16 v14, v8, v19, v15
	v_pk_fma_f16 v8, v8, v20, v4
	;; [unrolled: 1-line block ×8, first 2 shown]
	ds_load_2addr_b64 v[4:7], v17 offset0:192 offset1:224
	s_wait_loadcnt_dscnt 0x0
	s_barrier_signal -1
	s_barrier_wait -1
	global_inv scope:SCOPE_SE
	s_load_b32 s11, s[24:25], 0x4
	v_and_b32_e32 v16, 0xffff, v136
	v_lshrrev_b32_e32 v18, 16, v136
	s_delay_alu instid0(VALU_DEP_2) | instskip(NEXT) | instid1(VALU_DEP_2)
	v_mul_u32_u24_e32 v16, 0x10001, v16
	v_mul_u32_u24_e32 v17, 0x10001, v18
	v_lshrrev_b32_e32 v18, 16, v137
	s_delay_alu instid0(VALU_DEP_3) | instskip(NEXT) | instid1(VALU_DEP_3)
	v_pk_fma_f16 v14, v0, v16, v14
	v_pk_fma_f16 v0, v0, v17, v8
	v_and_b32_e32 v8, 0xffff, v137
	v_pk_fma_f16 v15, v1, v16, v15
	v_pk_fma_f16 v1, v1, v17, v9
	;; [unrolled: 1-line block ×3, first 2 shown]
	v_mul_u32_u24_e32 v12, 0x10001, v18
	v_mul_u32_u24_e32 v8, 0x10001, v8
	v_pk_fma_f16 v2, v2, v17, v10
	v_pk_fma_f16 v10, v3, v16, v13
	;; [unrolled: 1-line block ×3, first 2 shown]
	s_wait_kmcnt 0x0
	s_lshl_b32 s11, s11, 5
	v_pk_fma_f16 v69, v4, v8, v14
	v_pk_fma_f16 v68, v4, v12, v0
	;; [unrolled: 1-line block ×8, first 2 shown]
	s_wait_alu 0xfffe
	s_add_co_i32 s10, s11, s10
	s_wait_alu 0xfffe
	s_cmp_ge_i32 s10, s28
	s_cbranch_scc1 .LBB62_19
; %bb.18:                               ;   in Loop: Header=BB62_9 Depth=1
	v_dual_mov_b32 v25, v95 :: v_dual_mov_b32 v24, v96
	v_dual_mov_b32 v22, v120 :: v_dual_mov_b32 v23, v119
	s_branch .LBB62_9
.LBB62_19:
	v_mov_b32_e32 v3, v100
.LBB62_20:
	v_cmp_lt_i32_e32 vcc_lo, v118, v101
	s_cmp_lg_u64 s[12:13], 0
	s_cselect_b32 s3, -1, 0
	s_cmp_eq_u32 s4, 0
	s_wait_alu 0xfffd
	v_cndmask_b32_e32 v0, v3, v118, vcc_lo
	v_cmp_lt_i32_e32 vcc_lo, v114, v101
	s_cselect_b32 s5, -1, 0
	s_wait_alu 0xfffe
	s_and_b32 s3, s5, s3
	s_wait_alu 0xfffd
	v_cndmask_b32_e32 v2, v3, v114, vcc_lo
	v_cmp_lt_i32_e32 vcc_lo, v115, v101
	s_wait_alu 0xfffd
	v_dual_cndmask_b32 v5, v3, v115 :: v_dual_lshlrev_b32 v0, 2, v0
	ds_bpermute_b32 v1, v0, v120
	ds_bpermute_b32 v0, v0, v119
	v_cmp_lt_i32_e32 vcc_lo, v116, v101
	v_lshlrev_b32_e32 v5, 2, v5
	s_wait_dscnt 0x1
	v_dual_add_f32 v1, v120, v1 :: v_dual_lshlrev_b32 v2, 2, v2
	s_wait_dscnt 0x0
	v_add_f32_e32 v0, v119, v0
	ds_bpermute_b32 v4, v2, v1
	s_wait_dscnt 0x0
	v_add_f32_e32 v1, v1, v4
	ds_bpermute_b32 v2, v2, v0
	;; [unrolled: 3-line block ×3, first 2 shown]
	ds_bpermute_b32 v4, v5, v0
	s_wait_alu 0xfffd
	v_cndmask_b32_e32 v5, v3, v116, vcc_lo
	v_cmp_lt_i32_e32 vcc_lo, v117, v101
	s_delay_alu instid0(VALU_DEP_2)
	v_lshlrev_b32_e32 v5, 2, v5
	s_wait_dscnt 0x0
	v_dual_add_f32 v1, v1, v2 :: v_dual_add_f32 v0, v0, v4
	ds_bpermute_b32 v2, v5, v1
	ds_bpermute_b32 v4, v5, v0
	s_wait_alu 0xfffd
	v_cndmask_b32_e32 v3, v3, v117, vcc_lo
	s_wait_alu 0xfffe
	s_and_b32 vcc_lo, exec_lo, s3
	s_wait_dscnt 0x0
	v_dual_add_f32 v1, v1, v2 :: v_dual_add_f32 v2, v0, v4
	v_lshlrev_b32_e32 v3, 2, v3
	ds_bpermute_b32 v0, v3, v1
	s_wait_dscnt 0x0
	v_add_f32_e32 v0, v1, v0
	ds_bpermute_b32 v3, v3, v2
	s_wait_dscnt 0x0
	v_add_f32_e32 v1, v2, v3
	s_wait_alu 0xfffe
	s_cbranch_vccz .LBB62_23
; %bb.21:
	v_add_nc_u32_e32 v2, s33, v97
	s_delay_alu instid0(VALU_DEP_1) | instskip(NEXT) | instid1(VALU_DEP_1)
	v_ashrrev_i32_e32 v3, 31, v2
	v_lshlrev_b64_e32 v[2:3], 2, v[2:3]
	s_delay_alu instid0(VALU_DEP_1) | instskip(SKIP_1) | instid1(VALU_DEP_2)
	v_add_co_u32 v2, vcc_lo, s12, v2
	s_wait_alu 0xfffd
	v_add_co_ci_u32_e64 v3, null, s13, v3, vcc_lo
	global_load_b64 v[2:3], v[2:3], off
	v_max_num_f32_e32 v4, v95, v95
	s_wait_loadcnt 0x0
	v_dual_max_num_f32 v6, v96, v96 :: v_dual_max_num_f32 v5, v2, v2
	s_delay_alu instid0(VALU_DEP_1) | instskip(NEXT) | instid1(VALU_DEP_1)
	v_dual_max_num_f32 v7, v3, v3 :: v_dual_max_num_f32 v4, v4, v5
	v_dual_max_num_f32 v5, v6, v7 :: v_dual_sub_f32 v6, v95, v4
	s_delay_alu instid0(VALU_DEP_1) | instskip(SKIP_2) | instid1(VALU_DEP_4)
	v_sub_f32_e32 v7, v96, v5
	v_dual_sub_f32 v3, v3, v5 :: v_dual_sub_f32 v2, v2, v4
	v_mov_b32_e32 v96, v5
	v_cmp_ngt_f32_e32 vcc_lo, 0xc2ce8ed0, v6
	s_delay_alu instid0(VALU_DEP_4) | instskip(NEXT) | instid1(VALU_DEP_4)
	v_mul_f32_e32 v10, 0x3fb8aa3b, v7
	v_mul_f32_e32 v11, 0x3fb8aa3b, v3
	;; [unrolled: 1-line block ×3, first 2 shown]
	v_mov_b32_e32 v95, v4
	s_delay_alu instid0(VALU_DEP_4) | instskip(NEXT) | instid1(VALU_DEP_4)
	v_fma_f32 v22, 0x3fb8aa3b, v7, -v10
	v_fma_f32 v24, 0x3fb8aa3b, v3, -v11
	s_delay_alu instid0(VALU_DEP_4)
	v_rndne_f32_e32 v15, v9
	v_mul_f32_e32 v8, 0x3fb8aa3b, v6
	v_fma_f32 v14, 0x3fb8aa3b, v2, -v9
	v_rndne_f32_e32 v25, v11
	v_fmac_f32_e32 v24, 0x32a5705f, v3
	v_sub_f32_e32 v9, v9, v15
	v_fma_f32 v12, 0x3fb8aa3b, v6, -v8
	v_rndne_f32_e32 v13, v8
	v_sub_f32_e32 v11, v11, v25
	v_rndne_f32_e32 v23, v10
	v_fmac_f32_e32 v14, 0x32a5705f, v2
	v_fmac_f32_e32 v12, 0x32a5705f, v6
	s_delay_alu instid0(VALU_DEP_4) | instskip(NEXT) | instid1(VALU_DEP_3)
	v_dual_fmac_f32 v22, 0x32a5705f, v7 :: v_dual_add_f32 v11, v11, v24
	v_dual_sub_f32 v8, v8, v13 :: v_dual_add_f32 v9, v9, v14
	v_sub_f32_e32 v10, v10, v23
	v_cvt_i32_f32_e32 v14, v23
	s_delay_alu instid0(VALU_DEP_4) | instskip(NEXT) | instid1(VALU_DEP_3)
	v_exp_f32_e32 v11, v11
	v_add_f32_e32 v8, v8, v12
	v_cvt_i32_f32_e32 v12, v13
	v_add_f32_e32 v10, v10, v22
	v_exp_f32_e32 v9, v9
	v_cvt_i32_f32_e32 v13, v15
	v_exp_f32_e32 v8, v8
	s_delay_alu instid0(VALU_DEP_2)
	v_exp_f32_e32 v10, v10
	s_delay_alu instid0(TRANS32_DEP_3) | instid1(VALU_DEP_1)
	v_ldexp_f32 v9, v9, v13
	s_delay_alu instid0(TRANS32_DEP_2) | instskip(SKIP_1) | instid1(TRANS32_DEP_1)
	v_ldexp_f32 v8, v8, v12
	v_cvt_i32_f32_e32 v12, v25
	v_ldexp_f32 v10, v10, v14
	s_wait_alu 0xfffd
	s_delay_alu instid0(VALU_DEP_3)
	v_cndmask_b32_e32 v8, 0, v8, vcc_lo
	v_cmp_ngt_f32_e32 vcc_lo, 0xc2ce8ed0, v7
	v_ldexp_f32 v11, v11, v12
	s_wait_alu 0xfffd
	v_cndmask_b32_e32 v10, 0, v10, vcc_lo
	v_cmp_nlt_f32_e32 vcc_lo, 0x42b17218, v6
	s_wait_alu 0xfffd
	v_cndmask_b32_e32 v6, 0x7f800000, v8, vcc_lo
	v_cmp_ngt_f32_e32 vcc_lo, 0xc2ce8ed0, v2
	s_wait_alu 0xfffd
	v_cndmask_b32_e32 v8, 0, v9, vcc_lo
	v_cmp_nlt_f32_e32 vcc_lo, 0x42b17218, v7
	v_cvt_f16_f32_e32 v9, v6
	s_wait_alu 0xfffd
	v_cndmask_b32_e32 v7, 0x7f800000, v10, vcc_lo
	v_cmp_ngt_f32_e32 vcc_lo, 0xc2ce8ed0, v3
	s_wait_alu 0xfffd
	v_dual_cndmask_b32 v10, 0, v11 :: v_dual_and_b32 v9, 0xffff, v9
	v_cmp_nlt_f32_e32 vcc_lo, 0x42b17218, v2
	s_wait_alu 0xfffd
	v_cndmask_b32_e32 v2, 0x7f800000, v8, vcc_lo
	v_cvt_f16_f32_e32 v8, v7
	v_cmp_nlt_f32_e32 vcc_lo, 0x42b17218, v3
	s_delay_alu instid0(VALU_DEP_3) | instskip(NEXT) | instid1(VALU_DEP_3)
	v_fmac_f32_e32 v2, v0, v6
	v_and_b32_e32 v6, 0xffff, v8
	s_wait_alu 0xfffd
	v_cndmask_b32_e32 v3, 0x7f800000, v10, vcc_lo
	v_mul_u32_u24_e32 v8, 0x10001, v9
	s_delay_alu instid0(VALU_DEP_2) | instskip(SKIP_1) | instid1(VALU_DEP_3)
	v_dual_mov_b32 v0, v2 :: v_dual_fmac_f32 v3, v1, v7
	v_mul_u32_u24_e32 v1, 0x10001, v6
	v_pk_mul_f16 v69, v69, v8
	v_pk_mul_f16 v21, v21, v8
	;; [unrolled: 1-line block ×8, first 2 shown]
	v_mov_b32_e32 v1, v3
	s_mov_b32 s3, exec_lo
	v_cmpx_gt_i32_e64 s22, v76
	s_cbranch_execnz .LBB62_24
.LBB62_22:
	s_nop 0
	s_sendmsg sendmsg(MSG_DEALLOC_VGPRS)
	s_endpgm
.LBB62_23:
	s_delay_alu instid0(VALU_DEP_1)
	v_dual_mov_b32 v3, v1 :: v_dual_mov_b32 v2, v0
	s_mov_b32 s3, exec_lo
	v_cmpx_gt_i32_e64 s22, v76
	s_cbranch_execz .LBB62_22
.LBB62_24:
	s_load_b32 s1, s[0:1], 0xd4
	v_mov_b32_e32 v6, 1.0
	s_wait_kmcnt 0x0
	s_cmp_lg_u32 s1, 1
	s_cselect_b32 s5, -1, 0
	s_cmp_eq_u32 s1, 1
	s_cselect_b32 s3, -1, 0
	s_wait_alu 0xfffe
	s_and_b32 vcc_lo, exec_lo, s5
	s_wait_alu 0xfffe
	s_cbranch_vccnz .LBB62_26
; %bb.25:
	v_div_scale_f32 v4, null, v0, v0, 1.0
	s_delay_alu instid0(VALU_DEP_1) | instskip(NEXT) | instid1(TRANS32_DEP_1)
	v_rcp_f32_e32 v5, v4
	v_fma_f32 v6, -v4, v5, 1.0
	s_delay_alu instid0(VALU_DEP_1) | instskip(SKIP_1) | instid1(VALU_DEP_1)
	v_fmac_f32_e32 v5, v6, v5
	v_div_scale_f32 v6, vcc_lo, 1.0, v0, 1.0
	v_mul_f32_e32 v7, v6, v5
	s_delay_alu instid0(VALU_DEP_1) | instskip(NEXT) | instid1(VALU_DEP_1)
	v_fma_f32 v8, -v4, v7, v6
	v_fmac_f32_e32 v7, v8, v5
	s_delay_alu instid0(VALU_DEP_1) | instskip(SKIP_1) | instid1(VALU_DEP_1)
	v_fma_f32 v4, -v4, v7, v6
	s_wait_alu 0xfffd
	v_div_fmas_f32 v4, v4, v5, v7
	s_delay_alu instid0(VALU_DEP_1)
	v_div_fixup_f32 v6, v4, v0, 1.0
.LBB62_26:
	v_mad_co_u64_u32 v[4:5], null, s2, s22, v[76:77]
	v_lshrrev_b32_e32 v7, 16, v21
	v_cvt_f32_f16_e32 v8, v21
	v_lshrrev_b32_e32 v10, 16, v69
	v_lshrrev_b32_e32 v12, 16, v20
	v_cvt_f32_f16_e32 v11, v69
	v_cvt_f32_f16_e32 v14, v19
	v_mul_lo_u32 v0, v4, s23
	v_cvt_f32_f16_e32 v15, v7
	v_mul_f32_e32 v9, v6, v8
	v_cvt_f32_f16_e32 v8, v10
	v_cvt_f32_f16_e32 v12, v12
	v_mul_f32_e32 v7, v6, v11
	v_mul_f32_e32 v11, v6, v14
	;; [unrolled: 1-line block ×3, first 2 shown]
	v_add3_u32 v0, s33, v97, v0
	v_mul_f32_e32 v8, v6, v8
	v_mul_f32_e32 v14, v6, v12
	v_cmp_eq_u32_e32 vcc_lo, 0, v77
	s_delay_alu instid0(VALU_DEP_4) | instskip(SKIP_2) | instid1(VALU_DEP_2)
	v_mad_co_u64_u32 v[4:5], null, s1, v0, s[4:5]
	v_cvt_f32_f16_e32 v0, v20
	v_lshrrev_b32_e32 v5, 16, v19
	v_mul_f32_e32 v13, v6, v0
	s_delay_alu instid0(VALU_DEP_4) | instskip(SKIP_1) | instid1(VALU_DEP_4)
	v_lshl_add_u32 v20, v4, 8, v98
	v_mov_b32_e32 v21, 0
	v_cvt_f32_f16_e32 v0, v5
	s_delay_alu instid0(VALU_DEP_2) | instskip(SKIP_1) | instid1(VALU_DEP_3)
	v_lshlrev_b64_e32 v[22:23], 2, v[20:21]
	v_add_nc_u32_e32 v20, 0x80, v20
	v_mul_f32_e32 v12, v6, v0
	s_delay_alu instid0(VALU_DEP_2) | instskip(NEXT) | instid1(VALU_DEP_4)
	v_lshlrev_b64_e32 v[5:6], 2, v[20:21]
	v_add_co_u32 v19, s0, s16, v22
	s_wait_alu 0xf1ff
	v_add_co_ci_u32_e64 v20, null, s17, v23, s0
	s_delay_alu instid0(VALU_DEP_3)
	v_add_co_u32 v5, s0, s16, v5
	s_wait_alu 0xf1ff
	v_add_co_ci_u32_e64 v6, null, s17, v6, s0
	s_and_b32 s0, vcc_lo, s5
	s_clause 0x1
	global_store_b128 v[19:20], v[7:10], off
	global_store_b128 v[5:6], v[11:14], off
	s_wait_alu 0xfffe
	s_and_saveexec_b32 s2, s0
	s_cbranch_execz .LBB62_28
; %bb.27:
	v_ashrrev_i32_e32 v5, 31, v4
	v_dual_mov_b32 v7, v95 :: v_dual_mov_b32 v8, v2
	s_delay_alu instid0(VALU_DEP_2) | instskip(NEXT) | instid1(VALU_DEP_1)
	v_lshlrev_b64_e32 v[5:6], 3, v[4:5]
	v_add_co_u32 v5, vcc_lo, s18, v5
	s_wait_alu 0xfffd
	s_delay_alu instid0(VALU_DEP_2)
	v_add_co_ci_u32_e64 v6, null, s19, v6, vcc_lo
	global_store_b64 v[5:6], v[7:8], off
.LBB62_28:
	s_wait_alu 0xfffe
	s_or_b32 exec_lo, exec_lo, s2
	v_mov_b32_e32 v2, 1.0
	s_and_not1_b32 vcc_lo, exec_lo, s3
	s_wait_alu 0xfffe
	s_cbranch_vccnz .LBB62_30
; %bb.29:
	v_div_scale_f32 v0, null, v1, v1, 1.0
	s_delay_alu instid0(VALU_DEP_1) | instskip(NEXT) | instid1(TRANS32_DEP_1)
	v_rcp_f32_e32 v2, v0
	v_fma_f32 v5, -v0, v2, 1.0
	s_delay_alu instid0(VALU_DEP_1) | instskip(SKIP_1) | instid1(VALU_DEP_1)
	v_fmac_f32_e32 v2, v5, v2
	v_div_scale_f32 v5, vcc_lo, 1.0, v1, 1.0
	v_mul_f32_e32 v6, v5, v2
	s_delay_alu instid0(VALU_DEP_1) | instskip(NEXT) | instid1(VALU_DEP_1)
	v_fma_f32 v7, -v0, v6, v5
	v_fmac_f32_e32 v6, v7, v2
	s_delay_alu instid0(VALU_DEP_1) | instskip(SKIP_1) | instid1(VALU_DEP_1)
	v_fma_f32 v0, -v0, v6, v5
	s_wait_alu 0xfffd
	v_div_fmas_f32 v0, v0, v2, v6
	s_delay_alu instid0(VALU_DEP_1)
	v_div_fixup_f32 v2, v0, v1, 1.0
.LBB62_30:
	v_dual_mov_b32 v9, 0 :: v_dual_add_nc_u32 v0, s1, v4
	v_lshrrev_b32_e32 v1, 16, v18
	v_lshrrev_b32_e32 v4, 16, v68
	v_cvt_f32_f16_e32 v5, v18
	s_delay_alu instid0(VALU_DEP_4)
	v_lshl_add_u32 v8, v0, 8, v98
	v_cvt_f32_f16_e32 v12, v68
	v_cvt_f32_f16_e32 v1, v1
	;; [unrolled: 1-line block ×3, first 2 shown]
	v_lshrrev_b32_e32 v14, 16, v17
	v_lshlrev_b64_e32 v[10:11], 2, v[8:9]
	s_delay_alu instid0(VALU_DEP_4)
	v_dual_mul_f32 v7, v2, v1 :: v_dual_add_nc_u32 v8, 0x80, v8
	v_lshrrev_b32_e32 v1, 16, v16
	v_mul_f32_e32 v6, v2, v5
	v_mul_f32_e32 v5, v2, v4
	;; [unrolled: 1-line block ×3, first 2 shown]
	v_add_co_u32 v12, vcc_lo, s16, v10
	v_cvt_f32_f16_e32 v10, v16
	v_cvt_f32_f16_e32 v16, v14
	v_lshlrev_b64_e32 v[14:15], 2, v[8:9]
	v_cvt_f32_f16_e32 v1, v1
	v_cvt_f32_f16_e32 v17, v17
	s_wait_alu 0xfffd
	v_add_co_ci_u32_e64 v13, null, s17, v11, vcc_lo
	v_mul_f32_e32 v10, v2, v10
	v_mul_f32_e32 v11, v2, v1
	v_add_co_u32 v1, vcc_lo, s16, v14
	v_mul_f32_e32 v9, v2, v16
	v_mul_f32_e32 v8, v2, v17
	s_wait_alu 0xfffd
	v_add_co_ci_u32_e64 v2, null, s17, v15, vcc_lo
	s_clause 0x1
	global_store_b128 v[12:13], v[4:7], off
	global_store_b128 v[1:2], v[8:11], off
	s_and_b32 exec_lo, exec_lo, s0
	s_cbranch_execz .LBB62_22
; %bb.31:
	v_ashrrev_i32_e32 v1, 31, v0
	v_mov_b32_e32 v2, v96
	s_delay_alu instid0(VALU_DEP_2) | instskip(NEXT) | instid1(VALU_DEP_1)
	v_lshlrev_b64_e32 v[0:1], 3, v[0:1]
	v_add_co_u32 v0, vcc_lo, s18, v0
	s_wait_alu 0xfffd
	s_delay_alu instid0(VALU_DEP_2)
	v_add_co_ci_u32_e64 v1, null, s19, v1, vcc_lo
	global_store_b64 v[0:1], v[2:3], off
	s_nop 0
	s_sendmsg sendmsg(MSG_DEALLOC_VGPRS)
	s_endpgm
	.section	.rodata,"a",@progbits
	.p2align	6, 0x0
	.amdhsa_kernel _ZL15flash_attn_tileILi256ELi256ELi4ELi4ELb1EEvPKcS1_S1_S1_S1_PKiPfP15HIP_vector_typeIfLj2EEffffjfiS5_IjLj3EEiiiiiiiiiiiliiliiiiil
		.amdhsa_group_segment_fixed_size 26112
		.amdhsa_private_segment_fixed_size 0
		.amdhsa_kernarg_size 464
		.amdhsa_user_sgpr_count 2
		.amdhsa_user_sgpr_dispatch_ptr 0
		.amdhsa_user_sgpr_queue_ptr 0
		.amdhsa_user_sgpr_kernarg_segment_ptr 1
		.amdhsa_user_sgpr_dispatch_id 0
		.amdhsa_user_sgpr_private_segment_size 0
		.amdhsa_wavefront_size32 1
		.amdhsa_uses_dynamic_stack 0
		.amdhsa_enable_private_segment 0
		.amdhsa_system_sgpr_workgroup_id_x 1
		.amdhsa_system_sgpr_workgroup_id_y 1
		.amdhsa_system_sgpr_workgroup_id_z 1
		.amdhsa_system_sgpr_workgroup_info 0
		.amdhsa_system_vgpr_workitem_id 1
		.amdhsa_next_free_vgpr 198
		.amdhsa_next_free_sgpr 42
		.amdhsa_reserve_vcc 1
		.amdhsa_float_round_mode_32 0
		.amdhsa_float_round_mode_16_64 0
		.amdhsa_float_denorm_mode_32 3
		.amdhsa_float_denorm_mode_16_64 3
		.amdhsa_fp16_overflow 0
		.amdhsa_workgroup_processor_mode 1
		.amdhsa_memory_ordered 1
		.amdhsa_forward_progress 1
		.amdhsa_inst_pref_size 83
		.amdhsa_round_robin_scheduling 0
		.amdhsa_exception_fp_ieee_invalid_op 0
		.amdhsa_exception_fp_denorm_src 0
		.amdhsa_exception_fp_ieee_div_zero 0
		.amdhsa_exception_fp_ieee_overflow 0
		.amdhsa_exception_fp_ieee_underflow 0
		.amdhsa_exception_fp_ieee_inexact 0
		.amdhsa_exception_int_div_zero 0
	.end_amdhsa_kernel
	.section	.text._ZL15flash_attn_tileILi256ELi256ELi4ELi4ELb1EEvPKcS1_S1_S1_S1_PKiPfP15HIP_vector_typeIfLj2EEffffjfiS5_IjLj3EEiiiiiiiiiiiliiliiiiil,"axG",@progbits,_ZL15flash_attn_tileILi256ELi256ELi4ELi4ELb1EEvPKcS1_S1_S1_S1_PKiPfP15HIP_vector_typeIfLj2EEffffjfiS5_IjLj3EEiiiiiiiiiiiliiliiiiil,comdat
.Lfunc_end62:
	.size	_ZL15flash_attn_tileILi256ELi256ELi4ELi4ELb1EEvPKcS1_S1_S1_S1_PKiPfP15HIP_vector_typeIfLj2EEffffjfiS5_IjLj3EEiiiiiiiiiiiliiliiiiil, .Lfunc_end62-_ZL15flash_attn_tileILi256ELi256ELi4ELi4ELb1EEvPKcS1_S1_S1_S1_PKiPfP15HIP_vector_typeIfLj2EEffffjfiS5_IjLj3EEiiiiiiiiiiiliiliiiiil
                                        ; -- End function
	.set _ZL15flash_attn_tileILi256ELi256ELi4ELi4ELb1EEvPKcS1_S1_S1_S1_PKiPfP15HIP_vector_typeIfLj2EEffffjfiS5_IjLj3EEiiiiiiiiiiiliiliiiiil.num_vgpr, 198
	.set _ZL15flash_attn_tileILi256ELi256ELi4ELi4ELb1EEvPKcS1_S1_S1_S1_PKiPfP15HIP_vector_typeIfLj2EEffffjfiS5_IjLj3EEiiiiiiiiiiiliiliiiiil.num_agpr, 0
	.set _ZL15flash_attn_tileILi256ELi256ELi4ELi4ELb1EEvPKcS1_S1_S1_S1_PKiPfP15HIP_vector_typeIfLj2EEffffjfiS5_IjLj3EEiiiiiiiiiiiliiliiiiil.numbered_sgpr, 42
	.set _ZL15flash_attn_tileILi256ELi256ELi4ELi4ELb1EEvPKcS1_S1_S1_S1_PKiPfP15HIP_vector_typeIfLj2EEffffjfiS5_IjLj3EEiiiiiiiiiiiliiliiiiil.num_named_barrier, 0
	.set _ZL15flash_attn_tileILi256ELi256ELi4ELi4ELb1EEvPKcS1_S1_S1_S1_PKiPfP15HIP_vector_typeIfLj2EEffffjfiS5_IjLj3EEiiiiiiiiiiiliiliiiiil.private_seg_size, 0
	.set _ZL15flash_attn_tileILi256ELi256ELi4ELi4ELb1EEvPKcS1_S1_S1_S1_PKiPfP15HIP_vector_typeIfLj2EEffffjfiS5_IjLj3EEiiiiiiiiiiiliiliiiiil.uses_vcc, 1
	.set _ZL15flash_attn_tileILi256ELi256ELi4ELi4ELb1EEvPKcS1_S1_S1_S1_PKiPfP15HIP_vector_typeIfLj2EEffffjfiS5_IjLj3EEiiiiiiiiiiiliiliiiiil.uses_flat_scratch, 0
	.set _ZL15flash_attn_tileILi256ELi256ELi4ELi4ELb1EEvPKcS1_S1_S1_S1_PKiPfP15HIP_vector_typeIfLj2EEffffjfiS5_IjLj3EEiiiiiiiiiiiliiliiiiil.has_dyn_sized_stack, 0
	.set _ZL15flash_attn_tileILi256ELi256ELi4ELi4ELb1EEvPKcS1_S1_S1_S1_PKiPfP15HIP_vector_typeIfLj2EEffffjfiS5_IjLj3EEiiiiiiiiiiiliiliiiiil.has_recursion, 0
	.set _ZL15flash_attn_tileILi256ELi256ELi4ELi4ELb1EEvPKcS1_S1_S1_S1_PKiPfP15HIP_vector_typeIfLj2EEffffjfiS5_IjLj3EEiiiiiiiiiiiliiliiiiil.has_indirect_call, 0
	.section	.AMDGPU.csdata,"",@progbits
; Kernel info:
; codeLenInByte = 10616
; TotalNumSgprs: 44
; NumVgprs: 198
; ScratchSize: 0
; MemoryBound: 0
; FloatMode: 240
; IeeeMode: 1
; LDSByteSize: 26112 bytes/workgroup (compile time only)
; SGPRBlocks: 0
; VGPRBlocks: 24
; NumSGPRsForWavesPerEU: 44
; NumVGPRsForWavesPerEU: 198
; Occupancy: 7
; WaveLimiterHint : 1
; COMPUTE_PGM_RSRC2:SCRATCH_EN: 0
; COMPUTE_PGM_RSRC2:USER_SGPR: 2
; COMPUTE_PGM_RSRC2:TRAP_HANDLER: 0
; COMPUTE_PGM_RSRC2:TGID_X_EN: 1
; COMPUTE_PGM_RSRC2:TGID_Y_EN: 1
; COMPUTE_PGM_RSRC2:TGID_Z_EN: 1
; COMPUTE_PGM_RSRC2:TIDIG_COMP_CNT: 1
	.section	.text._ZL15flash_attn_tileILi256ELi256ELi2ELi4ELb1EEvPKcS1_S1_S1_S1_PKiPfP15HIP_vector_typeIfLj2EEffffjfiS5_IjLj3EEiiiiiiiiiiiliiliiiiil,"axG",@progbits,_ZL15flash_attn_tileILi256ELi256ELi2ELi4ELb1EEvPKcS1_S1_S1_S1_PKiPfP15HIP_vector_typeIfLj2EEffffjfiS5_IjLj3EEiiiiiiiiiiiliiliiiiil,comdat
	.globl	_ZL15flash_attn_tileILi256ELi256ELi2ELi4ELb1EEvPKcS1_S1_S1_S1_PKiPfP15HIP_vector_typeIfLj2EEffffjfiS5_IjLj3EEiiiiiiiiiiiliiliiiiil ; -- Begin function _ZL15flash_attn_tileILi256ELi256ELi2ELi4ELb1EEvPKcS1_S1_S1_S1_PKiPfP15HIP_vector_typeIfLj2EEffffjfiS5_IjLj3EEiiiiiiiiiiiliiliiiiil
	.p2align	8
	.type	_ZL15flash_attn_tileILi256ELi256ELi2ELi4ELb1EEvPKcS1_S1_S1_S1_PKiPfP15HIP_vector_typeIfLj2EEffffjfiS5_IjLj3EEiiiiiiiiiiiliiliiiiil,@function
_ZL15flash_attn_tileILi256ELi256ELi2ELi4ELb1EEvPKcS1_S1_S1_S1_PKiPfP15HIP_vector_typeIfLj2EEffffjfiS5_IjLj3EEiiiiiiiiiiiliiliiiiil: ; @_ZL15flash_attn_tileILi256ELi256ELi2ELi4ELb1EEvPKcS1_S1_S1_S1_PKiPfP15HIP_vector_typeIfLj2EEffffjfiS5_IjLj3EEiiiiiiiiiiiliiliiiiil
; %bb.0:
	s_clause 0x1
	s_load_b128 s[20:23], s[0:1], 0x5c
	s_load_b64 s[28:29], s[0:1], 0x80
	s_lshr_b32 s5, ttmp7, 16
	s_load_b64 s[36:37], s[0:1], 0xb8
	s_mov_b32 s35, 0
	s_mov_b64 s[30:31], 0
	s_wait_kmcnt 0x0
	s_ashr_i32 s2, s23, 31
	s_delay_alu instid0(SALU_CYCLE_1) | instskip(NEXT) | instid1(SALU_CYCLE_1)
	s_lshr_b32 s2, s2, 30
	s_add_co_i32 s2, s23, s2
	s_delay_alu instid0(SALU_CYCLE_1) | instskip(NEXT) | instid1(SALU_CYCLE_1)
	s_ashr_i32 s2, s2, 2
	s_cvt_f32_u32 s3, s2
	s_sub_co_i32 s4, 0, s2
	s_delay_alu instid0(SALU_CYCLE_2) | instskip(NEXT) | instid1(TRANS32_DEP_1)
	v_rcp_iflag_f32_e32 v1, s3
	v_readfirstlane_b32 s3, v1
	s_mul_f32 s3, s3, 0x4f7ffffe
	s_wait_alu 0xfffe
	s_delay_alu instid0(SALU_CYCLE_2) | instskip(SKIP_1) | instid1(SALU_CYCLE_2)
	s_cvt_u32_f32 s3, s3
	s_wait_alu 0xfffe
	s_mul_i32 s4, s4, s3
	s_delay_alu instid0(SALU_CYCLE_1) | instskip(NEXT) | instid1(SALU_CYCLE_1)
	s_mul_hi_u32 s4, s3, s4
	s_add_co_i32 s3, s3, s4
	s_wait_alu 0xfffe
	s_mul_hi_u32 s3, s5, s3
	s_wait_alu 0xfffe
	s_mul_i32 s4, s3, s2
	s_add_co_i32 s6, s3, 1
	s_sub_co_i32 s4, s5, s4
	s_delay_alu instid0(SALU_CYCLE_1)
	s_sub_co_i32 s7, s4, s2
	s_cmp_ge_u32 s4, s2
	s_cselect_b32 s3, s6, s3
	s_cselect_b32 s4, s7, s4
	s_wait_alu 0xfffe
	s_add_co_i32 s6, s3, 1
	s_cmp_ge_u32 s4, s2
	s_cselect_b32 s2, s6, s3
	s_abs_i32 s3, s29
	s_abs_i32 s8, s23
	s_wait_alu 0xfffe
	s_cvt_f32_u32 s4, s3
	s_sub_co_i32 s6, 0, s3
	s_lshl_b32 s5, s5, 2
	s_mul_i32 s7, s2, s23
	v_rcp_iflag_f32_e32 v1, s4
	s_sub_co_i32 s33, s5, s7
	s_xor_b32 s5, s23, s29
	s_wait_alu 0xfffe
	s_ashr_i32 s24, s5, 31
	s_delay_alu instid0(TRANS32_DEP_1) | instskip(SKIP_2) | instid1(SALU_CYCLE_2)
	v_readfirstlane_b32 s4, v1
	s_mul_f32 s4, s4, 0x4f7ffffe
	s_wait_alu 0xfffe
	s_cvt_u32_f32 s4, s4
	s_wait_alu 0xfffe
	s_delay_alu instid0(SALU_CYCLE_2) | instskip(NEXT) | instid1(SALU_CYCLE_1)
	s_mul_i32 s6, s6, s4
	s_mul_hi_u32 s6, s4, s6
	s_delay_alu instid0(SALU_CYCLE_1) | instskip(SKIP_4) | instid1(SALU_CYCLE_1)
	s_add_co_i32 s4, s4, s6
	s_wait_alu 0xfffe
	s_mul_hi_u32 s4, s8, s4
	s_wait_alu 0xfffe
	s_mul_i32 s6, s4, s3
	s_sub_co_i32 s5, s8, s6
	s_add_co_i32 s6, s4, 1
	s_wait_alu 0xfffe
	s_sub_co_i32 s7, s5, s3
	s_cmp_ge_u32 s5, s3
	s_cselect_b32 s4, s6, s4
	s_cselect_b32 s5, s7, s5
	s_wait_alu 0xfffe
	s_add_co_i32 s6, s4, 1
	s_cmp_ge_u32 s5, s3
	s_cselect_b32 s3, s6, s4
	s_load_b512 s[4:19], s[0:1], 0x0
	s_xor_b32 s3, s3, s24
	s_wait_alu 0xfffe
	s_sub_co_i32 s38, s3, s24
	s_delay_alu instid0(SALU_CYCLE_1) | instskip(NEXT) | instid1(SALU_CYCLE_1)
	s_abs_i32 s29, s38
	s_cvt_f32_u32 s3, s29
	s_wait_alu 0xfffe
	s_delay_alu instid0(SALU_CYCLE_2) | instskip(SKIP_2) | instid1(TRANS32_DEP_1)
	v_rcp_iflag_f32_e32 v1, s3
	s_wait_kmcnt 0x0
	s_cmp_eq_u64 s[10:11], 0
	v_readfirstlane_b32 s27, v1
	s_cbranch_scc1 .LBB63_2
; %bb.1:
	s_abs_i32 s3, s36
	s_wait_alu 0xfffe
	s_cvt_f32_u32 s24, s3
	s_delay_alu instid0(SALU_CYCLE_3) | instskip(NEXT) | instid1(TRANS32_DEP_1)
	v_rcp_iflag_f32_e32 v1, s24
	v_readfirstlane_b32 s24, v1
	s_mul_f32 s24, s24, 0x4f7ffffe
	s_wait_alu 0xfffe
	s_delay_alu instid0(SALU_CYCLE_2) | instskip(SKIP_2) | instid1(SALU_CYCLE_1)
	s_cvt_u32_f32 s26, s24
	s_sub_co_i32 s24, 0, s3
	s_wait_alu 0xfffe
	s_mul_i32 s24, s24, s26
	s_wait_alu 0xfffe
	s_mul_hi_u32 s30, s26, s24
	s_load_b64 s[24:25], s[0:1], 0xc8
	s_add_co_i32 s26, s26, s30
	s_delay_alu instid0(SALU_CYCLE_1) | instskip(NEXT) | instid1(SALU_CYCLE_1)
	s_mul_hi_u32 s26, s2, s26
	s_mul_i32 s26, s26, s3
	s_delay_alu instid0(SALU_CYCLE_1) | instskip(NEXT) | instid1(SALU_CYCLE_1)
	s_sub_co_i32 s26, s2, s26
	s_sub_co_i32 s30, s26, s3
	s_cmp_ge_u32 s26, s3
	s_cselect_b32 s26, s30, s26
	s_delay_alu instid0(SALU_CYCLE_1) | instskip(SKIP_2) | instid1(SALU_CYCLE_1)
	s_sub_co_i32 s30, s26, s3
	s_cmp_ge_u32 s26, s3
	s_cselect_b32 s30, s30, s26
	s_ashr_i32 s31, s30, 31
	s_wait_kmcnt 0x0
	s_mul_u64 s[24:25], s[24:25], s[30:31]
	s_wait_alu 0xfffe
	s_add_nc_u64 s[30:31], s[10:11], s[24:25]
.LBB63_2:
	v_lshrrev_b32_e32 v1, 10, v0
	s_load_b96 s[24:26], s[0:1], 0x70
	v_bfe_u32 v4, v0, 10, 10
	s_delay_alu instid0(VALU_DEP_2) | instskip(NEXT) | instid1(VALU_DEP_2)
	v_bfe_u32 v1, v1, 1, 9
	v_lshlrev_b32_e32 v3, 1, v4
	s_delay_alu instid0(VALU_DEP_2) | instskip(NEXT) | instid1(VALU_DEP_2)
	v_lshl_add_u32 v1, ttmp9, 1, v1
	v_or_b32_e32 v21, 1, v3
	v_and_b32_e32 v37, 2, v3
	s_delay_alu instid0(VALU_DEP_3) | instskip(NEXT) | instid1(VALU_DEP_3)
	v_mul_hi_u32 v2, s20, v1
	v_and_b32_e32 v11, 3, v21
	s_wait_kmcnt 0x0
	s_mul_i32 s10, s33, s25
	s_mov_b32 s20, s25
	s_delay_alu instid0(VALU_DEP_2) | instskip(SKIP_1) | instid1(VALU_DEP_1)
	v_add_nc_u32_e32 v2, v1, v2
	s_ashr_i32 s11, s10, 31
	v_lshrrev_b32_e32 v2, s21, v2
	s_ashr_i32 s21, s25, 31
	s_ashr_i32 s25, s24, 31
	s_wait_alu 0xfffe
	s_lshr_b64 s[40:41], s[24:25], 2
	v_mul_lo_u32 v2, v2, s22
	s_lshr_b32 s3, s25, 2
	s_mul_i32 s24, s2, s26
	s_wait_alu 0xfffe
	s_ashr_i32 s25, s24, 31
	s_wait_alu 0xfffe
	s_add_nc_u64 s[4:5], s[4:5], s[24:25]
	s_wait_alu 0xfffe
	s_add_nc_u64 s[4:5], s[4:5], s[10:11]
	v_sub_nc_u32_e32 v2, v1, v2
	s_delay_alu instid0(VALU_DEP_1) | instskip(SKIP_4) | instid1(VALU_DEP_1)
	v_mad_co_u64_u32 v[5:6], null, s40, v2, 0
	s_lshr_b64 s[40:41], s[20:21], 2
	s_wait_alu 0xfffe
	v_mad_co_u64_u32 v[9:10], null, s40, v37, 0
	v_mov_b32_e32 v3, v6
	v_mad_co_u64_u32 v[6:7], null, s3, v2, v[3:4]
	v_mad_co_u64_u32 v[7:8], null, s40, v11, 0
	s_lshr_b32 s3, s21, 2
	v_and_b32_e32 v0, 0x3ff, v0
	s_wait_alu 0xfffe
	v_mul_lo_u32 v12, s3, v37
	s_cmp_eq_u64 s[14:15], 0
	v_lshlrev_b64_e32 v[5:6], 2, v[5:6]
	v_mov_b32_e32 v3, v8
	v_lshlrev_b32_e32 v13, 4, v0
	v_lshlrev_b32_e32 v39, 3, v0
	v_or_b32_e32 v10, v10, v12
	s_delay_alu instid0(VALU_DEP_4) | instskip(SKIP_1) | instid1(VALU_DEP_1)
	v_mad_co_u64_u32 v[11:12], null, s3, v11, v[3:4]
	v_add_co_u32 v3, vcc_lo, s4, v5
	v_add_co_ci_u32_e64 v8, null, s5, v6, vcc_lo
	s_delay_alu instid0(VALU_DEP_4) | instskip(NEXT) | instid1(VALU_DEP_3)
	v_lshlrev_b64_e32 v[5:6], 2, v[9:10]
	v_add_co_u32 v3, vcc_lo, v3, v13
	s_wait_alu 0xfffd
	s_delay_alu instid0(VALU_DEP_3) | instskip(SKIP_1) | instid1(VALU_DEP_3)
	v_add_co_ci_u32_e64 v13, null, 0, v8, vcc_lo
	v_mov_b32_e32 v8, v11
	v_add_co_u32 v9, vcc_lo, v3, v5
	s_wait_alu 0xfffd
	s_delay_alu instid0(VALU_DEP_3) | instskip(NEXT) | instid1(VALU_DEP_3)
	v_add_co_ci_u32_e64 v10, null, v13, v6, vcc_lo
	v_lshlrev_b64_e32 v[11:12], 2, v[7:8]
	s_load_b32 s3, s[0:1], 0x40
	v_add_nc_u32_e32 v22, 0x4200, v39
	global_load_b128 v[5:8], v[9:10], off
	v_add_co_u32 v17, vcc_lo, v3, v11
	s_wait_alu 0xfffd
	v_add_co_ci_u32_e64 v18, null, v13, v12, vcc_lo
	s_clause 0x2
	global_load_b128 v[9:12], v[9:10], off offset:512
	global_load_b128 v[13:16], v[17:18], off
	global_load_b128 v[17:20], v[17:18], off offset:512
	v_lshlrev_b32_e32 v3, 10, v4
	v_lshl_add_u32 v21, v21, 9, v22
	s_delay_alu instid0(VALU_DEP_2)
	v_add_nc_u32_e32 v23, v22, v3
	s_wait_loadcnt 0x3
	s_wait_kmcnt 0x0
	v_fma_mixlo_f16 v5, s3, v5, 0
	v_fma_mixlo_f16 v6, s3, v6, 0
	;; [unrolled: 1-line block ×4, first 2 shown]
	s_delay_alu instid0(VALU_DEP_4) | instskip(NEXT) | instid1(VALU_DEP_4)
	v_and_b32_e32 v5, 0xffff, v5
	v_lshlrev_b32_e32 v6, 16, v6
	s_wait_loadcnt 0x2
	v_fma_mixlo_f16 v9, s3, v9, 0
	v_fma_mixlo_f16 v10, s3, v10, 0
	;; [unrolled: 1-line block ×4, first 2 shown]
	s_wait_loadcnt 0x1
	v_fma_mixlo_f16 v13, s3, v13, 0
	v_fma_mixlo_f16 v14, s3, v14, 0
	s_wait_loadcnt 0x0
	v_fma_mixlo_f16 v17, s3, v17, 0
	v_fma_mixlo_f16 v18, s3, v18, 0
	v_lshlrev_b32_e32 v8, 16, v8
	v_and_b32_e32 v7, 0xffff, v7
	v_lshlrev_b32_e32 v10, 16, v10
	v_and_b32_e32 v9, 0xffff, v9
	v_fma_mixlo_f16 v15, s3, v15, 0
	v_fma_mixlo_f16 v16, s3, v16, 0
	;; [unrolled: 1-line block ×4, first 2 shown]
	v_lshlrev_b32_e32 v12, 16, v12
	v_and_b32_e32 v11, 0xffff, v11
	v_lshlrev_b32_e32 v14, 16, v14
	v_and_b32_e32 v13, 0xffff, v13
	;; [unrolled: 2-line block ×3, first 2 shown]
	v_or_b32_e32 v5, v6, v5
	v_or3_b32 v6, v8, v7, 0
	v_or_b32_e32 v7, v10, v9
	v_lshlrev_b32_e32 v16, 16, v16
	v_and_b32_e32 v15, 0xffff, v15
	v_lshlrev_b32_e32 v20, 16, v20
	v_and_b32_e32 v19, 0xffff, v19
	v_or3_b32 v8, v12, v11, 0
	v_or_b32_e32 v9, v14, v13
	v_or_b32_e32 v11, v18, v17
	v_or3_b32 v5, 0, 0, v5
	v_or3_b32 v7, 0, 0, v7
	;; [unrolled: 1-line block ×6, first 2 shown]
	ds_store_2addr_b64 v23, v[5:6], v[7:8] offset1:32
	ds_store_2addr_b64 v21, v[9:10], v[11:12] offset1:32
	s_wait_dscnt 0x0
	s_barrier_signal -1
	s_barrier_wait -1
	global_inv scope:SCOPE_SE
	s_cbranch_scc1 .LBB63_4
; %bb.3:
	s_load_b32 s3, s[0:1], 0xd0
	s_mov_b32 s5, 0
	s_wait_kmcnt 0x0
	s_mul_i32 s3, s3, s2
	s_wait_alu 0xfffe
	s_add_co_i32 s4, s3, ttmp9
	s_wait_alu 0xfffe
	s_lshl_b64 s[4:5], s[4:5], 2
	s_wait_alu 0xfffe
	s_add_nc_u64 s[4:5], s[14:15], s[4:5]
	s_load_b32 s28, s[4:5], 0x0
.LBB63_4:
	s_and_b32 s4, ttmp7, 0xffff
	v_lshlrev_b32_e32 v38, 2, v0
	v_mbcnt_lo_u32_b32 v40, -1, 0
	s_wait_alu 0xfffe
	s_lshl_b32 s10, s4, 5
	s_wait_kmcnt 0x0
	s_cmp_lt_i32 s10, s28
	s_cbranch_scc1 .LBB63_7
; %bb.5:
	v_mbcnt_lo_u32_b32 v5, -1, 0
	v_mov_b32_e32 v42, 32
	s_delay_alu instid0(VALU_DEP_2)
	v_xor_b32_e32 v78, 16, v5
	v_xor_b32_e32 v74, 8, v5
	;; [unrolled: 1-line block ×5, first 2 shown]
	s_mov_b32 s3, 0
	s_cbranch_execz .LBB63_8
; %bb.6:
	v_dual_mov_b32 v64, 0 :: v_dual_mov_b32 v79, 0
	v_dual_mov_b32 v36, 0xfeffffff :: v_dual_mov_b32 v35, 0xfeffffff
	;; [unrolled: 1-line block ×6, first 2 shown]
	s_branch .LBB63_20
.LBB63_7:
                                        ; implicit-def: $vgpr5
                                        ; implicit-def: $vgpr42
                                        ; implicit-def: $vgpr78
                                        ; implicit-def: $vgpr74
                                        ; implicit-def: $vgpr75
                                        ; implicit-def: $vgpr76
                                        ; implicit-def: $vgpr77
	s_mov_b32 s3, 0
.LBB63_8:
	s_mul_f32 s5, s27, 0x4f7ffffe
	s_clause 0x1
	s_load_b128 s[24:27], s[0:1], 0x98
	s_load_b64 s[40:41], s[0:1], 0x8c
	s_sub_co_i32 s14, 0, s29
	s_abs_i32 s34, s33
	s_cvt_u32_f32 s11, s5
	s_clause 0x1
	s_load_b32 s5, s[0:1], 0x54
	s_load_b64 s[42:43], s[0:1], 0xa8
	s_mov_b32 s15, s35
	s_mul_i32 s14, s14, s11
	s_ashr_i32 s20, s33, 31
	s_mul_hi_u32 s14, s11, s14
	v_dual_mov_b32 v70, 0 :: v_dual_lshlrev_b32 v41, 2, v38
	s_add_co_i32 s14, s11, s14
	s_ashr_i32 s11, s38, 31
	s_mul_u64 s[14:15], s[34:35], s[14:15]
	s_wait_alu 0xfffe
	s_xor_b32 s11, s20, s11
	s_mul_i32 s20, s15, s29
	s_ashr_i32 s38, s37, 1
	s_wait_alu 0xfffe
	s_sub_co_i32 s34, s34, s20
	s_add_co_i32 s21, s15, 1
	s_wait_kmcnt 0x0
	s_ashr_i32 s14, s26, 2
	s_ashr_i32 s20, s40, 2
	s_sub_co_i32 s35, s34, s29
	s_cmp_ge_u32 s34, s29
	s_wait_alu 0xfffe
	v_mul_lo_u32 v5, s20, v4
	s_cselect_b32 s15, s21, s15
	s_cselect_b32 s21, s35, s34
	s_add_co_i32 s34, s15, 1
	s_wait_alu 0xfffe
	s_cmp_ge_u32 s21, s29
	v_mul_lo_u32 v19, s14, v4
	s_cselect_b32 s15, s34, s15
	s_mul_u64 s[24:25], s[24:25], s[2:3]
	s_mul_u64 s[34:35], s[42:43], s[2:3]
	s_wait_alu 0xfffe
	s_xor_b32 s3, s15, s11
	s_and_b32 s15, s40, -4
	s_wait_alu 0xfffe
	s_sub_co_i32 s3, s3, s11
	s_add_nc_u64 s[6:7], s[6:7], s[24:25]
	s_wait_alu 0xfffe
	s_mul_i32 s36, s3, s41
	s_mul_i32 s24, s3, s27
	s_and_b32 s3, s26, -4
	v_dual_mov_b32 v72, 0xfeffffff :: v_dual_add_nc_u32 v7, s15, v5
	s_wait_alu 0xfffe
	v_dual_mov_b32 v42, 32 :: v_dual_add_nc_u32 v21, s3, v19
	s_delay_alu instid0(VALU_DEP_2) | instskip(NEXT) | instid1(VALU_DEP_2)
	v_dual_mov_b32 v66, 0 :: v_dual_add_nc_u32 v9, s15, v7
	v_dual_mov_b32 v56, 0 :: v_dual_add_nc_u32 v23, s3, v21
	v_ashrrev_i32_e32 v6, 31, v5
	v_ashrrev_i32_e32 v8, 31, v7
	s_delay_alu instid0(VALU_DEP_4) | instskip(NEXT) | instid1(VALU_DEP_4)
	v_dual_mov_b32 v64, 0 :: v_dual_add_nc_u32 v11, s15, v9
	v_add_nc_u32_e32 v27, s3, v23
	v_ashrrev_i32_e32 v10, 31, v9
	v_ashrrev_i32_e32 v20, 31, v19
	s_delay_alu instid0(VALU_DEP_4)
	v_add_nc_u32_e32 v13, s15, v11
	v_ashrrev_i32_e32 v12, 31, v11
	v_add_nc_u32_e32 v29, s3, v27
	v_ashrrev_i32_e32 v22, 31, v21
	v_ashrrev_i32_e32 v24, 31, v23
	v_add_nc_u32_e32 v15, s15, v13
	v_ashrrev_i32_e32 v14, 31, v13
	v_add_nc_u32_e32 v31, s3, v29
	v_ashrrev_i32_e32 v28, 31, v27
	v_ashrrev_i32_e32 v30, 31, v29
	v_add_nc_u32_e32 v17, s15, v15
	v_ashrrev_i32_e32 v16, 31, v15
	v_add_nc_u32_e32 v33, s3, v31
	v_ashrrev_i32_e32 v32, 31, v31
	v_mad_u32_u24 v43, 0x210, v4, v41
	v_add_nc_u32_e32 v25, s15, v17
	v_ashrrev_i32_e32 v18, 31, v17
	v_add_nc_u32_e32 v35, s3, v33
	v_ashrrev_i32_e32 v34, 31, v33
	v_lshl_add_u32 v53, v4, 9, v41
	v_ashrrev_i32_e32 v26, 31, v25
	v_dual_mov_b32 v71, 0 :: v_dual_add_nc_u32 v52, 0x4200, v3
	v_ashrrev_i32_e32 v36, 31, v35
	v_mad_co_u64_u32 v[2:3], null, v2, s38, v[0:1]
	v_lshl_add_u32 v54, v4, 7, 0x5200
	v_lshlrev_b64_e32 v[3:4], 2, v[5:6]
	v_lshlrev_b64_e32 v[5:6], 2, v[7:8]
	;; [unrolled: 1-line block ×16, first 2 shown]
	v_dual_mov_b32 v63, 0 :: v_dual_add_nc_u32 v44, 0x840, v43
	v_dual_mov_b32 v68, 0 :: v_dual_add_nc_u32 v45, 0x1080, v43
	;; [unrolled: 1-line block ×3, first 2 shown]
	v_add_nc_u32_e32 v47, 0x2100, v43
	v_dual_mov_b32 v67, 0 :: v_dual_add_nc_u32 v48, 0x2940, v43
	v_add_nc_u32_e32 v49, 0x3180, v43
	v_dual_mov_b32 v69, 0 :: v_dual_add_nc_u32 v50, 0x39c0, v43
	v_mul_u32_u24_e32 v51, 0x210, v0
	v_add_nc_u32_e32 v55, 0x800, v53
	v_add_nc_u32_e32 v57, 0x1000, v53
	;; [unrolled: 1-line block ×7, first 2 shown]
	v_mov_b32_e32 v73, 0xfeffffff
	s_ashr_i32 s37, s36, 31
	s_add_nc_u64 s[8:9], s[8:9], s[34:35]
	s_ashr_i32 s25, s24, 31
	s_add_nc_u64 s[6:7], s[6:7], s[36:37]
	s_wait_alu 0xfffe
	s_add_nc_u64 s[8:9], s[8:9], s[24:25]
	s_ashr_i32 s21, s20, 31
	s_ashr_i32 s15, s14, 31
	s_add_nc_u64 s[24:25], s[0:1], 0xd0
	s_mov_b32 s3, 0xbbbac73d
.LBB63_9:                               ; =>This Inner Loop Header: Depth=1
	s_ashr_i32 s11, s10, 31
	s_wait_alu 0xfffe
	s_mul_u64 s[26:27], s[10:11], s[20:21]
	s_wait_alu 0xfffe
	s_lshl_b64 s[26:27], s[26:27], 2
	s_wait_alu 0xfffe
	s_add_nc_u64 s[26:27], s[6:7], s[26:27]
	s_wait_alu 0xfffe
	v_add_co_u32 v35, vcc_lo, s26, v3
	s_wait_alu 0xfffd
	v_add_co_ci_u32_e64 v36, null, s27, v4, vcc_lo
	v_add_co_u32 v74, vcc_lo, s26, v5
	s_wait_alu 0xfffd
	v_add_co_ci_u32_e64 v75, null, s27, v6, vcc_lo
	;; [unrolled: 3-line block ×4, first 2 shown]
	s_clause 0x1
	global_load_b128 v[74:77], v[35:36], off
	global_load_b128 v[78:81], v[78:79], off
	v_add_co_u32 v35, vcc_lo, s26, v7
	s_wait_alu 0xfffd
	v_add_co_ci_u32_e64 v36, null, s27, v8, vcc_lo
	v_add_co_u32 v82, vcc_lo, s26, v9
	s_wait_alu 0xfffd
	v_add_co_ci_u32_e64 v83, null, s27, v10, vcc_lo
	;; [unrolled: 3-line block ×12, first 2 shown]
	s_clause 0x5
	global_load_b128 v[82:85], v[35:36], off
	global_load_b128 v[86:89], v[86:87], off
	global_load_b128 v[90:93], v[90:91], off
	global_load_b128 v[94:97], v[94:95], off
	global_load_b128 v[98:101], v[98:99], off
	global_load_b128 v[102:105], v[102:103], off
	v_dual_mov_b32 v36, 0 :: v_dual_mov_b32 v35, 0
	s_wait_loadcnt 0x7
	ds_store_b128 v43, v[74:77]
	s_wait_loadcnt 0x6
	ds_store_b128 v44, v[78:81]
	;; [unrolled: 2-line block ×8, first 2 shown]
	s_wait_dscnt 0x0
	s_barrier_signal -1
	s_barrier_wait -1
	global_inv scope:SCOPE_SE
	ds_load_b128 v[74:77], v51
	ds_load_b128 v[78:81], v52
	ds_load_b128 v[82:85], v52 offset:512
	s_wait_dscnt 0x1
	;;#ASMSTART
	v_dot2_f32_f16 v36, v74, v78, v36
	;;#ASMEND
	;;#ASMSTART
	v_dot2_f32_f16 v36, v75, v79, v36
	;;#ASMEND
	;;#ASMSTART
	v_dot2_f32_f16 v36, v76, v80, v36
	;;#ASMEND
	;;#ASMSTART
	v_dot2_f32_f16 v36, v77, v81, v36
	;;#ASMEND
	s_wait_dscnt 0x0
	;;#ASMSTART
	v_dot2_f32_f16 v35, v74, v82, v35
	;;#ASMEND
	;;#ASMSTART
	v_dot2_f32_f16 v35, v75, v83, v35
	;;#ASMEND
	;;#ASMSTART
	v_dot2_f32_f16 v35, v76, v84, v35
	;;#ASMEND
	;;#ASMSTART
	v_dot2_f32_f16 v35, v77, v85, v35
	;;#ASMEND
	ds_load_b128 v[74:77], v51 offset:16
	ds_load_b128 v[78:81], v52 offset:16
	ds_load_b128 v[82:85], v52 offset:528
	s_wait_dscnt 0x1
	;;#ASMSTART
	v_dot2_f32_f16 v36, v74, v78, v36
	;;#ASMEND
	;;#ASMSTART
	v_dot2_f32_f16 v36, v75, v79, v36
	;;#ASMEND
	;;#ASMSTART
	v_dot2_f32_f16 v36, v76, v80, v36
	;;#ASMEND
	;;#ASMSTART
	v_dot2_f32_f16 v36, v77, v81, v36
	;;#ASMEND
	s_wait_dscnt 0x0
	;;#ASMSTART
	v_dot2_f32_f16 v35, v74, v82, v35
	;;#ASMEND
	;;#ASMSTART
	v_dot2_f32_f16 v35, v75, v83, v35
	;;#ASMEND
	;;#ASMSTART
	v_dot2_f32_f16 v35, v76, v84, v35
	;;#ASMEND
	;;#ASMSTART
	v_dot2_f32_f16 v35, v77, v85, v35
	;;#ASMEND
	ds_load_b128 v[74:77], v51 offset:32
	ds_load_b128 v[78:81], v52 offset:32
	;; [unrolled: 29-line block ×31, first 2 shown]
	v_add_nc_u32_e32 v86, s10, v2
	ds_load_b128 v[82:85], v52 offset:1008
	s_wait_dscnt 0x1
	;;#ASMSTART
	v_dot2_f32_f16 v36, v74, v78, v36
	;;#ASMEND
	v_ashrrev_i32_e32 v87, 31, v86
	;;#ASMSTART
	v_dot2_f32_f16 v36, v75, v79, v36
	;;#ASMEND
	;;#ASMSTART
	v_dot2_f32_f16 v36, v76, v80, v36
	;;#ASMEND
	;; [unrolled: 3-line block ×3, first 2 shown]
	s_wait_dscnt 0x0
	;;#ASMSTART
	v_dot2_f32_f16 v35, v74, v82, v35
	;;#ASMEND
	v_lshlrev_b64_e32 v[86:87], 1, v[86:87]
	;;#ASMSTART
	v_dot2_f32_f16 v35, v75, v83, v35
	;;#ASMEND
	;;#ASMSTART
	v_dot2_f32_f16 v35, v76, v84, v35
	;;#ASMEND
	;; [unrolled: 3-line block ×3, first 2 shown]
	v_cmp_ngt_f32_e64 s26, 0x3f200000, |v36|
                                        ; implicit-def: $vgpr74
	s_delay_alu instid0(VALU_DEP_2)
	v_add_co_u32 v86, vcc_lo, s30, v86
	s_wait_alu 0xfffd
	v_add_co_ci_u32_e64 v87, null, s31, v87, vcc_lo
	global_load_u16 v79, v[86:87], off
	s_and_saveexec_b32 s27, s26
	s_wait_alu 0xfffe
	s_xor_b32 s26, exec_lo, s27
	s_cbranch_execz .LBB63_11
; %bb.10:                               ;   in Loop: Header=BB63_9 Depth=1
	v_add_f32_e64 v74, |v36|, |v36|
	s_delay_alu instid0(VALU_DEP_1) | instskip(SKIP_1) | instid1(VALU_DEP_2)
	v_mul_f32_e32 v75, 0x3fb8aa3b, v74
	v_cmp_ngt_f32_e32 vcc_lo, 0xc2ce8ed0, v74
	v_rndne_f32_e32 v76, v75
	v_fma_f32 v77, 0x3fb8aa3b, v74, -v75
	s_delay_alu instid0(VALU_DEP_2) | instskip(NEXT) | instid1(VALU_DEP_2)
	v_sub_f32_e32 v75, v75, v76
	v_fmac_f32_e32 v77, 0x32a5705f, v74
	v_cvt_i32_f32_e32 v76, v76
	s_delay_alu instid0(VALU_DEP_2) | instskip(NEXT) | instid1(VALU_DEP_1)
	v_add_f32_e32 v75, v75, v77
	v_exp_f32_e32 v75, v75
	s_delay_alu instid0(TRANS32_DEP_1) | instskip(SKIP_1) | instid1(VALU_DEP_1)
	v_ldexp_f32 v75, v75, v76
	s_wait_alu 0xfffd
	v_cndmask_b32_e32 v75, 0, v75, vcc_lo
	v_cmp_nlt_f32_e32 vcc_lo, 0x42b17218, v74
	s_wait_alu 0xfffd
	s_delay_alu instid0(VALU_DEP_2) | instskip(NEXT) | instid1(VALU_DEP_1)
	v_cndmask_b32_e32 v74, 0x7f800000, v75, vcc_lo
	v_add_f32_e32 v74, 1.0, v74
	s_delay_alu instid0(VALU_DEP_1) | instskip(NEXT) | instid1(TRANS32_DEP_1)
	v_rcp_f32_e32 v74, v74
	v_fma_f32 v74, v74, -2.0, 1.0
.LBB63_11:                              ;   in Loop: Header=BB63_9 Depth=1
	s_wait_alu 0xfffe
	s_and_not1_saveexec_b32 s26, s26
	s_cbranch_execz .LBB63_13
; %bb.12:                               ;   in Loop: Header=BB63_9 Depth=1
	v_mul_f32_e32 v74, v36, v36
	s_delay_alu instid0(VALU_DEP_1) | instskip(NEXT) | instid1(VALU_DEP_1)
	v_fmaak_f32 v75, s3, v74, 0x3ca908c9
	v_fmaak_f32 v75, v74, v75, 0xbd5c1c4e
	s_delay_alu instid0(VALU_DEP_1) | instskip(NEXT) | instid1(VALU_DEP_1)
	v_fmaak_f32 v75, v74, v75, 0x3e088382
	v_fmaak_f32 v75, v74, v75, 0xbeaaaa99
	s_delay_alu instid0(VALU_DEP_1) | instskip(NEXT) | instid1(VALU_DEP_1)
	v_mul_f32_e64 v75, |v36|, v75
	v_fma_f32 v74, v74, v75, |v36|
.LBB63_13:                              ;   in Loop: Header=BB63_9 Depth=1
	s_wait_alu 0xfffe
	s_or_b32 exec_lo, exec_lo, s26
	v_xor_b32_e32 v78, 16, v40
	s_delay_alu instid0(VALU_DEP_2) | instskip(SKIP_1) | instid1(VALU_DEP_3)
	v_bfi_b32 v36, 0x7fffffff, v74, v36
	v_cmp_ngt_f32_e64 s26, 0x3f200000, |v35|
	v_cmp_gt_i32_e32 vcc_lo, 32, v78
	s_wait_loadcnt 0x0
	s_delay_alu instid0(VALU_DEP_3) | instskip(SKIP_1) | instid1(VALU_DEP_1)
	v_fma_mix_f32 v36, s5, v36, v79 op_sel_hi:[0,0,1]
	s_wait_alu 0xfffd
	v_dual_cndmask_b32 v74, v40, v78 :: v_dual_add_f32 v75, 0x40051340, v36
	s_delay_alu instid0(VALU_DEP_1) | instskip(SKIP_1) | instid1(VALU_DEP_1)
	v_lshlrev_b32_e32 v80, 2, v74
	v_xor_b32_e32 v74, 8, v40
	v_cmp_gt_i32_e32 vcc_lo, 32, v74
	s_wait_alu 0xfffd
	v_cndmask_b32_e32 v77, v40, v74, vcc_lo
	s_delay_alu instid0(VALU_DEP_1) | instskip(NEXT) | instid1(VALU_DEP_1)
	v_dual_max_num_f32 v76, v72, v72 :: v_dual_lshlrev_b32 v81, 2, v77
	v_max_num_f32_e32 v75, v76, v75
	ds_bpermute_b32 v76, v80, v75
	s_wait_dscnt 0x0
	v_max_num_f32_e32 v76, v76, v76
	s_delay_alu instid0(VALU_DEP_1)
	v_max_num_f32_e32 v76, v75, v76
	v_xor_b32_e32 v75, 4, v40
	ds_bpermute_b32 v77, v81, v76
	v_cmp_gt_i32_e32 vcc_lo, 32, v75
	s_wait_dscnt 0x0
	s_wait_alu 0xfffd
	v_dual_cndmask_b32 v82, v40, v75 :: v_dual_max_num_f32 v77, v77, v77
	s_delay_alu instid0(VALU_DEP_1)
	v_dual_max_num_f32 v77, v76, v77 :: v_dual_lshlrev_b32 v82, 2, v82
	v_xor_b32_e32 v76, 2, v40
	ds_bpermute_b32 v83, v82, v77
	v_cmp_gt_i32_e32 vcc_lo, 32, v76
	s_wait_dscnt 0x0
	s_wait_alu 0xfffd
	v_dual_cndmask_b32 v84, v40, v76 :: v_dual_max_num_f32 v85, v83, v83
	s_delay_alu instid0(VALU_DEP_1)
	v_dual_max_num_f32 v84, v77, v85 :: v_dual_lshlrev_b32 v83, 2, v84
	v_xor_b32_e32 v77, 1, v40
	ds_bpermute_b32 v85, v83, v84
	v_cmp_gt_i32_e32 vcc_lo, 32, v77
	s_wait_alu 0xfffd
	v_cndmask_b32_e32 v86, v40, v77, vcc_lo
	s_wait_dscnt 0x0
	v_max_num_f32_e32 v87, v85, v85
	s_delay_alu instid0(VALU_DEP_1)
	v_dual_max_num_f32 v84, v84, v87 :: v_dual_lshlrev_b32 v85, 2, v86
                                        ; implicit-def: $vgpr87
	ds_bpermute_b32 v86, v85, v84
	s_and_saveexec_b32 s27, s26
	s_wait_alu 0xfffe
	s_xor_b32 s26, exec_lo, s27
	s_cbranch_execz .LBB63_15
; %bb.14:                               ;   in Loop: Header=BB63_9 Depth=1
	v_add_f32_e64 v87, |v35|, |v35|
	s_delay_alu instid0(VALU_DEP_1) | instskip(SKIP_1) | instid1(VALU_DEP_2)
	v_mul_f32_e32 v88, 0x3fb8aa3b, v87
	v_cmp_ngt_f32_e32 vcc_lo, 0xc2ce8ed0, v87
	v_rndne_f32_e32 v89, v88
	v_fma_f32 v90, 0x3fb8aa3b, v87, -v88
	s_delay_alu instid0(VALU_DEP_2) | instskip(NEXT) | instid1(VALU_DEP_2)
	v_sub_f32_e32 v88, v88, v89
	v_fmac_f32_e32 v90, 0x32a5705f, v87
	v_cvt_i32_f32_e32 v89, v89
	s_delay_alu instid0(VALU_DEP_2) | instskip(NEXT) | instid1(VALU_DEP_1)
	v_add_f32_e32 v88, v88, v90
	v_exp_f32_e32 v88, v88
	s_delay_alu instid0(TRANS32_DEP_1) | instskip(SKIP_1) | instid1(VALU_DEP_1)
	v_ldexp_f32 v88, v88, v89
	s_wait_alu 0xfffd
	v_cndmask_b32_e32 v88, 0, v88, vcc_lo
	v_cmp_nlt_f32_e32 vcc_lo, 0x42b17218, v87
	s_wait_alu 0xfffd
	s_delay_alu instid0(VALU_DEP_2) | instskip(NEXT) | instid1(VALU_DEP_1)
	v_cndmask_b32_e32 v87, 0x7f800000, v88, vcc_lo
	v_add_f32_e32 v87, 1.0, v87
	s_delay_alu instid0(VALU_DEP_1) | instskip(NEXT) | instid1(TRANS32_DEP_1)
	v_rcp_f32_e32 v87, v87
	v_fma_f32 v87, v87, -2.0, 1.0
.LBB63_15:                              ;   in Loop: Header=BB63_9 Depth=1
	s_wait_alu 0xfffe
	s_and_not1_saveexec_b32 s26, s26
	s_cbranch_execz .LBB63_17
; %bb.16:                               ;   in Loop: Header=BB63_9 Depth=1
	v_mul_f32_e32 v87, v35, v35
	s_delay_alu instid0(VALU_DEP_1) | instskip(NEXT) | instid1(VALU_DEP_1)
	v_fmaak_f32 v88, s3, v87, 0x3ca908c9
	v_fmaak_f32 v88, v87, v88, 0xbd5c1c4e
	s_delay_alu instid0(VALU_DEP_1) | instskip(NEXT) | instid1(VALU_DEP_1)
	v_fmaak_f32 v88, v87, v88, 0x3e088382
	v_fmaak_f32 v88, v87, v88, 0xbeaaaa99
	s_delay_alu instid0(VALU_DEP_1) | instskip(NEXT) | instid1(VALU_DEP_1)
	v_mul_f32_e64 v88, |v35|, v88
	v_fma_f32 v87, v87, v88, |v35|
.LBB63_17:                              ;   in Loop: Header=BB63_9 Depth=1
	s_wait_alu 0xfffe
	s_or_b32 exec_lo, exec_lo, s26
	s_mul_u64 s[26:27], s[10:11], s[14:15]
	s_wait_dscnt 0x0
	s_wait_alu 0xfffe
	s_lshl_b64 s[26:27], s[26:27], 2
	s_barrier_signal -1
	s_wait_alu 0xfffe
	s_add_nc_u64 s[26:27], s[8:9], s[26:27]
	s_barrier_wait -1
	s_wait_alu 0xfffe
	v_add_co_u32 v88, vcc_lo, s26, v19
	s_wait_alu 0xfffd
	v_add_co_ci_u32_e64 v89, null, s27, v20, vcc_lo
	v_add_co_u32 v90, vcc_lo, s26, v21
	s_wait_alu 0xfffd
	v_add_co_ci_u32_e64 v91, null, s27, v22, vcc_lo
	;; [unrolled: 3-line block ×16, first 2 shown]
	global_inv scope:SCOPE_SE
	s_clause 0x7
	global_load_b128 v[88:91], v[88:89], off
	global_load_b128 v[92:95], v[92:93], off
	;; [unrolled: 1-line block ×8, first 2 shown]
	v_cvt_f32_f16_e32 v79, v79
	v_bfi_b32 v35, 0x7fffffff, v87, v35
	v_add_nc_u32_e32 v133, 0x1000, v39
	v_add_nc_u32_e32 v149, 0x1800, v39
	;; [unrolled: 1-line block ×4, first 2 shown]
	v_fmac_f32_e32 v79, s5, v35
	v_max_num_f32_e32 v35, v73, v73
	s_delay_alu instid0(VALU_DEP_2) | instskip(NEXT) | instid1(VALU_DEP_1)
	v_add_f32_e32 v87, 0x40051340, v79
	v_max_num_f32_e32 v35, v35, v87
	ds_bpermute_b32 v80, v80, v35
	s_wait_dscnt 0x0
	v_max_num_f32_e32 v80, v80, v80
	s_delay_alu instid0(VALU_DEP_1) | instskip(SKIP_3) | instid1(VALU_DEP_1)
	v_max_num_f32_e32 v35, v35, v80
	ds_bpermute_b32 v80, v81, v35
	s_wait_dscnt 0x0
	v_max_num_f32_e32 v80, v80, v80
	v_max_num_f32_e32 v35, v35, v80
	ds_bpermute_b32 v80, v82, v35
	v_max_num_f32_e32 v82, v84, v84
	v_add_nc_u32_e32 v84, v54, v38
	s_wait_dscnt 0x0
	v_max_num_f32_e32 v80, v80, v80
	s_delay_alu instid0(VALU_DEP_1) | instskip(SKIP_3) | instid1(VALU_DEP_1)
	v_max_num_f32_e32 v35, v35, v80
	ds_bpermute_b32 v80, v83, v35
	s_wait_dscnt 0x0
	v_max_num_f32_e32 v80, v80, v80
	v_dual_max_num_f32 v80, v35, v80 :: v_dual_max_num_f32 v35, v86, v86
	ds_bpermute_b32 v81, v85, v80
	v_max_num_f32_e32 v35, v82, v35
	s_delay_alu instid0(VALU_DEP_1) | instskip(SKIP_1) | instid1(VALU_DEP_1)
	v_sub_f32_e32 v82, v36, v35
	s_wait_dscnt 0x0
	v_dual_max_num_f32 v36, v81, v81 :: v_dual_mul_f32 v81, 0x3fb8aa3b, v82
	s_delay_alu instid0(VALU_DEP_1) | instskip(SKIP_1) | instid1(VALU_DEP_3)
	v_max_num_f32_e32 v36, v80, v36
	v_sub_f32_e32 v72, v72, v35
	v_rndne_f32_e32 v87, v81
	s_delay_alu instid0(VALU_DEP_3) | instskip(NEXT) | instid1(VALU_DEP_3)
	v_sub_f32_e32 v79, v79, v36
	v_mul_f32_e32 v83, 0x3fb8aa3b, v72
	v_fma_f32 v86, 0x3fb8aa3b, v82, -v81
	v_sub_f32_e32 v73, v73, v36
	v_sub_f32_e32 v81, v81, v87
	v_mul_f32_e32 v122, 0x3fb8aa3b, v79
	v_rndne_f32_e32 v80, v83
	v_fma_f32 v85, 0x3fb8aa3b, v72, -v83
	v_fmac_f32_e32 v86, 0x32a5705f, v82
	v_mul_f32_e32 v120, 0x3fb8aa3b, v73
	v_cmp_ngt_f32_e32 vcc_lo, 0xc2ce8ed0, v72
	v_sub_f32_e32 v83, v83, v80
	v_cvt_i32_f32_e32 v80, v80
	v_add_f32_e32 v81, v81, v86
	v_rndne_f32_e32 v86, v120
	v_fmac_f32_e32 v85, 0x32a5705f, v72
	v_fma_f32 v123, 0x3fb8aa3b, v79, -v122
	v_rndne_f32_e32 v124, v122
	v_add_nc_u32_e32 v121, 0x800, v39
	s_delay_alu instid0(VALU_DEP_4)
	v_add_f32_e32 v83, v83, v85
	v_fma_f32 v85, 0x3fb8aa3b, v73, -v120
	v_sub_f32_e32 v120, v120, v86
	v_sub_f32_e32 v122, v122, v124
	v_cvt_i32_f32_e32 v86, v86
	v_exp_f32_e32 v83, v83
	v_fmac_f32_e32 v85, 0x32a5705f, v73
	s_delay_alu instid0(VALU_DEP_1) | instskip(NEXT) | instid1(TRANS32_DEP_1)
	v_add_f32_e32 v85, v120, v85
	v_ldexp_f32 v80, v83, v80
	s_delay_alu instid0(VALU_DEP_2) | instskip(SKIP_2) | instid1(VALU_DEP_2)
	v_exp_f32_e32 v83, v85
	v_cvt_i32_f32_e32 v85, v87
	s_wait_alu 0xfffd
	v_cndmask_b32_e32 v80, 0, v80, vcc_lo
	v_cmp_nlt_f32_e32 vcc_lo, 0x42b17218, v72
	s_wait_alu 0xfffd
	s_delay_alu instid0(VALU_DEP_2) | instskip(SKIP_4) | instid1(VALU_DEP_3)
	v_cndmask_b32_e32 v72, 0x7f800000, v80, vcc_lo
	v_fmac_f32_e32 v123, 0x32a5705f, v79
	v_exp_f32_e32 v81, v81
	v_cmp_ngt_f32_e32 vcc_lo, 0xc2ce8ed0, v82
	v_ldexp_f32 v80, v83, v86
	v_add_f32_e32 v120, v122, v123
	s_delay_alu instid0(VALU_DEP_1) | instskip(NEXT) | instid1(TRANS32_DEP_2)
	v_exp_f32_e32 v87, v120
	v_ldexp_f32 v81, v81, v85
	v_cvt_i32_f32_e32 v85, v124
	s_wait_alu 0xfffd
	s_delay_alu instid0(VALU_DEP_2)
	v_cndmask_b32_e32 v81, 0, v81, vcc_lo
	v_cmp_ngt_f32_e32 vcc_lo, 0xc2ce8ed0, v73
	s_delay_alu instid0(TRANS32_DEP_1) | instid1(VALU_DEP_3)
	v_ldexp_f32 v83, v87, v85
	v_cvt_f16_f32_e32 v85, v72
	s_wait_alu 0xfffd
	v_cndmask_b32_e32 v80, 0, v80, vcc_lo
	v_cmp_ngt_f32_e32 vcc_lo, 0xc2ce8ed0, v79
	s_wait_alu 0xfffd
	v_cndmask_b32_e32 v83, 0, v83, vcc_lo
	v_cmp_nlt_f32_e32 vcc_lo, 0x42b17218, v73
	s_wait_alu 0xfffd
	v_cndmask_b32_e32 v73, 0x7f800000, v80, vcc_lo
	v_cmp_nlt_f32_e32 vcc_lo, 0x42b17218, v82
	s_delay_alu instid0(VALU_DEP_2)
	v_cvt_f16_f32_e32 v82, v73
	s_wait_alu 0xfffd
	v_cndmask_b32_e32 v80, 0x7f800000, v81, vcc_lo
	v_cmp_nlt_f32_e32 vcc_lo, 0x42b17218, v79
	v_and_b32_e32 v81, 0xffff, v85
	v_and_b32_e32 v82, 0xffff, v82
	s_wait_alu 0xfffd
	v_cndmask_b32_e32 v79, 0x7f800000, v83, vcc_lo
	v_cvt_f16_f32_e32 v83, v80
	v_mul_u32_u24_e32 v185, 0x10001, v81
	v_mul_u32_u24_e32 v188, 0x10001, v82
	v_fmac_f32_e32 v80, v70, v72
	v_cvt_f16_f32_e32 v81, v79
	v_fmac_f32_e32 v79, v71, v73
	v_pk_mul_f16 v187, v69, v185
	v_pk_mul_f16 v189, v67, v185
	;; [unrolled: 1-line block ×3, first 2 shown]
	v_pack_b32_f16 v69, v83, v81
	v_pk_mul_f16 v73, v66, v188
	v_pk_mul_f16 v191, v65, v188
	;; [unrolled: 1-line block ×3, first 2 shown]
	ds_store_b32 v84, v69
	s_wait_loadcnt 0x7
	ds_store_b128 v53, v[88:91]
	s_wait_loadcnt 0x6
	ds_store_b128 v55, v[92:95]
	;; [unrolled: 2-line block ×8, first 2 shown]
	s_wait_dscnt 0x0
	s_barrier_signal -1
	s_barrier_wait -1
	global_inv scope:SCOPE_SE
	ds_load_2addr_b64 v[65:68], v39 offset1:32
	ds_load_b128 v[69:72], v54
	ds_load_b128 v[81:84], v54 offset:16
	ds_load_b128 v[85:88], v54 offset:32
	ds_load_b128 v[89:92], v54 offset:48
	ds_load_2addr_b64 v[93:96], v39 offset0:64 offset1:96
	ds_load_2addr_b64 v[97:100], v39 offset0:128 offset1:160
	ds_load_2addr_b64 v[101:104], v39 offset0:192 offset1:224
	ds_load_2addr_b64 v[105:108], v121 offset1:32
	ds_load_2addr_b64 v[109:112], v121 offset0:64 offset1:96
	ds_load_2addr_b64 v[113:116], v121 offset0:128 offset1:160
	ds_load_2addr_b64 v[117:120], v121 offset0:192 offset1:224
	ds_load_2addr_b64 v[121:124], v133 offset1:32
	;; [unrolled: 4-line block ×5, first 2 shown]
	ds_load_b128 v[173:176], v54 offset:64
	ds_load_b128 v[177:180], v54 offset:80
	ds_load_2addr_b64 v[181:184], v186 offset0:64 offset1:96
	s_wait_dscnt 0x1a
	v_lshrrev_b32_e32 v192, 16, v69
	v_and_b32_e32 v69, 0xffff, v69
	v_lshrrev_b32_e32 v193, 16, v70
	v_and_b32_e32 v70, 0xffff, v70
	v_lshrrev_b32_e32 v194, 16, v71
	v_mul_u32_u24_e32 v192, 0x10001, v192
	v_mul_u32_u24_e32 v69, 0x10001, v69
	v_and_b32_e32 v71, 0xffff, v71
	v_mul_u32_u24_e32 v70, 0x10001, v70
	v_mul_u32_u24_e32 v193, 0x10001, v193
	v_lshrrev_b32_e32 v195, 16, v72
	v_pk_mul_f16 v214, v65, v69
	v_pk_mul_f16 v65, v65, v192
	v_pk_fma_f16 v187, v66, v69, v187
	v_pk_fma_f16 v66, v66, v192, v73
	v_and_b32_e32 v72, 0xffff, v72
	v_pk_fma_f16 v64, v64, v185, v214
	v_mul_u32_u24_e32 v71, 0x10001, v71
	v_mul_u32_u24_e32 v194, 0x10001, v194
	v_pk_fma_f16 v63, v68, v192, v63
	v_pk_fma_f16 v56, v56, v188, v65
	s_wait_dscnt 0x16
	v_pk_fma_f16 v65, v94, v70, v187
	v_pk_fma_f16 v66, v94, v193, v66
	;; [unrolled: 1-line block ×3, first 2 shown]
	v_lshrrev_b32_e32 v196, 16, v81
	v_and_b32_e32 v81, 0xffff, v81
	v_mul_u32_u24_e32 v72, 0x10001, v72
	v_mul_u32_u24_e32 v195, 0x10001, v195
	v_pk_fma_f16 v73, v67, v69, v189
	v_pk_fma_f16 v67, v67, v192, v191
	v_pk_fma_f16 v69, v68, v69, v190
	v_pk_fma_f16 v63, v96, v193, v63
	s_wait_dscnt 0x15
	v_pk_fma_f16 v65, v98, v71, v65
	v_pk_fma_f16 v66, v98, v194, v66
	v_pk_fma_f16 v64, v97, v71, v64
	v_lshrrev_b32_e32 v197, 16, v82
	v_and_b32_e32 v82, 0xffff, v82
	v_mul_u32_u24_e32 v81, 0x10001, v81
	v_mul_u32_u24_e32 v196, 0x10001, v196
	v_pk_fma_f16 v68, v95, v70, v73
	v_pk_fma_f16 v67, v95, v193, v67
	v_pk_fma_f16 v69, v96, v70, v69
	v_pk_fma_f16 v56, v93, v193, v56
	v_pk_fma_f16 v63, v100, v194, v63
	s_wait_dscnt 0x14
	v_pk_fma_f16 v65, v102, v72, v65
	v_pk_fma_f16 v66, v102, v195, v66
	v_pk_fma_f16 v64, v101, v72, v64
	v_lshrrev_b32_e32 v198, 16, v83
	v_and_b32_e32 v83, 0xffff, v83
	v_mul_u32_u24_e32 v82, 0x10001, v82
	v_mul_u32_u24_e32 v197, 0x10001, v197
	v_pk_fma_f16 v68, v99, v71, v68
	;; [unrolled: 13-line block ×11, first 2 shown]
	v_pk_fma_f16 v67, v135, v203, v67
	v_pk_fma_f16 v69, v136, v88, v69
	v_pk_fma_f16 v56, v133, v203, v56
	v_pk_fma_f16 v63, v140, v204, v63
	s_wait_dscnt 0xa
	v_pk_fma_f16 v65, v142, v90, v65
	v_pk_fma_f16 v66, v142, v205, v66
	;; [unrolled: 1-line block ×3, first 2 shown]
	s_wait_dscnt 0x2
	v_lshrrev_b32_e32 v208, 16, v173
	v_and_b32_e32 v173, 0xffff, v173
	v_mul_u32_u24_e32 v92, 0x10001, v92
	v_mul_u32_u24_e32 v207, 0x10001, v207
	v_pk_fma_f16 v68, v139, v89, v68
	v_pk_fma_f16 v67, v139, v204, v67
	v_pk_fma_f16 v69, v140, v89, v69
	v_pk_fma_f16 v56, v137, v204, v56
	v_pk_fma_f16 v63, v144, v205, v63
	v_pk_fma_f16 v65, v146, v91, v65
	v_pk_fma_f16 v66, v146, v206, v66
	v_pk_fma_f16 v64, v145, v91, v64
	v_lshrrev_b32_e32 v209, 16, v174
	v_and_b32_e32 v174, 0xffff, v174
	v_mul_u32_u24_e32 v173, 0x10001, v173
	v_mul_u32_u24_e32 v208, 0x10001, v208
	v_pk_fma_f16 v68, v143, v90, v68
	v_pk_fma_f16 v67, v143, v205, v67
	v_pk_fma_f16 v69, v144, v90, v69
	v_pk_fma_f16 v56, v141, v205, v56
	v_pk_fma_f16 v63, v148, v206, v63
	v_pk_fma_f16 v65, v150, v92, v65
	v_pk_fma_f16 v66, v150, v207, v66
	v_pk_fma_f16 v64, v149, v92, v64
	;; [unrolled: 12-line block ×4, first 2 shown]
	s_wait_dscnt 0x1
	v_lshrrev_b32_e32 v212, 16, v177
	v_and_b32_e32 v177, 0xffff, v177
	v_mul_u32_u24_e32 v176, 0x10001, v176
	v_mul_u32_u24_e32 v211, 0x10001, v211
	v_pk_fma_f16 v68, v155, v173, v68
	v_pk_fma_f16 v67, v155, v208, v67
	v_pk_fma_f16 v69, v156, v173, v69
	v_pk_fma_f16 v56, v153, v208, v56
	v_pk_fma_f16 v63, v160, v209, v63
	v_pk_fma_f16 v65, v162, v175, v65
	v_pk_fma_f16 v66, v162, v210, v66
	v_pk_fma_f16 v64, v161, v175, v64
	v_mul_u32_u24_e32 v177, 0x10001, v177
	v_mul_u32_u24_e32 v212, 0x10001, v212
	v_pk_fma_f16 v68, v159, v174, v68
	v_pk_fma_f16 v67, v159, v209, v67
	;; [unrolled: 1-line block ×16, first 2 shown]
	ds_load_2addr_b64 v[63:66], v186 offset0:128 offset1:160
	v_lshrrev_b32_e32 v213, 16, v178
	v_and_b32_e32 v178, 0xffff, v178
	v_pk_fma_f16 v68, v167, v176, v68
	v_pk_fma_f16 v67, v167, v211, v67
	;; [unrolled: 1-line block ×4, first 2 shown]
	v_mul_u32_u24_e32 v81, 0x10001, v178
	v_pk_fma_f16 v68, v171, v177, v68
	v_mul_u32_u24_e32 v85, 0x10001, v213
	v_pk_fma_f16 v67, v171, v212, v67
	v_pk_fma_f16 v56, v169, v212, v56
	;; [unrolled: 1-line block ×3, first 2 shown]
	v_and_b32_e32 v83, 0xffff, v179
	v_lshrrev_b32_e32 v84, 16, v179
	v_pk_fma_f16 v86, v172, v212, v70
	s_wait_dscnt 0x1
	v_pk_fma_f16 v73, v181, v81, v73
	v_pk_fma_f16 v56, v181, v85, v56
	;; [unrolled: 1-line block ×5, first 2 shown]
	ds_load_2addr_b64 v[67:70], v186 offset0:192 offset1:224
	v_mul_u32_u24_e32 v90, 0x10001, v83
	v_mul_u32_u24_e32 v91, 0x10001, v84
	v_pk_fma_f16 v92, v184, v81, v82
	ds_load_b128 v[81:84], v54 offset:96
	v_pk_fma_f16 v72, v182, v85, v72
	s_wait_dscnt 0x2
	v_pk_fma_f16 v73, v63, v90, v73
	v_pk_fma_f16 v56, v63, v91, v56
	;; [unrolled: 1-line block ×3, first 2 shown]
	v_add_nc_u32_e32 v71, 0x3000, v39
	v_pk_fma_f16 v93, v184, v85, v86
	v_and_b32_e32 v94, 0xffff, v180
	v_lshrrev_b32_e32 v95, 16, v180
	v_pk_fma_f16 v96, v65, v90, v87
	ds_load_2addr_b64 v[85:88], v71 offset1:32
	v_pk_fma_f16 v72, v64, v91, v72
	v_mul_u32_u24_e32 v94, 0x10001, v94
	v_mul_u32_u24_e32 v95, 0x10001, v95
	v_pk_fma_f16 v97, v65, v91, v89
	v_pk_fma_f16 v98, v66, v90, v92
	;; [unrolled: 1-line block ×3, first 2 shown]
	s_wait_dscnt 0x2
	v_pk_fma_f16 v73, v67, v94, v73
	v_pk_fma_f16 v56, v67, v95, v56
	;; [unrolled: 1-line block ×3, first 2 shown]
	ds_load_b128 v[63:66], v54 offset:112
	s_wait_dscnt 0x2
	v_and_b32_e32 v99, 0xffff, v81
	v_lshrrev_b32_e32 v81, 16, v81
	ds_load_2addr_b64 v[89:92], v71 offset0:64 offset1:96
	v_pk_fma_f16 v68, v68, v95, v72
	v_pk_fma_f16 v72, v69, v94, v96
	v_mul_u32_u24_e32 v96, 0x10001, v99
	v_mul_u32_u24_e32 v81, 0x10001, v81
	v_pk_fma_f16 v97, v69, v95, v97
	v_pk_fma_f16 v94, v70, v94, v98
	;; [unrolled: 1-line block ×3, first 2 shown]
	s_wait_dscnt 0x2
	v_pk_fma_f16 v73, v85, v96, v73
	v_pk_fma_f16 v56, v85, v81, v56
	;; [unrolled: 1-line block ×3, first 2 shown]
	v_and_b32_e32 v95, 0xffff, v82
	v_lshrrev_b32_e32 v82, 16, v82
	v_pk_fma_f16 v86, v86, v81, v68
	ds_load_2addr_b64 v[67:70], v71 offset0:128 offset1:160
	v_pk_fma_f16 v72, v87, v96, v72
	v_mul_u32_u24_e32 v95, 0x10001, v95
	v_mul_u32_u24_e32 v82, 0x10001, v82
	v_pk_fma_f16 v97, v87, v81, v97
	v_pk_fma_f16 v94, v88, v96, v94
	;; [unrolled: 1-line block ×3, first 2 shown]
	s_wait_dscnt 0x1
	v_pk_fma_f16 v73, v89, v95, v73
	v_pk_fma_f16 v56, v89, v82, v56
	;; [unrolled: 1-line block ×3, first 2 shown]
	v_and_b32_e32 v93, 0xffff, v83
	v_lshrrev_b32_e32 v83, 16, v83
	v_pk_fma_f16 v90, v90, v82, v86
	ds_load_2addr_b64 v[85:88], v71 offset0:192 offset1:224
	v_pk_fma_f16 v72, v91, v95, v72
	v_mul_u32_u24_e32 v71, 0x10001, v93
	v_mul_u32_u24_e32 v93, 0x10001, v83
	v_pk_fma_f16 v94, v92, v95, v94
	v_add_nc_u32_e32 v95, 0x3800, v39
	v_pk_fma_f16 v91, v91, v82, v97
	v_pk_fma_f16 v92, v92, v82, v81
	s_wait_dscnt 0x1
	v_pk_fma_f16 v73, v67, v71, v73
	v_pk_fma_f16 v56, v67, v93, v56
	;; [unrolled: 1-line block ×3, first 2 shown]
	v_and_b32_e32 v89, 0xffff, v84
	v_lshrrev_b32_e32 v96, 16, v84
	ds_load_2addr_b64 v[81:84], v95 offset1:32
	v_pk_fma_f16 v68, v68, v93, v90
	v_pk_fma_f16 v72, v69, v71, v72
	v_mul_u32_u24_e32 v89, 0x10001, v89
	v_mul_u32_u24_e32 v90, 0x10001, v96
	v_pk_fma_f16 v91, v69, v93, v91
	v_pk_fma_f16 v71, v70, v71, v94
	;; [unrolled: 1-line block ×3, first 2 shown]
	s_wait_dscnt 0x1
	v_pk_fma_f16 v73, v85, v89, v73
	v_pk_fma_f16 v56, v85, v90, v56
	;; [unrolled: 1-line block ×3, first 2 shown]
	v_and_b32_e32 v93, 0xffff, v63
	v_lshrrev_b32_e32 v63, 16, v63
	v_pk_fma_f16 v86, v86, v90, v68
	ds_load_2addr_b64 v[67:70], v95 offset0:64 offset1:96
	v_pk_fma_f16 v72, v87, v89, v72
	v_mul_u32_u24_e32 v93, 0x10001, v93
	v_mul_u32_u24_e32 v63, 0x10001, v63
	v_pk_fma_f16 v87, v87, v90, v91
	v_pk_fma_f16 v71, v88, v89, v71
	;; [unrolled: 1-line block ×3, first 2 shown]
	s_wait_dscnt 0x1
	v_pk_fma_f16 v73, v81, v93, v73
	v_pk_fma_f16 v56, v81, v63, v56
	;; [unrolled: 1-line block ×3, first 2 shown]
	v_and_b32_e32 v85, 0xffff, v64
	v_lshrrev_b32_e32 v64, 16, v64
	v_pk_fma_f16 v82, v82, v63, v86
	v_pk_fma_f16 v72, v83, v93, v72
	;; [unrolled: 1-line block ×3, first 2 shown]
	v_mul_u32_u24_e32 v90, 0x10001, v85
	v_mul_u32_u24_e32 v64, 0x10001, v64
	v_pk_fma_f16 v71, v84, v93, v71
	v_pk_fma_f16 v63, v84, v63, v89
	ds_load_2addr_b64 v[85:88], v95 offset0:128 offset1:160
	s_wait_dscnt 0x1
	v_pk_fma_f16 v73, v67, v90, v73
	v_pk_fma_f16 v56, v67, v64, v56
	;; [unrolled: 1-line block ×8, first 2 shown]
	ds_load_2addr_b64 v[69:72], v95 offset0:192 offset1:224
	s_wait_loadcnt_dscnt 0x0
	s_barrier_signal -1
	s_barrier_wait -1
	global_inv scope:SCOPE_SE
	s_load_b32 s11, s[24:25], 0x4
	v_and_b32_e32 v83, 0xffff, v65
	v_lshrrev_b32_e32 v65, 16, v65
	s_delay_alu instid0(VALU_DEP_2) | instskip(NEXT) | instid1(VALU_DEP_2)
	v_mul_u32_u24_e32 v64, 0x10001, v83
	v_mul_u32_u24_e32 v65, 0x10001, v65
	v_and_b32_e32 v83, 0xffff, v66
	v_lshrrev_b32_e32 v66, 16, v66
	s_delay_alu instid0(VALU_DEP_4) | instskip(NEXT) | instid1(VALU_DEP_4)
	v_pk_fma_f16 v73, v85, v64, v73
	v_pk_fma_f16 v56, v85, v65, v56
	v_pk_fma_f16 v67, v86, v64, v67
	v_pk_fma_f16 v68, v86, v65, v68
	v_pk_fma_f16 v81, v87, v64, v81
	v_mul_u32_u24_e32 v83, 0x10001, v83
	v_mul_u32_u24_e32 v85, 0x10001, v66
	v_pk_fma_f16 v82, v87, v65, v82
	v_pk_fma_f16 v84, v88, v64, v84
	;; [unrolled: 1-line block ×3, first 2 shown]
	s_wait_kmcnt 0x0
	s_lshl_b32 s11, s11, 5
	v_pk_fma_f16 v64, v69, v83, v73
	v_pk_fma_f16 v56, v69, v85, v56
	;; [unrolled: 1-line block ×8, first 2 shown]
	s_wait_alu 0xfffe
	s_add_co_i32 s10, s11, s10
	s_wait_alu 0xfffe
	s_cmp_ge_i32 s10, s28
	s_cbranch_scc1 .LBB63_19
; %bb.18:                               ;   in Loop: Header=BB63_9 Depth=1
	v_dual_mov_b32 v72, v35 :: v_dual_mov_b32 v73, v36
	v_dual_mov_b32 v70, v80 :: v_dual_mov_b32 v71, v79
	s_branch .LBB63_9
.LBB63_19:
	v_mov_b32_e32 v5, v40
.LBB63_20:
	v_cmp_lt_i32_e32 vcc_lo, v78, v42
	s_cmp_lg_u64 s[12:13], 0
	s_cselect_b32 s3, -1, 0
	s_cmp_eq_u32 s4, 0
	s_wait_alu 0xfffd
	v_cndmask_b32_e32 v2, v5, v78, vcc_lo
	v_cmp_lt_i32_e32 vcc_lo, v74, v42
	s_cselect_b32 s5, -1, 0
	s_wait_alu 0xfffe
	s_and_b32 s3, s5, s3
	s_wait_alu 0xfffd
	v_cndmask_b32_e32 v4, v5, v74, vcc_lo
	v_cmp_lt_i32_e32 vcc_lo, v75, v42
	s_wait_alu 0xfffd
	v_dual_cndmask_b32 v7, v5, v75 :: v_dual_lshlrev_b32 v2, 2, v2
	ds_bpermute_b32 v3, v2, v80
	ds_bpermute_b32 v2, v2, v79
	v_cmp_lt_i32_e32 vcc_lo, v76, v42
	v_lshlrev_b32_e32 v7, 2, v7
	s_wait_dscnt 0x1
	v_dual_add_f32 v3, v80, v3 :: v_dual_lshlrev_b32 v4, 2, v4
	s_wait_dscnt 0x0
	v_add_f32_e32 v2, v79, v2
	ds_bpermute_b32 v6, v4, v3
	s_wait_dscnt 0x0
	v_add_f32_e32 v3, v3, v6
	ds_bpermute_b32 v4, v4, v2
	;; [unrolled: 3-line block ×3, first 2 shown]
	ds_bpermute_b32 v6, v7, v2
	s_wait_alu 0xfffd
	v_cndmask_b32_e32 v7, v5, v76, vcc_lo
	v_cmp_lt_i32_e32 vcc_lo, v77, v42
	s_delay_alu instid0(VALU_DEP_2)
	v_lshlrev_b32_e32 v7, 2, v7
	s_wait_dscnt 0x0
	v_dual_add_f32 v3, v3, v4 :: v_dual_add_f32 v2, v2, v6
	ds_bpermute_b32 v4, v7, v3
	ds_bpermute_b32 v6, v7, v2
	s_wait_alu 0xfffd
	v_cndmask_b32_e32 v5, v5, v77, vcc_lo
	s_wait_alu 0xfffe
	s_and_b32 vcc_lo, exec_lo, s3
	s_wait_dscnt 0x0
	v_dual_add_f32 v3, v3, v4 :: v_dual_add_f32 v4, v2, v6
	v_lshlrev_b32_e32 v5, 2, v5
	ds_bpermute_b32 v2, v5, v3
	s_wait_dscnt 0x0
	v_add_f32_e32 v2, v3, v2
	ds_bpermute_b32 v5, v5, v4
	s_wait_dscnt 0x0
	v_add_f32_e32 v3, v4, v5
	s_wait_alu 0xfffe
	s_cbranch_vccz .LBB63_23
; %bb.21:
	v_add_nc_u32_e32 v4, s33, v37
	s_delay_alu instid0(VALU_DEP_1) | instskip(NEXT) | instid1(VALU_DEP_1)
	v_ashrrev_i32_e32 v5, 31, v4
	v_lshlrev_b64_e32 v[4:5], 2, v[4:5]
	s_delay_alu instid0(VALU_DEP_1) | instskip(SKIP_1) | instid1(VALU_DEP_2)
	v_add_co_u32 v4, vcc_lo, s12, v4
	s_wait_alu 0xfffd
	v_add_co_ci_u32_e64 v5, null, s13, v5, vcc_lo
	global_load_b64 v[4:5], v[4:5], off
	v_max_num_f32_e32 v6, v35, v35
	s_wait_loadcnt 0x0
	v_dual_max_num_f32 v8, v36, v36 :: v_dual_max_num_f32 v9, v5, v5
	v_max_num_f32_e32 v7, v4, v4
	s_delay_alu instid0(VALU_DEP_1) | instskip(NEXT) | instid1(VALU_DEP_1)
	v_dual_max_num_f32 v6, v6, v7 :: v_dual_max_num_f32 v7, v8, v9
	v_dual_sub_f32 v8, v35, v6 :: v_dual_sub_f32 v5, v5, v7
	v_sub_f32_e32 v4, v4, v6
	v_dual_sub_f32 v9, v36, v7 :: v_dual_mov_b32 v36, v7
	s_delay_alu instid0(VALU_DEP_3) | instskip(NEXT) | instid1(VALU_DEP_4)
	v_cmp_ngt_f32_e32 vcc_lo, 0xc2ce8ed0, v8
	v_mul_f32_e32 v13, 0x3fb8aa3b, v5
	s_delay_alu instid0(VALU_DEP_3) | instskip(SKIP_1) | instid1(VALU_DEP_3)
	v_dual_mul_f32 v11, 0x3fb8aa3b, v4 :: v_dual_mul_f32 v12, 0x3fb8aa3b, v9
	v_mov_b32_e32 v35, v6
	v_fma_f32 v20, 0x3fb8aa3b, v5, -v13
	s_delay_alu instid0(VALU_DEP_3)
	v_rndne_f32_e32 v17, v11
	v_mul_f32_e32 v10, 0x3fb8aa3b, v8
	v_fma_f32 v16, 0x3fb8aa3b, v4, -v11
	v_fma_f32 v18, 0x3fb8aa3b, v9, -v12
	v_rndne_f32_e32 v19, v12
	v_sub_f32_e32 v11, v11, v17
	v_fma_f32 v14, 0x3fb8aa3b, v8, -v10
	v_rndne_f32_e32 v15, v10
	v_rndne_f32_e32 v21, v13
	v_fmac_f32_e32 v16, 0x32a5705f, v4
	v_sub_f32_e32 v12, v12, v19
	v_fmac_f32_e32 v14, 0x32a5705f, v8
	v_sub_f32_e32 v10, v10, v15
	;; [unrolled: 2-line block ×3, first 2 shown]
	v_dual_fmac_f32 v18, 0x32a5705f, v9 :: v_dual_add_f32 v11, v11, v16
	s_delay_alu instid0(VALU_DEP_4) | instskip(SKIP_1) | instid1(VALU_DEP_3)
	v_add_f32_e32 v10, v10, v14
	v_cvt_i32_f32_e32 v14, v15
	v_dual_add_f32 v13, v13, v20 :: v_dual_add_f32 v12, v12, v18
	v_cvt_i32_f32_e32 v16, v19
	s_delay_alu instid0(VALU_DEP_4)
	v_exp_f32_e32 v10, v10
	v_exp_f32_e32 v11, v11
	v_cvt_i32_f32_e32 v15, v17
	v_exp_f32_e32 v12, v12
	v_exp_f32_e32 v13, v13
	v_ldexp_f32 v10, v10, v14
	s_delay_alu instid0(TRANS32_DEP_3) | instid1(VALU_DEP_2)
	v_ldexp_f32 v11, v11, v15
	v_cvt_i32_f32_e32 v14, v21
	s_delay_alu instid0(TRANS32_DEP_2) | instskip(SKIP_3) | instid1(TRANS32_DEP_1)
	v_ldexp_f32 v12, v12, v16
	s_wait_alu 0xfffd
	v_cndmask_b32_e32 v10, 0, v10, vcc_lo
	v_cmp_ngt_f32_e32 vcc_lo, 0xc2ce8ed0, v9
	v_ldexp_f32 v13, v13, v14
	s_wait_alu 0xfffd
	v_cndmask_b32_e32 v12, 0, v12, vcc_lo
	v_cmp_nlt_f32_e32 vcc_lo, 0x42b17218, v8
	s_wait_alu 0xfffd
	v_cndmask_b32_e32 v8, 0x7f800000, v10, vcc_lo
	v_cmp_ngt_f32_e32 vcc_lo, 0xc2ce8ed0, v4
	s_wait_alu 0xfffd
	v_cndmask_b32_e32 v10, 0, v11, vcc_lo
	v_cmp_nlt_f32_e32 vcc_lo, 0x42b17218, v9
	v_cvt_f16_f32_e32 v11, v8
	s_wait_alu 0xfffd
	v_cndmask_b32_e32 v9, 0x7f800000, v12, vcc_lo
	v_cmp_ngt_f32_e32 vcc_lo, 0xc2ce8ed0, v5
	s_wait_alu 0xfffd
	v_dual_cndmask_b32 v12, 0, v13 :: v_dual_and_b32 v11, 0xffff, v11
	v_cmp_nlt_f32_e32 vcc_lo, 0x42b17218, v4
	s_wait_alu 0xfffd
	v_cndmask_b32_e32 v4, 0x7f800000, v10, vcc_lo
	v_cvt_f16_f32_e32 v10, v9
	v_cmp_nlt_f32_e32 vcc_lo, 0x42b17218, v5
	s_delay_alu instid0(VALU_DEP_3) | instskip(NEXT) | instid1(VALU_DEP_3)
	v_fmac_f32_e32 v4, v2, v8
	v_and_b32_e32 v8, 0xffff, v10
	s_wait_alu 0xfffd
	v_cndmask_b32_e32 v5, 0x7f800000, v12, vcc_lo
	v_mul_u32_u24_e32 v10, 0x10001, v11
	s_delay_alu instid0(VALU_DEP_2) | instskip(SKIP_1) | instid1(VALU_DEP_3)
	v_dual_mov_b32 v2, v4 :: v_dual_fmac_f32 v5, v3, v9
	v_mul_u32_u24_e32 v3, 0x10001, v8
	v_pk_mul_f16 v64, v64, v10
	v_pk_mul_f16 v69, v69, v10
	;; [unrolled: 1-line block ×8, first 2 shown]
	v_mov_b32_e32 v3, v5
	s_mov_b32 s3, exec_lo
	v_cmpx_gt_i32_e64 s22, v1
	s_cbranch_execnz .LBB63_24
.LBB63_22:
	s_nop 0
	s_sendmsg sendmsg(MSG_DEALLOC_VGPRS)
	s_endpgm
.LBB63_23:
	s_delay_alu instid0(VALU_DEP_1)
	v_dual_mov_b32 v5, v3 :: v_dual_mov_b32 v4, v2
	s_mov_b32 s3, exec_lo
	v_cmpx_gt_i32_e64 s22, v1
	s_cbranch_execz .LBB63_22
.LBB63_24:
	s_load_b32 s1, s[0:1], 0xd4
	v_mov_b32_e32 v6, 1.0
	s_wait_kmcnt 0x0
	s_cmp_lg_u32 s1, 1
	s_cselect_b32 s5, -1, 0
	s_cmp_eq_u32 s1, 1
	s_cselect_b32 s3, -1, 0
	s_wait_alu 0xfffe
	s_and_b32 vcc_lo, exec_lo, s5
	s_wait_alu 0xfffe
	s_cbranch_vccnz .LBB63_26
; %bb.25:
	v_div_scale_f32 v6, null, v2, v2, 1.0
	s_delay_alu instid0(VALU_DEP_1) | instskip(NEXT) | instid1(TRANS32_DEP_1)
	v_rcp_f32_e32 v7, v6
	v_fma_f32 v8, -v6, v7, 1.0
	s_delay_alu instid0(VALU_DEP_1) | instskip(SKIP_1) | instid1(VALU_DEP_1)
	v_fmac_f32_e32 v7, v8, v7
	v_div_scale_f32 v8, vcc_lo, 1.0, v2, 1.0
	v_mul_f32_e32 v9, v8, v7
	s_delay_alu instid0(VALU_DEP_1) | instskip(NEXT) | instid1(VALU_DEP_1)
	v_fma_f32 v10, -v6, v9, v8
	v_fmac_f32_e32 v9, v10, v7
	s_delay_alu instid0(VALU_DEP_1) | instskip(SKIP_1) | instid1(VALU_DEP_1)
	v_fma_f32 v6, -v6, v9, v8
	s_wait_alu 0xfffd
	v_div_fmas_f32 v6, v6, v7, v9
	s_delay_alu instid0(VALU_DEP_1)
	v_div_fixup_f32 v6, v6, v2, 1.0
.LBB63_26:
	v_mad_co_u64_u32 v[1:2], null, s2, s22, v[1:2]
	v_cmp_eq_u32_e32 vcc_lo, 0, v0
	v_lshrrev_b32_e32 v7, 16, v69
	v_cvt_f32_f16_e32 v8, v69
	v_lshrrev_b32_e32 v10, 16, v64
	v_cvt_f32_f16_e32 v11, v64
	v_mov_b32_e32 v2, 0
	v_mul_lo_u32 v1, v1, s23
	v_cvt_f32_f16_e32 v15, v67
	v_cvt_f32_f16_e32 v17, v7
	v_mul_f32_e32 v9, v6, v8
	v_cvt_f32_f16_e32 v8, v10
	v_mul_f32_e32 v7, v6, v11
	v_mul_f32_e32 v11, v6, v15
	v_lshrrev_b32_e32 v12, 16, v68
	v_add3_u32 v0, s33, v37, v1
	v_lshrrev_b32_e32 v14, 16, v67
	v_cvt_f32_f16_e32 v13, v68
	v_mul_f32_e32 v10, v6, v17
	v_cvt_f32_f16_e32 v12, v12
	v_mad_co_u64_u32 v[0:1], null, s1, v0, s[4:5]
	v_cvt_f32_f16_e32 v18, v14
	v_mul_f32_e32 v13, v6, v13
	s_delay_alu instid0(VALU_DEP_4) | instskip(SKIP_1) | instid1(VALU_DEP_4)
	v_mul_f32_e32 v14, v6, v12
	v_mul_f32_e32 v8, v6, v8
	;; [unrolled: 1-line block ×3, first 2 shown]
	v_lshl_add_u32 v1, v0, 8, v38
	s_delay_alu instid0(VALU_DEP_1) | instskip(SKIP_1) | instid1(VALU_DEP_1)
	v_lshlrev_b64_e32 v[15:16], 2, v[1:2]
	v_add_nc_u32_e32 v1, 0x80, v1
	v_lshlrev_b64_e32 v[1:2], 2, v[1:2]
	s_delay_alu instid0(VALU_DEP_3) | instskip(SKIP_1) | instid1(VALU_DEP_4)
	v_add_co_u32 v15, s0, s16, v15
	s_wait_alu 0xf1ff
	v_add_co_ci_u32_e64 v16, null, s17, v16, s0
	s_delay_alu instid0(VALU_DEP_3)
	v_add_co_u32 v1, s0, s16, v1
	s_wait_alu 0xf1ff
	v_add_co_ci_u32_e64 v2, null, s17, v2, s0
	s_and_b32 s0, vcc_lo, s5
	s_clause 0x1
	global_store_b128 v[15:16], v[7:10], off
	global_store_b128 v[1:2], v[11:14], off
	s_wait_alu 0xfffe
	s_and_saveexec_b32 s2, s0
	s_cbranch_execz .LBB63_28
; %bb.27:
	v_ashrrev_i32_e32 v1, 31, v0
	v_dual_mov_b32 v6, v35 :: v_dual_mov_b32 v7, v4
	s_delay_alu instid0(VALU_DEP_2) | instskip(NEXT) | instid1(VALU_DEP_1)
	v_lshlrev_b64_e32 v[1:2], 3, v[0:1]
	v_add_co_u32 v1, vcc_lo, s18, v1
	s_wait_alu 0xfffd
	s_delay_alu instid0(VALU_DEP_2)
	v_add_co_ci_u32_e64 v2, null, s19, v2, vcc_lo
	global_store_b64 v[1:2], v[6:7], off
.LBB63_28:
	s_wait_alu 0xfffe
	s_or_b32 exec_lo, exec_lo, s2
	v_mov_b32_e32 v1, 1.0
	s_and_not1_b32 vcc_lo, exec_lo, s3
	s_wait_alu 0xfffe
	s_cbranch_vccnz .LBB63_30
; %bb.29:
	v_div_scale_f32 v1, null, v3, v3, 1.0
	s_delay_alu instid0(VALU_DEP_1) | instskip(NEXT) | instid1(TRANS32_DEP_1)
	v_rcp_f32_e32 v2, v1
	v_fma_f32 v4, -v1, v2, 1.0
	s_delay_alu instid0(VALU_DEP_1) | instskip(SKIP_1) | instid1(VALU_DEP_1)
	v_fmac_f32_e32 v2, v4, v2
	v_div_scale_f32 v4, vcc_lo, 1.0, v3, 1.0
	v_mul_f32_e32 v6, v4, v2
	s_delay_alu instid0(VALU_DEP_1) | instskip(NEXT) | instid1(VALU_DEP_1)
	v_fma_f32 v7, -v1, v6, v4
	v_fmac_f32_e32 v6, v7, v2
	s_delay_alu instid0(VALU_DEP_1) | instskip(SKIP_1) | instid1(VALU_DEP_1)
	v_fma_f32 v1, -v1, v6, v4
	s_wait_alu 0xfffd
	v_div_fmas_f32 v1, v1, v2, v6
	s_delay_alu instid0(VALU_DEP_1)
	v_div_fixup_f32 v1, v1, v3, 1.0
.LBB63_30:
	v_lshrrev_b32_e32 v2, 16, v66
	v_dual_mov_b32 v3, 0 :: v_dual_add_nc_u32 v0, s1, v0
	v_lshrrev_b32_e32 v4, 16, v56
	v_cvt_f32_f16_e32 v6, v66
	s_delay_alu instid0(VALU_DEP_4) | instskip(NEXT) | instid1(VALU_DEP_4)
	v_cvt_f32_f16_e32 v7, v2
	v_lshl_add_u32 v2, v0, 8, v38
	v_cvt_f32_f16_e32 v12, v56
	v_cvt_f32_f16_e32 v4, v4
	v_mul_f32_e32 v8, v1, v6
	v_mul_f32_e32 v9, v1, v7
	v_lshlrev_b64_e32 v[10:11], 2, v[2:3]
	v_mul_f32_e32 v6, v1, v12
	v_lshrrev_b32_e32 v12, 16, v65
	v_dual_mul_f32 v7, v1, v4 :: v_dual_add_nc_u32 v2, 0x80, v2
	v_lshrrev_b32_e32 v4, 16, v63
	v_cvt_f32_f16_e32 v14, v63
	s_delay_alu instid0(VALU_DEP_4) | instskip(NEXT) | instid1(VALU_DEP_4)
	v_cvt_f32_f16_e32 v15, v12
	v_lshlrev_b64_e32 v[12:13], 2, v[2:3]
	v_cvt_f32_f16_e32 v16, v65
	v_cvt_f32_f16_e32 v4, v4
	v_add_co_u32 v10, vcc_lo, s16, v10
	s_wait_alu 0xfffd
	v_add_co_ci_u32_e64 v11, null, s17, v11, vcc_lo
	v_add_co_u32 v12, vcc_lo, s16, v12
	v_mul_f32_e32 v4, v1, v4
	v_mul_f32_e32 v3, v1, v14
	;; [unrolled: 1-line block ×4, first 2 shown]
	s_wait_alu 0xfffd
	v_add_co_ci_u32_e64 v13, null, s17, v13, vcc_lo
	s_clause 0x1
	global_store_b128 v[10:11], v[6:9], off
	global_store_b128 v[12:13], v[1:4], off
	s_and_b32 exec_lo, exec_lo, s0
	s_cbranch_execz .LBB63_22
; %bb.31:
	v_ashrrev_i32_e32 v1, 31, v0
	v_mov_b32_e32 v4, v36
	s_delay_alu instid0(VALU_DEP_2) | instskip(NEXT) | instid1(VALU_DEP_1)
	v_lshlrev_b64_e32 v[0:1], 3, v[0:1]
	v_add_co_u32 v0, vcc_lo, s18, v0
	s_wait_alu 0xfffd
	s_delay_alu instid0(VALU_DEP_2)
	v_add_co_ci_u32_e64 v1, null, s19, v1, vcc_lo
	global_store_b64 v[0:1], v[4:5], off
	s_nop 0
	s_sendmsg sendmsg(MSG_DEALLOC_VGPRS)
	s_endpgm
	.section	.rodata,"a",@progbits
	.p2align	6, 0x0
	.amdhsa_kernel _ZL15flash_attn_tileILi256ELi256ELi2ELi4ELb1EEvPKcS1_S1_S1_S1_PKiPfP15HIP_vector_typeIfLj2EEffffjfiS5_IjLj3EEiiiiiiiiiiiliiliiiiil
		.amdhsa_group_segment_fixed_size 21504
		.amdhsa_private_segment_fixed_size 0
		.amdhsa_kernarg_size 464
		.amdhsa_user_sgpr_count 2
		.amdhsa_user_sgpr_dispatch_ptr 0
		.amdhsa_user_sgpr_queue_ptr 0
		.amdhsa_user_sgpr_kernarg_segment_ptr 1
		.amdhsa_user_sgpr_dispatch_id 0
		.amdhsa_user_sgpr_private_segment_size 0
		.amdhsa_wavefront_size32 1
		.amdhsa_uses_dynamic_stack 0
		.amdhsa_enable_private_segment 0
		.amdhsa_system_sgpr_workgroup_id_x 1
		.amdhsa_system_sgpr_workgroup_id_y 1
		.amdhsa_system_sgpr_workgroup_id_z 1
		.amdhsa_system_sgpr_workgroup_info 0
		.amdhsa_system_vgpr_workitem_id 1
		.amdhsa_next_free_vgpr 217
		.amdhsa_next_free_sgpr 44
		.amdhsa_reserve_vcc 1
		.amdhsa_float_round_mode_32 0
		.amdhsa_float_round_mode_16_64 0
		.amdhsa_float_denorm_mode_32 3
		.amdhsa_float_denorm_mode_16_64 3
		.amdhsa_fp16_overflow 0
		.amdhsa_workgroup_processor_mode 1
		.amdhsa_memory_ordered 1
		.amdhsa_forward_progress 1
		.amdhsa_inst_pref_size 89
		.amdhsa_round_robin_scheduling 0
		.amdhsa_exception_fp_ieee_invalid_op 0
		.amdhsa_exception_fp_denorm_src 0
		.amdhsa_exception_fp_ieee_div_zero 0
		.amdhsa_exception_fp_ieee_overflow 0
		.amdhsa_exception_fp_ieee_underflow 0
		.amdhsa_exception_fp_ieee_inexact 0
		.amdhsa_exception_int_div_zero 0
	.end_amdhsa_kernel
	.section	.text._ZL15flash_attn_tileILi256ELi256ELi2ELi4ELb1EEvPKcS1_S1_S1_S1_PKiPfP15HIP_vector_typeIfLj2EEffffjfiS5_IjLj3EEiiiiiiiiiiiliiliiiiil,"axG",@progbits,_ZL15flash_attn_tileILi256ELi256ELi2ELi4ELb1EEvPKcS1_S1_S1_S1_PKiPfP15HIP_vector_typeIfLj2EEffffjfiS5_IjLj3EEiiiiiiiiiiiliiliiiiil,comdat
.Lfunc_end63:
	.size	_ZL15flash_attn_tileILi256ELi256ELi2ELi4ELb1EEvPKcS1_S1_S1_S1_PKiPfP15HIP_vector_typeIfLj2EEffffjfiS5_IjLj3EEiiiiiiiiiiiliiliiiiil, .Lfunc_end63-_ZL15flash_attn_tileILi256ELi256ELi2ELi4ELb1EEvPKcS1_S1_S1_S1_PKiPfP15HIP_vector_typeIfLj2EEffffjfiS5_IjLj3EEiiiiiiiiiiiliiliiiiil
                                        ; -- End function
	.set _ZL15flash_attn_tileILi256ELi256ELi2ELi4ELb1EEvPKcS1_S1_S1_S1_PKiPfP15HIP_vector_typeIfLj2EEffffjfiS5_IjLj3EEiiiiiiiiiiiliiliiiiil.num_vgpr, 215
	.set _ZL15flash_attn_tileILi256ELi256ELi2ELi4ELb1EEvPKcS1_S1_S1_S1_PKiPfP15HIP_vector_typeIfLj2EEffffjfiS5_IjLj3EEiiiiiiiiiiiliiliiiiil.num_agpr, 0
	.set _ZL15flash_attn_tileILi256ELi256ELi2ELi4ELb1EEvPKcS1_S1_S1_S1_PKiPfP15HIP_vector_typeIfLj2EEffffjfiS5_IjLj3EEiiiiiiiiiiiliiliiiiil.numbered_sgpr, 44
	.set _ZL15flash_attn_tileILi256ELi256ELi2ELi4ELb1EEvPKcS1_S1_S1_S1_PKiPfP15HIP_vector_typeIfLj2EEffffjfiS5_IjLj3EEiiiiiiiiiiiliiliiiiil.num_named_barrier, 0
	.set _ZL15flash_attn_tileILi256ELi256ELi2ELi4ELb1EEvPKcS1_S1_S1_S1_PKiPfP15HIP_vector_typeIfLj2EEffffjfiS5_IjLj3EEiiiiiiiiiiiliiliiiiil.private_seg_size, 0
	.set _ZL15flash_attn_tileILi256ELi256ELi2ELi4ELb1EEvPKcS1_S1_S1_S1_PKiPfP15HIP_vector_typeIfLj2EEffffjfiS5_IjLj3EEiiiiiiiiiiiliiliiiiil.uses_vcc, 1
	.set _ZL15flash_attn_tileILi256ELi256ELi2ELi4ELb1EEvPKcS1_S1_S1_S1_PKiPfP15HIP_vector_typeIfLj2EEffffjfiS5_IjLj3EEiiiiiiiiiiiliiliiiiil.uses_flat_scratch, 0
	.set _ZL15flash_attn_tileILi256ELi256ELi2ELi4ELb1EEvPKcS1_S1_S1_S1_PKiPfP15HIP_vector_typeIfLj2EEffffjfiS5_IjLj3EEiiiiiiiiiiiliiliiiiil.has_dyn_sized_stack, 0
	.set _ZL15flash_attn_tileILi256ELi256ELi2ELi4ELb1EEvPKcS1_S1_S1_S1_PKiPfP15HIP_vector_typeIfLj2EEffffjfiS5_IjLj3EEiiiiiiiiiiiliiliiiiil.has_recursion, 0
	.set _ZL15flash_attn_tileILi256ELi256ELi2ELi4ELb1EEvPKcS1_S1_S1_S1_PKiPfP15HIP_vector_typeIfLj2EEffffjfiS5_IjLj3EEiiiiiiiiiiiliiliiiiil.has_indirect_call, 0
	.section	.AMDGPU.csdata,"",@progbits
; Kernel info:
; codeLenInByte = 11316
; TotalNumSgprs: 46
; NumVgprs: 215
; ScratchSize: 0
; MemoryBound: 0
; FloatMode: 240
; IeeeMode: 1
; LDSByteSize: 21504 bytes/workgroup (compile time only)
; SGPRBlocks: 0
; VGPRBlocks: 27
; NumSGPRsForWavesPerEU: 46
; NumVGPRsForWavesPerEU: 217
; Occupancy: 6
; WaveLimiterHint : 1
; COMPUTE_PGM_RSRC2:SCRATCH_EN: 0
; COMPUTE_PGM_RSRC2:USER_SGPR: 2
; COMPUTE_PGM_RSRC2:TRAP_HANDLER: 0
; COMPUTE_PGM_RSRC2:TGID_X_EN: 1
; COMPUTE_PGM_RSRC2:TGID_Y_EN: 1
; COMPUTE_PGM_RSRC2:TGID_Z_EN: 1
; COMPUTE_PGM_RSRC2:TIDIG_COMP_CNT: 1
	.section	.text._ZL15flash_attn_tileILi256ELi256ELi1ELi4ELb1EEvPKcS1_S1_S1_S1_PKiPfP15HIP_vector_typeIfLj2EEffffjfiS5_IjLj3EEiiiiiiiiiiiliiliiiiil,"axG",@progbits,_ZL15flash_attn_tileILi256ELi256ELi1ELi4ELb1EEvPKcS1_S1_S1_S1_PKiPfP15HIP_vector_typeIfLj2EEffffjfiS5_IjLj3EEiiiiiiiiiiiliiliiiiil,comdat
	.globl	_ZL15flash_attn_tileILi256ELi256ELi1ELi4ELb1EEvPKcS1_S1_S1_S1_PKiPfP15HIP_vector_typeIfLj2EEffffjfiS5_IjLj3EEiiiiiiiiiiiliiliiiiil ; -- Begin function _ZL15flash_attn_tileILi256ELi256ELi1ELi4ELb1EEvPKcS1_S1_S1_S1_PKiPfP15HIP_vector_typeIfLj2EEffffjfiS5_IjLj3EEiiiiiiiiiiiliiliiiiil
	.p2align	8
	.type	_ZL15flash_attn_tileILi256ELi256ELi1ELi4ELb1EEvPKcS1_S1_S1_S1_PKiPfP15HIP_vector_typeIfLj2EEffffjfiS5_IjLj3EEiiiiiiiiiiiliiliiiiil,@function
_ZL15flash_attn_tileILi256ELi256ELi1ELi4ELb1EEvPKcS1_S1_S1_S1_PKiPfP15HIP_vector_typeIfLj2EEffffjfiS5_IjLj3EEiiiiiiiiiiiliiliiiiil: ; @_ZL15flash_attn_tileILi256ELi256ELi1ELi4ELb1EEvPKcS1_S1_S1_S1_PKiPfP15HIP_vector_typeIfLj2EEffffjfiS5_IjLj3EEiiiiiiiiiiiliiliiiiil
; %bb.0:
	s_clause 0x1
	s_load_b128 s[20:23], s[0:1], 0x5c
	s_load_b64 s[28:29], s[0:1], 0x80
	s_lshr_b32 s5, ttmp7, 16
	s_load_b64 s[36:37], s[0:1], 0xb8
	s_mov_b32 s35, 0
	s_mov_b64 s[30:31], 0
	s_wait_kmcnt 0x0
	s_ashr_i32 s2, s23, 31
	s_delay_alu instid0(SALU_CYCLE_1) | instskip(NEXT) | instid1(SALU_CYCLE_1)
	s_lshr_b32 s2, s2, 30
	s_add_co_i32 s2, s23, s2
	s_delay_alu instid0(SALU_CYCLE_1) | instskip(NEXT) | instid1(SALU_CYCLE_1)
	s_ashr_i32 s2, s2, 2
	s_cvt_f32_u32 s3, s2
	s_sub_co_i32 s4, 0, s2
	s_delay_alu instid0(SALU_CYCLE_2) | instskip(NEXT) | instid1(TRANS32_DEP_1)
	v_rcp_iflag_f32_e32 v1, s3
	v_readfirstlane_b32 s3, v1
	s_mul_f32 s3, s3, 0x4f7ffffe
	s_wait_alu 0xfffe
	s_delay_alu instid0(SALU_CYCLE_2) | instskip(SKIP_1) | instid1(SALU_CYCLE_2)
	s_cvt_u32_f32 s3, s3
	s_wait_alu 0xfffe
	s_mul_i32 s4, s4, s3
	s_delay_alu instid0(SALU_CYCLE_1) | instskip(NEXT) | instid1(SALU_CYCLE_1)
	s_mul_hi_u32 s4, s3, s4
	s_add_co_i32 s3, s3, s4
	s_wait_alu 0xfffe
	s_mul_hi_u32 s3, s5, s3
	s_wait_alu 0xfffe
	s_mul_i32 s4, s3, s2
	s_add_co_i32 s6, s3, 1
	s_sub_co_i32 s4, s5, s4
	s_delay_alu instid0(SALU_CYCLE_1)
	s_sub_co_i32 s7, s4, s2
	s_cmp_ge_u32 s4, s2
	s_cselect_b32 s3, s6, s3
	s_cselect_b32 s4, s7, s4
	s_wait_alu 0xfffe
	s_add_co_i32 s6, s3, 1
	s_cmp_ge_u32 s4, s2
	s_cselect_b32 s2, s6, s3
	s_abs_i32 s3, s29
	s_abs_i32 s8, s23
	s_wait_alu 0xfffe
	s_cvt_f32_u32 s4, s3
	s_sub_co_i32 s6, 0, s3
	s_lshl_b32 s5, s5, 2
	s_mul_i32 s7, s2, s23
	v_rcp_iflag_f32_e32 v1, s4
	s_sub_co_i32 s33, s5, s7
	s_xor_b32 s5, s23, s29
	s_wait_alu 0xfffe
	s_ashr_i32 s24, s5, 31
	s_delay_alu instid0(TRANS32_DEP_1) | instskip(SKIP_2) | instid1(SALU_CYCLE_2)
	v_readfirstlane_b32 s4, v1
	s_mul_f32 s4, s4, 0x4f7ffffe
	s_wait_alu 0xfffe
	s_cvt_u32_f32 s4, s4
	s_wait_alu 0xfffe
	s_delay_alu instid0(SALU_CYCLE_2) | instskip(NEXT) | instid1(SALU_CYCLE_1)
	s_mul_i32 s6, s6, s4
	s_mul_hi_u32 s6, s4, s6
	s_delay_alu instid0(SALU_CYCLE_1) | instskip(SKIP_4) | instid1(SALU_CYCLE_1)
	s_add_co_i32 s4, s4, s6
	s_wait_alu 0xfffe
	s_mul_hi_u32 s4, s8, s4
	s_wait_alu 0xfffe
	s_mul_i32 s6, s4, s3
	s_sub_co_i32 s5, s8, s6
	s_add_co_i32 s6, s4, 1
	s_wait_alu 0xfffe
	s_sub_co_i32 s7, s5, s3
	s_cmp_ge_u32 s5, s3
	s_cselect_b32 s4, s6, s4
	s_cselect_b32 s5, s7, s5
	s_wait_alu 0xfffe
	s_add_co_i32 s6, s4, 1
	s_cmp_ge_u32 s5, s3
	s_cselect_b32 s3, s6, s4
	s_load_b512 s[4:19], s[0:1], 0x0
	s_xor_b32 s3, s3, s24
	s_wait_alu 0xfffe
	s_sub_co_i32 s38, s3, s24
	s_delay_alu instid0(SALU_CYCLE_1) | instskip(NEXT) | instid1(SALU_CYCLE_1)
	s_abs_i32 s29, s38
	s_cvt_f32_u32 s3, s29
	s_wait_alu 0xfffe
	s_delay_alu instid0(SALU_CYCLE_2) | instskip(SKIP_2) | instid1(TRANS32_DEP_1)
	v_rcp_iflag_f32_e32 v1, s3
	s_wait_kmcnt 0x0
	s_cmp_eq_u64 s[10:11], 0
	v_readfirstlane_b32 s24, v1
	s_cbranch_scc1 .LBB64_2
; %bb.1:
	s_abs_i32 s3, s36
	s_wait_alu 0xfffe
	s_cvt_f32_u32 s25, s3
	s_sub_co_i32 s26, 0, s3
	s_delay_alu instid0(SALU_CYCLE_2) | instskip(NEXT) | instid1(TRANS32_DEP_1)
	v_rcp_iflag_f32_e32 v1, s25
	v_readfirstlane_b32 s25, v1
	s_mul_f32 s25, s25, 0x4f7ffffe
	s_wait_alu 0xfffe
	s_delay_alu instid0(SALU_CYCLE_2) | instskip(SKIP_1) | instid1(SALU_CYCLE_2)
	s_cvt_u32_f32 s25, s25
	s_wait_alu 0xfffe
	s_mul_i32 s26, s26, s25
	s_delay_alu instid0(SALU_CYCLE_1)
	s_mul_hi_u32 s30, s25, s26
	s_load_b64 s[26:27], s[0:1], 0xc8
	s_add_co_i32 s25, s25, s30
	s_wait_alu 0xfffe
	s_mul_hi_u32 s25, s2, s25
	s_wait_alu 0xfffe
	s_mul_i32 s25, s25, s3
	s_wait_alu 0xfffe
	s_sub_co_i32 s25, s2, s25
	s_wait_alu 0xfffe
	s_sub_co_i32 s30, s25, s3
	s_cmp_ge_u32 s25, s3
	s_cselect_b32 s25, s30, s25
	s_wait_alu 0xfffe
	s_sub_co_i32 s30, s25, s3
	s_cmp_ge_u32 s25, s3
	s_cselect_b32 s30, s30, s25
	s_delay_alu instid0(SALU_CYCLE_1) | instskip(SKIP_2) | instid1(SALU_CYCLE_1)
	s_ashr_i32 s31, s30, 31
	s_wait_kmcnt 0x0
	s_mul_u64 s[26:27], s[26:27], s[30:31]
	s_add_nc_u64 s[30:31], s[10:11], s[26:27]
.LBB64_2:
	v_lshrrev_b32_e32 v1, 10, v0
	s_load_b96 s[40:42], s[0:1], 0x70
	v_bfe_u32 v37, v0, 10, 2
	s_delay_alu instid0(VALU_DEP_2) | instskip(NEXT) | instid1(VALU_DEP_1)
	v_bfe_u32 v1, v1, 2, 8
	v_add_nc_u32_e32 v1, ttmp9, v1
	s_delay_alu instid0(VALU_DEP_1) | instskip(SKIP_3) | instid1(VALU_DEP_1)
	v_mul_hi_u32 v2, s20, v1
	s_wait_kmcnt 0x0
	s_mov_b32 s20, s41
	s_mul_i32 s10, s33, s41
	v_add_nc_u32_e32 v2, v1, v2
	s_ashr_i32 s11, s10, 31
	s_delay_alu instid0(VALU_DEP_1)
	v_lshrrev_b32_e32 v2, s21, v2
	s_ashr_i32 s21, s41, 31
	s_ashr_i32 s41, s40, 31
	s_wait_alu 0xfffe
	s_lshr_b64 s[26:27], s[20:21], 2
	s_lshr_b32 s3, s21, 2
	v_mul_lo_u32 v2, v2, s22
	v_mad_co_u64_u32 v[4:5], null, s26, v37, 0
	s_lshr_b64 s[26:27], s[40:41], 2
	s_mul_i32 s20, s2, s42
	s_wait_alu 0xfffe
	s_ashr_i32 s21, s20, 31
	s_wait_alu 0xfffe
	s_add_nc_u64 s[4:5], s[4:5], s[20:21]
	v_sub_nc_u32_e32 v3, v1, v2
	v_mov_b32_e32 v2, v5
	s_wait_alu 0xfffe
	s_add_nc_u64 s[4:5], s[4:5], s[10:11]
	s_delay_alu instid0(VALU_DEP_2) | instskip(NEXT) | instid1(VALU_DEP_1)
	v_mad_co_u64_u32 v[6:7], null, s26, v3, 0
	v_mov_b32_e32 v5, v7
	v_mad_co_u64_u32 v[7:8], null, s3, v37, v[2:3]
	s_lshr_b32 s3, s41, 2
	s_cmp_eq_u64 s[14:15], 0
	s_wait_alu 0xfffe
	v_mad_co_u64_u32 v[8:9], null, s3, v3, v[5:6]
	v_and_b32_e32 v2, 0x3ff, v0
	s_load_b32 s3, s[0:1], 0x40
	v_mov_b32_e32 v5, v7
	s_delay_alu instid0(VALU_DEP_2) | instskip(NEXT) | instid1(VALU_DEP_2)
	v_dual_mov_b32 v7, v8 :: v_dual_lshlrev_b32 v8, 4, v2
	v_lshlrev_b64_e32 v[4:5], 2, v[4:5]
	s_delay_alu instid0(VALU_DEP_2) | instskip(NEXT) | instid1(VALU_DEP_2)
	v_lshlrev_b64_e32 v[6:7], 2, v[6:7]
	v_add_co_u32 v4, vcc_lo, s4, v4
	s_delay_alu instid0(VALU_DEP_1) | instskip(NEXT) | instid1(VALU_DEP_2)
	v_add_co_ci_u32_e64 v5, null, s5, v5, vcc_lo
	v_add_co_u32 v4, vcc_lo, v4, v6
	s_wait_alu 0xfffd
	s_delay_alu instid0(VALU_DEP_2) | instskip(SKIP_1) | instid1(VALU_DEP_3)
	v_add_co_ci_u32_e64 v5, null, v5, v7, vcc_lo
	v_bfe_u32 v6, v0, 10, 10
	v_add_co_u32 v4, vcc_lo, v4, v8
	s_wait_alu 0xfffd
	s_delay_alu instid0(VALU_DEP_3)
	v_add_co_ci_u32_e64 v5, null, 0, v5, vcc_lo
	s_clause 0x1
	global_load_b128 v[7:10], v[4:5], off
	global_load_b128 v[11:14], v[4:5], off offset:512
	v_lshlrev_b32_e32 v5, 9, v6
	v_lshlrev_b32_e32 v0, 3, v2
	s_delay_alu instid0(VALU_DEP_2)
	v_add_nc_u32_e32 v39, 0x4200, v5
	s_wait_loadcnt 0x1
	s_wait_kmcnt 0x0
	v_fma_mixlo_f16 v4, s3, v7, 0
	v_fma_mixlo_f16 v7, s3, v8, 0
	;; [unrolled: 1-line block ×4, first 2 shown]
	s_wait_loadcnt 0x0
	v_fma_mixlo_f16 v10, s3, v11, 0
	v_fma_mixlo_f16 v11, s3, v12, 0
	;; [unrolled: 1-line block ×4, first 2 shown]
	v_lshlrev_b32_e32 v7, 16, v7
	v_and_b32_e32 v4, 0xffff, v4
	v_lshlrev_b32_e32 v11, 16, v11
	v_and_b32_e32 v10, 0xffff, v10
	;; [unrolled: 2-line block ×4, first 2 shown]
	v_or_b32_e32 v4, v7, v4
	v_or_b32_e32 v11, v11, v10
	v_add_nc_u32_e32 v14, v39, v0
	v_or3_b32 v8, v9, v8, 0
	v_or3_b32 v10, v13, v12, 0
	;; [unrolled: 1-line block ×4, first 2 shown]
	ds_store_2addr_b64 v14, v[7:8], v[9:10] offset1:32
	s_wait_dscnt 0x0
	s_barrier_signal -1
	s_barrier_wait -1
	global_inv scope:SCOPE_SE
	s_cbranch_scc1 .LBB64_4
; %bb.3:
	s_load_b32 s3, s[0:1], 0xd0
	s_mov_b32 s5, 0
	s_wait_kmcnt 0x0
	s_mul_i32 s3, s3, s2
	s_wait_alu 0xfffe
	s_add_co_i32 s4, s3, ttmp9
	s_wait_alu 0xfffe
	s_lshl_b64 s[4:5], s[4:5], 2
	s_wait_alu 0xfffe
	s_add_nc_u64 s[4:5], s[14:15], s[4:5]
	s_load_b32 s28, s[4:5], 0x0
.LBB64_4:
	s_and_b32 s4, ttmp7, 0xffff
	v_lshlrev_b32_e32 v38, 2, v2
	v_mbcnt_lo_u32_b32 v40, -1, 0
	s_wait_alu 0xfffe
	s_lshl_b32 s10, s4, 5
	s_wait_kmcnt 0x0
	s_cmp_lt_i32 s10, s28
	s_cbranch_scc1 .LBB64_7
; %bb.5:
	v_mbcnt_lo_u32_b32 v4, -1, 0
	v_mov_b32_e32 v43, 32
	s_delay_alu instid0(VALU_DEP_2)
	v_xor_b32_e32 v70, 16, v4
	v_xor_b32_e32 v68, 8, v4
	;; [unrolled: 1-line block ×5, first 2 shown]
	s_mov_b32 s3, 0
	s_cbranch_execz .LBB64_8
; %bb.6:
	v_dual_mov_b32 v50, 0 :: v_dual_mov_b32 v73, 0
	v_dual_mov_b32 v36, 0xfeffffff :: v_dual_mov_b32 v65, 0
	v_mov_b32_e32 v54, 0
	v_mov_b32_e32 v64, 0
	s_branch .LBB64_16
.LBB64_7:
                                        ; implicit-def: $vgpr4
                                        ; implicit-def: $vgpr43
                                        ; implicit-def: $vgpr70
                                        ; implicit-def: $vgpr68
                                        ; implicit-def: $vgpr69
                                        ; implicit-def: $vgpr71
                                        ; implicit-def: $vgpr72
	s_mov_b32 s3, 0
.LBB64_8:
	s_mul_f32 s5, s24, 0x4f7ffffe
	s_sub_co_i32 s14, 0, s29
	s_clause 0x1
	s_load_b128 s[24:27], s[0:1], 0x98
	s_load_b64 s[40:41], s[0:1], 0x8c
	s_abs_i32 s34, s33
	s_cvt_u32_f32 s11, s5
	s_mov_b32 s15, s35
	s_load_b32 s5, s[0:1], 0x54
	v_dual_mov_b32 v66, 0 :: v_dual_lshlrev_b32 v41, 2, v38
	s_mul_i32 s14, s14, s11
	v_lshl_add_u32 v53, v6, 6, 0x4a00
	s_mul_hi_u32 s14, s11, s14
	s_delay_alu instid0(VALU_DEP_2)
	v_mad_u32_u24 v42, 0x210, v6, v41
	s_add_co_i32 s14, s11, s14
	s_ashr_i32 s11, s33, 31
	s_mul_u64 s[14:15], s[34:35], s[14:15]
	s_ashr_i32 s14, s38, 31
	s_ashr_i32 s38, s37, 1
	s_load_b64 s[36:37], s[0:1], 0xa8
	s_mul_i32 s20, s15, s29
	s_xor_b32 s11, s11, s14
	s_wait_alu 0xfffe
	s_sub_co_i32 s34, s34, s20
	s_add_co_i32 s21, s15, 1
	s_wait_kmcnt 0x0
	s_ashr_i32 s14, s26, 2
	s_ashr_i32 s20, s40, 2
	s_sub_co_i32 s35, s34, s29
	s_cmp_ge_u32 s34, s29
	s_wait_alu 0xfffe
	v_mul_lo_u32 v7, s20, v6
	v_mul_lo_u32 v20, s14, v6
	s_cselect_b32 s15, s21, s15
	s_cselect_b32 s21, s35, s34
	s_wait_alu 0xfffe
	s_add_co_i32 s34, s15, 1
	s_cmp_ge_u32 s21, s29
	s_mul_u64 s[24:25], s[24:25], s[2:3]
	s_cselect_b32 s15, s34, s15
	s_and_b32 s29, s40, -4
	s_delay_alu instid0(SALU_CYCLE_1)
	v_dual_mov_b32 v64, 0 :: v_dual_add_nc_u32 v9, s29, v7
	s_mul_u64 s[34:35], s[36:37], s[2:3]
	s_and_b32 s3, s26, -4
	v_mov_b32_e32 v54, 0
	s_wait_alu 0xfffe
	v_add_nc_u32_e32 v24, s3, v20
	v_dual_mov_b32 v50, 0 :: v_dual_add_nc_u32 v11, s29, v9
	s_xor_b32 s15, s15, s11
	v_mad_co_u64_u32 v[3:4], null, v3, s38, v[2:3]
	s_delay_alu instid0(VALU_DEP_3) | instskip(NEXT) | instid1(VALU_DEP_3)
	v_add_nc_u32_e32 v28, s3, v24
	v_add_nc_u32_e32 v13, s29, v11
	s_wait_alu 0xfffe
	s_sub_co_i32 s11, s15, s11
	v_ashrrev_i32_e32 v8, 31, v7
	v_ashrrev_i32_e32 v10, 31, v9
	v_add_nc_u32_e32 v30, s3, v28
	v_add_nc_u32_e32 v15, s29, v13
	v_ashrrev_i32_e32 v12, 31, v11
	v_mov_b32_e32 v67, 0xfeffffff
	v_ashrrev_i32_e32 v14, 31, v13
	v_add_nc_u32_e32 v32, s3, v30
	v_add_nc_u32_e32 v17, s29, v15
	v_ashrrev_i32_e32 v16, 31, v15
	v_lshl_add_u32 v4, v6, 9, v41
	v_ashrrev_i32_e32 v21, 31, v20
	v_add_nc_u32_e32 v34, s3, v32
	v_add_nc_u32_e32 v22, s29, v17
	v_ashrrev_i32_e32 v18, 31, v17
	v_ashrrev_i32_e32 v25, 31, v24
	v_ashrrev_i32_e32 v29, 31, v28
	v_add_nc_u32_e32 v68, s3, v34
	v_add_nc_u32_e32 v26, s29, v22
	v_ashrrev_i32_e32 v23, 31, v22
	v_ashrrev_i32_e32 v31, 31, v30
	;; [unrolled: 1-line block ×3, first 2 shown]
	v_add_nc_u32_e32 v70, s3, v68
	v_ashrrev_i32_e32 v27, 31, v26
	v_ashrrev_i32_e32 v35, 31, v34
	;; [unrolled: 1-line block ×3, first 2 shown]
	s_add_nc_u64 s[6:7], s[6:7], s[24:25]
	v_ashrrev_i32_e32 v71, 31, v70
	s_mul_i32 s24, s11, s41
	v_add_nc_u32_e32 v56, v5, v41
	s_wait_alu 0xfffe
	s_ashr_i32 s25, s24, 31
	v_add_nc_u32_e32 v57, 0x800, v4
	s_wait_alu 0xfffe
	s_add_nc_u64 s[6:7], s[6:7], s[24:25]
	s_mul_i32 s24, s11, s27
	v_add_nc_u32_e32 v58, 0x1000, v4
	v_add_nc_u32_e32 v59, 0x1800, v4
	;; [unrolled: 1-line block ×6, first 2 shown]
	v_lshlrev_b64_e32 v[4:5], 2, v[7:8]
	v_lshlrev_b64_e32 v[6:7], 2, v[9:10]
	;; [unrolled: 1-line block ×16, first 2 shown]
	v_dual_mov_b32 v43, 32 :: v_dual_add_nc_u32 v44, 0x840, v42
	v_add_nc_u32_e32 v45, 0x1080, v42
	v_dual_mov_b32 v65, 0 :: v_dual_add_nc_u32 v46, 0x18c0, v42
	v_add_nc_u32_e32 v47, 0x2100, v42
	v_add_nc_u32_e32 v48, 0x2940, v42
	v_add_nc_u32_e32 v49, 0x3180, v42
	v_add_nc_u32_e32 v51, 0x39c0, v42
	v_mul_u32_u24_e32 v52, 0x210, v2
	v_lshl_add_u32 v55, v2, 1, v53
	s_add_nc_u64 s[8:9], s[8:9], s[34:35]
	s_wait_alu 0xfffe
	s_ashr_i32 s25, s24, 31
	s_ashr_i32 s21, s20, 31
	s_wait_alu 0xfffe
	s_add_nc_u64 s[8:9], s[8:9], s[24:25]
	s_ashr_i32 s15, s14, 31
	s_add_nc_u64 s[24:25], s[0:1], 0xd0
	s_mov_b32 s3, 0xbbbac73d
.LBB64_9:                               ; =>This Inner Loop Header: Depth=1
	s_ashr_i32 s11, s10, 31
	s_wait_alu 0xfffe
	s_mul_u64 s[26:27], s[10:11], s[20:21]
	s_wait_alu 0xfffe
	s_lshl_b64 s[26:27], s[26:27], 2
	s_wait_alu 0xfffe
	s_add_nc_u64 s[26:27], s[6:7], s[26:27]
	s_wait_alu 0xfffe
	v_add_co_u32 v36, vcc_lo, s26, v4
	s_wait_alu 0xfffd
	v_add_co_ci_u32_e64 v69, null, s27, v5, vcc_lo
	v_add_co_u32 v70, vcc_lo, s26, v6
	s_wait_alu 0xfffd
	v_add_co_ci_u32_e64 v71, null, s27, v7, vcc_lo
	;; [unrolled: 3-line block ×16, first 2 shown]
	s_clause 0x7
	global_load_b128 v[68:71], v[68:69], off
	global_load_b128 v[72:75], v[72:73], off
	;; [unrolled: 1-line block ×8, first 2 shown]
	v_mov_b32_e32 v36, 0
	s_wait_loadcnt 0x7
	ds_store_b128 v42, v[68:71]
	s_wait_loadcnt 0x6
	ds_store_b128 v44, v[72:75]
	s_wait_loadcnt 0x5
	ds_store_b128 v45, v[76:79]
	s_wait_loadcnt 0x4
	ds_store_b128 v46, v[80:83]
	s_wait_loadcnt 0x3
	ds_store_b128 v47, v[84:87]
	s_wait_loadcnt 0x2
	ds_store_b128 v48, v[88:91]
	s_wait_loadcnt 0x1
	ds_store_b128 v49, v[92:95]
	s_wait_loadcnt 0x0
	ds_store_b128 v51, v[96:99]
	s_wait_dscnt 0x0
	s_barrier_signal -1
	s_barrier_wait -1
	global_inv scope:SCOPE_SE
	ds_load_b128 v[68:71], v52
	ds_load_b128 v[72:75], v39
	s_wait_dscnt 0x0
	;;#ASMSTART
	v_dot2_f32_f16 v36, v68, v72, v36
	;;#ASMEND
	;;#ASMSTART
	v_dot2_f32_f16 v36, v69, v73, v36
	;;#ASMEND
	;;#ASMSTART
	v_dot2_f32_f16 v36, v70, v74, v36
	;;#ASMEND
	;;#ASMSTART
	v_dot2_f32_f16 v36, v71, v75, v36
	;;#ASMEND
	ds_load_b128 v[68:71], v52 offset:16
	ds_load_b128 v[72:75], v39 offset:16
	s_wait_dscnt 0x0
	;;#ASMSTART
	v_dot2_f32_f16 v36, v68, v72, v36
	;;#ASMEND
	;;#ASMSTART
	v_dot2_f32_f16 v36, v69, v73, v36
	;;#ASMEND
	;;#ASMSTART
	v_dot2_f32_f16 v36, v70, v74, v36
	;;#ASMEND
	;;#ASMSTART
	v_dot2_f32_f16 v36, v71, v75, v36
	;;#ASMEND
	ds_load_b128 v[68:71], v52 offset:32
	ds_load_b128 v[72:75], v39 offset:32
	;; [unrolled: 15-line block ×31, first 2 shown]
	v_add_nc_u32_e32 v76, s10, v3
	s_wait_dscnt 0x0
	;;#ASMSTART
	v_dot2_f32_f16 v36, v68, v72, v36
	;;#ASMEND
	s_delay_alu instid0(VALU_DEP_1)
	v_ashrrev_i32_e32 v77, 31, v76
	;;#ASMSTART
	v_dot2_f32_f16 v36, v69, v73, v36
	;;#ASMEND
	;;#ASMSTART
	v_dot2_f32_f16 v36, v70, v74, v36
	;;#ASMEND
	;; [unrolled: 3-line block ×3, first 2 shown]
	v_cmp_ngt_f32_e64 s26, 0x3f200000, |v36|
	v_lshlrev_b64_e32 v[76:77], 1, v[76:77]
                                        ; implicit-def: $vgpr69
	s_delay_alu instid0(VALU_DEP_1) | instskip(SKIP_1) | instid1(VALU_DEP_2)
	v_add_co_u32 v76, vcc_lo, s30, v76
	s_wait_alu 0xfffd
	v_add_co_ci_u32_e64 v77, null, s31, v77, vcc_lo
	global_load_u16 v68, v[76:77], off
	s_and_saveexec_b32 s27, s26
	s_wait_alu 0xfffe
	s_xor_b32 s26, exec_lo, s27
	s_cbranch_execz .LBB64_11
; %bb.10:                               ;   in Loop: Header=BB64_9 Depth=1
	v_add_f32_e64 v69, |v36|, |v36|
	s_delay_alu instid0(VALU_DEP_1) | instskip(SKIP_1) | instid1(VALU_DEP_2)
	v_mul_f32_e32 v70, 0x3fb8aa3b, v69
	v_cmp_ngt_f32_e32 vcc_lo, 0xc2ce8ed0, v69
	v_rndne_f32_e32 v71, v70
	v_fma_f32 v72, 0x3fb8aa3b, v69, -v70
	s_delay_alu instid0(VALU_DEP_2) | instskip(NEXT) | instid1(VALU_DEP_2)
	v_sub_f32_e32 v70, v70, v71
	v_fmac_f32_e32 v72, 0x32a5705f, v69
	v_cvt_i32_f32_e32 v71, v71
	s_delay_alu instid0(VALU_DEP_2) | instskip(NEXT) | instid1(VALU_DEP_1)
	v_add_f32_e32 v70, v70, v72
	v_exp_f32_e32 v70, v70
	s_delay_alu instid0(TRANS32_DEP_1) | instskip(SKIP_1) | instid1(VALU_DEP_1)
	v_ldexp_f32 v70, v70, v71
	s_wait_alu 0xfffd
	v_cndmask_b32_e32 v70, 0, v70, vcc_lo
	v_cmp_nlt_f32_e32 vcc_lo, 0x42b17218, v69
	s_wait_alu 0xfffd
	s_delay_alu instid0(VALU_DEP_2) | instskip(NEXT) | instid1(VALU_DEP_1)
	v_cndmask_b32_e32 v69, 0x7f800000, v70, vcc_lo
	v_add_f32_e32 v69, 1.0, v69
	s_delay_alu instid0(VALU_DEP_1) | instskip(NEXT) | instid1(TRANS32_DEP_1)
	v_rcp_f32_e32 v69, v69
	v_fma_f32 v69, v69, -2.0, 1.0
.LBB64_11:                              ;   in Loop: Header=BB64_9 Depth=1
	s_wait_alu 0xfffe
	s_and_not1_saveexec_b32 s26, s26
	s_cbranch_execz .LBB64_13
; %bb.12:                               ;   in Loop: Header=BB64_9 Depth=1
	v_mul_f32_e32 v69, v36, v36
	s_delay_alu instid0(VALU_DEP_1) | instskip(NEXT) | instid1(VALU_DEP_1)
	v_fmaak_f32 v70, s3, v69, 0x3ca908c9
	v_fmaak_f32 v70, v69, v70, 0xbd5c1c4e
	s_delay_alu instid0(VALU_DEP_1) | instskip(NEXT) | instid1(VALU_DEP_1)
	v_fmaak_f32 v70, v69, v70, 0x3e088382
	v_fmaak_f32 v70, v69, v70, 0xbeaaaa99
	s_delay_alu instid0(VALU_DEP_1) | instskip(NEXT) | instid1(VALU_DEP_1)
	v_mul_f32_e64 v70, |v36|, v70
	v_fma_f32 v69, v69, v70, |v36|
.LBB64_13:                              ;   in Loop: Header=BB64_9 Depth=1
	s_wait_alu 0xfffe
	s_or_b32 exec_lo, exec_lo, s26
	s_mul_u64 s[26:27], s[10:11], s[14:15]
	s_wait_loadcnt 0x0
	s_wait_alu 0xfffe
	s_lshl_b64 s[26:27], s[26:27], 2
	s_barrier_signal -1
	s_wait_alu 0xfffe
	s_add_nc_u64 s[26:27], s[8:9], s[26:27]
	s_barrier_wait -1
	s_wait_alu 0xfffe
	v_add_co_u32 v70, vcc_lo, s26, v20
	s_wait_alu 0xfffd
	v_add_co_ci_u32_e64 v71, null, s27, v21, vcc_lo
	v_add_co_u32 v72, vcc_lo, s26, v22
	s_wait_alu 0xfffd
	v_add_co_ci_u32_e64 v73, null, s27, v23, vcc_lo
	;; [unrolled: 3-line block ×16, first 2 shown]
	global_inv scope:SCOPE_SE
	s_clause 0x7
	global_load_b128 v[74:77], v[70:71], off
	global_load_b128 v[78:81], v[72:73], off
	;; [unrolled: 1-line block ×8, first 2 shown]
	v_bfi_b32 v36, 0x7fffffff, v69, v36
	v_xor_b32_e32 v70, 16, v40
	v_add_nc_u32_e32 v114, 0x800, v0
	v_add_nc_u32_e32 v130, 0x1000, v0
	;; [unrolled: 1-line block ×3, first 2 shown]
	v_fma_mix_f32 v73, s5, v36, v68 op_sel_hi:[0,0,1]
	v_cmp_gt_i32_e32 vcc_lo, 32, v70
	v_max_num_f32_e32 v36, v67, v67
	v_add_nc_u32_e32 v162, 0x2000, v0
	v_add_nc_u32_e32 v178, 0x2800, v0
	s_wait_alu 0xfffd
	v_dual_add_f32 v69, 0x40051340, v73 :: v_dual_cndmask_b32 v68, v40, v70
	v_add_nc_u32_e32 v194, 0x3000, v0
	v_add_nc_u32_e32 v210, 0x3800, v0
	s_delay_alu instid0(VALU_DEP_3) | instskip(NEXT) | instid1(VALU_DEP_4)
	v_max_num_f32_e32 v36, v36, v69
	v_lshlrev_b32_e32 v68, 2, v68
	ds_bpermute_b32 v69, v68, v36
	v_xor_b32_e32 v68, 8, v40
	s_delay_alu instid0(VALU_DEP_1) | instskip(SKIP_2) | instid1(VALU_DEP_1)
	v_cmp_gt_i32_e32 vcc_lo, 32, v68
	s_wait_alu 0xfffd
	v_cndmask_b32_e32 v71, v40, v68, vcc_lo
	v_lshlrev_b32_e32 v71, 2, v71
	s_wait_dscnt 0x0
	v_max_num_f32_e32 v69, v69, v69
	s_delay_alu instid0(VALU_DEP_1)
	v_max_num_f32_e32 v36, v36, v69
	v_xor_b32_e32 v69, 4, v40
	ds_bpermute_b32 v71, v71, v36
	v_cmp_gt_i32_e32 vcc_lo, 32, v69
	s_wait_alu 0xfffd
	v_cndmask_b32_e32 v72, v40, v69, vcc_lo
	s_wait_dscnt 0x0
	s_delay_alu instid0(VALU_DEP_1) | instskip(NEXT) | instid1(VALU_DEP_1)
	v_dual_max_num_f32 v71, v71, v71 :: v_dual_lshlrev_b32 v72, 2, v72
	v_max_num_f32_e32 v36, v36, v71
	v_xor_b32_e32 v71, 2, v40
	ds_bpermute_b32 v72, v72, v36
	v_cmp_gt_i32_e32 vcc_lo, 32, v71
	s_wait_alu 0xfffd
	v_cndmask_b32_e32 v106, v40, v71, vcc_lo
	s_delay_alu instid0(VALU_DEP_1) | instskip(SKIP_2) | instid1(VALU_DEP_1)
	v_lshlrev_b32_e32 v106, 2, v106
	s_wait_dscnt 0x0
	v_max_num_f32_e32 v72, v72, v72
	v_max_num_f32_e32 v36, v36, v72
	v_xor_b32_e32 v72, 1, v40
	ds_bpermute_b32 v106, v106, v36
	v_cmp_gt_i32_e32 vcc_lo, 32, v72
	s_wait_dscnt 0x0
	s_wait_alu 0xfffd
	v_dual_cndmask_b32 v107, v40, v72 :: v_dual_max_num_f32 v106, v106, v106
	s_delay_alu instid0(VALU_DEP_1) | instskip(SKIP_3) | instid1(VALU_DEP_1)
	v_dual_max_num_f32 v36, v36, v106 :: v_dual_lshlrev_b32 v107, 2, v107
	ds_bpermute_b32 v106, v107, v36
	s_wait_dscnt 0x0
	v_max_num_f32_e32 v106, v106, v106
	v_max_num_f32_e32 v36, v36, v106
	s_delay_alu instid0(VALU_DEP_1) | instskip(NEXT) | instid1(VALU_DEP_1)
	v_sub_f32_e32 v67, v67, v36
	v_dual_sub_f32 v73, v73, v36 :: v_dual_mul_f32 v106, 0x3fb8aa3b, v67
	s_delay_alu instid0(VALU_DEP_1) | instskip(SKIP_1) | instid1(VALU_DEP_3)
	v_mul_f32_e32 v109, 0x3fb8aa3b, v73
	v_cmp_ngt_f32_e32 vcc_lo, 0xc2ce8ed0, v67
	v_fma_f32 v107, 0x3fb8aa3b, v67, -v106
	v_rndne_f32_e32 v108, v106
	s_delay_alu instid0(VALU_DEP_4) | instskip(SKIP_1) | instid1(VALU_DEP_3)
	v_fma_f32 v110, 0x3fb8aa3b, v73, -v109
	v_rndne_f32_e32 v111, v109
	v_dual_fmac_f32 v107, 0x32a5705f, v67 :: v_dual_sub_f32 v106, v106, v108
	s_delay_alu instid0(VALU_DEP_3) | instskip(SKIP_1) | instid1(VALU_DEP_3)
	v_fmac_f32_e32 v110, 0x32a5705f, v73
	v_cvt_i32_f32_e32 v108, v108
	v_add_f32_e32 v106, v106, v107
	v_sub_f32_e32 v107, v109, v111
	s_delay_alu instid0(VALU_DEP_2) | instskip(NEXT) | instid1(VALU_DEP_1)
	v_exp_f32_e32 v106, v106
	v_add_f32_e32 v107, v107, v110
	s_delay_alu instid0(VALU_DEP_1) | instskip(NEXT) | instid1(TRANS32_DEP_2)
	v_exp_f32_e32 v107, v107
	v_ldexp_f32 v106, v106, v108
	v_cvt_i32_f32_e32 v108, v111
	s_wait_alu 0xfffd
	s_delay_alu instid0(VALU_DEP_2)
	v_cndmask_b32_e32 v106, 0, v106, vcc_lo
	v_cmp_nlt_f32_e32 vcc_lo, 0x42b17218, v67
	s_delay_alu instid0(TRANS32_DEP_1) | instid1(VALU_DEP_3)
	v_ldexp_f32 v107, v107, v108
	s_wait_alu 0xfffd
	s_delay_alu instid0(VALU_DEP_3) | instskip(SKIP_3) | instid1(VALU_DEP_3)
	v_cndmask_b32_e32 v67, 0x7f800000, v106, vcc_lo
	v_cmp_ngt_f32_e32 vcc_lo, 0xc2ce8ed0, v73
	s_wait_alu 0xfffd
	v_cndmask_b32_e32 v106, 0, v107, vcc_lo
	v_cvt_f16_f32_e32 v107, v67
	v_cmp_nlt_f32_e32 vcc_lo, 0x42b17218, v73
	s_wait_alu 0xfffd
	s_delay_alu instid0(VALU_DEP_3) | instskip(NEXT) | instid1(VALU_DEP_3)
	v_cndmask_b32_e32 v73, 0x7f800000, v106, vcc_lo
	v_and_b32_e32 v106, 0xffff, v107
	s_delay_alu instid0(VALU_DEP_2) | instskip(NEXT) | instid1(VALU_DEP_2)
	v_cvt_f16_f32_e32 v107, v73
	v_mul_u32_u24_e32 v214, 0x10001, v106
	v_fmac_f32_e32 v73, v66, v67
	ds_store_b16 v55, v107
	v_pk_mul_f16 v215, v65, v214
	v_pk_mul_f16 v216, v64, v214
	s_wait_loadcnt 0x7
	ds_store_b128 v56, v[74:77]
	s_wait_loadcnt 0x6
	ds_store_b128 v57, v[78:81]
	;; [unrolled: 2-line block ×8, first 2 shown]
	s_wait_dscnt 0x0
	s_barrier_signal -1
	s_barrier_wait -1
	global_inv scope:SCOPE_SE
	ds_load_2addr_b64 v[64:67], v0 offset1:32
	ds_load_b128 v[74:77], v53
	ds_load_b128 v[78:81], v53 offset:16
	ds_load_b128 v[82:85], v53 offset:32
	;; [unrolled: 1-line block ×3, first 2 shown]
	ds_load_2addr_b64 v[90:93], v0 offset0:64 offset1:96
	ds_load_2addr_b64 v[94:97], v0 offset0:128 offset1:160
	ds_load_2addr_b64 v[98:101], v0 offset0:192 offset1:224
	ds_load_2addr_b64 v[102:105], v114 offset1:32
	ds_load_2addr_b64 v[106:109], v114 offset0:64 offset1:96
	ds_load_2addr_b64 v[110:113], v114 offset0:128 offset1:160
	ds_load_2addr_b64 v[114:117], v114 offset0:192 offset1:224
	ds_load_2addr_b64 v[118:121], v130 offset1:32
	;; [unrolled: 4-line block ×7, first 2 shown]
	ds_load_2addr_b64 v[202:205], v210 offset0:64 offset1:96
	ds_load_2addr_b64 v[206:209], v210 offset0:128 offset1:160
	;; [unrolled: 1-line block ×3, first 2 shown]
	s_wait_dscnt 0x22
	v_lshrrev_b32_e32 v217, 16, v74
	v_and_b32_e32 v74, 0xffff, v74
	v_lshrrev_b32_e32 v218, 16, v75
	v_and_b32_e32 v75, 0xffff, v75
	v_lshrrev_b32_e32 v219, 16, v76
	v_mul_u32_u24_e32 v217, 0x10001, v217
	v_mul_u32_u24_e32 v74, 0x10001, v74
	v_and_b32_e32 v76, 0xffff, v76
	v_lshrrev_b32_e32 v220, 16, v77
	v_and_b32_e32 v77, 0xffff, v77
	s_wait_dscnt 0x21
	v_lshrrev_b32_e32 v221, 16, v78
	v_pk_mul_f16 v64, v64, v74
	v_pk_mul_f16 v65, v65, v74
	v_pk_fma_f16 v66, v66, v74, v215
	v_pk_fma_f16 v67, v67, v74, v216
	v_and_b32_e32 v78, 0xffff, v78
	v_pk_fma_f16 v50, v50, v214, v64
	v_pk_fma_f16 v54, v54, v214, v65
	v_mul_u32_u24_e32 v64, 0x10001, v75
	s_wait_dscnt 0x1e
	v_pk_fma_f16 v65, v92, v217, v66
	v_pk_fma_f16 v66, v93, v217, v67
	v_pk_fma_f16 v50, v90, v217, v50
	v_pk_fma_f16 v54, v91, v217, v54
	v_mul_u32_u24_e32 v67, 0x10001, v218
	s_wait_dscnt 0x1d
	v_pk_fma_f16 v65, v96, v64, v65
	v_pk_fma_f16 v66, v97, v64, v66
	;; [unrolled: 6-line block ×7, first 2 shown]
	v_pk_fma_f16 v50, v114, v67, v50
	v_pk_fma_f16 v54, v115, v67, v54
	v_lshrrev_b32_e32 v222, 16, v79
	v_and_b32_e32 v79, 0xffff, v79
	v_mul_u32_u24_e32 v67, 0x10001, v221
	s_wait_dscnt 0x17
	v_pk_fma_f16 v65, v120, v64, v65
	v_pk_fma_f16 v66, v121, v64, v66
	v_pk_fma_f16 v50, v118, v64, v50
	v_pk_fma_f16 v54, v119, v64, v54
	v_mul_u32_u24_e32 v64, 0x10001, v79
	s_wait_dscnt 0x16
	v_pk_fma_f16 v65, v124, v67, v65
	v_pk_fma_f16 v66, v125, v67, v66
	v_pk_fma_f16 v50, v122, v67, v50
	v_pk_fma_f16 v54, v123, v67, v54
	v_lshrrev_b32_e32 v223, 16, v80
	v_and_b32_e32 v80, 0xffff, v80
	v_mul_u32_u24_e32 v67, 0x10001, v222
	s_wait_dscnt 0x15
	v_pk_fma_f16 v65, v128, v64, v65
	v_pk_fma_f16 v66, v129, v64, v66
	v_pk_fma_f16 v50, v126, v64, v50
	v_pk_fma_f16 v54, v127, v64, v54
	v_mul_u32_u24_e32 v64, 0x10001, v80
	s_wait_dscnt 0x14
	v_pk_fma_f16 v65, v132, v67, v65
	v_pk_fma_f16 v66, v133, v67, v66
	;; [unrolled: 14-line block ×9, first 2 shown]
	v_pk_fma_f16 v50, v186, v67, v50
	v_pk_fma_f16 v54, v187, v67, v54
	v_lshrrev_b32_e32 v231, 16, v88
	v_and_b32_e32 v88, 0xffff, v88
	v_mul_u32_u24_e32 v67, 0x10001, v230
	s_wait_dscnt 0x5
	v_pk_fma_f16 v65, v192, v64, v65
	v_pk_fma_f16 v66, v193, v64, v66
	;; [unrolled: 1-line block ×4, first 2 shown]
	s_wait_loadcnt_dscnt 0x0
	s_barrier_signal -1
	s_barrier_wait -1
	global_inv scope:SCOPE_SE
	s_load_b32 s11, s[24:25], 0x4
	v_mul_u32_u24_e32 v64, 0x10001, v88
	v_pk_fma_f16 v65, v196, v67, v65
	v_pk_fma_f16 v66, v197, v67, v66
	;; [unrolled: 1-line block ×4, first 2 shown]
	v_lshrrev_b32_e32 v232, 16, v89
	v_and_b32_e32 v89, 0xffff, v89
	v_mul_u32_u24_e32 v67, 0x10001, v231
	v_pk_fma_f16 v65, v200, v64, v65
	v_pk_fma_f16 v66, v201, v64, v66
	v_pk_fma_f16 v50, v198, v64, v50
	v_pk_fma_f16 v54, v199, v64, v54
	v_mul_u32_u24_e32 v64, 0x10001, v89
	v_pk_fma_f16 v65, v204, v67, v65
	v_pk_fma_f16 v66, v205, v67, v66
	v_pk_fma_f16 v50, v202, v67, v50
	v_pk_fma_f16 v54, v203, v67, v54
	;; [unrolled: 5-line block ×3, first 2 shown]
	s_wait_kmcnt 0x0
	s_lshl_b32 s11, s11, 5
	v_pk_fma_f16 v65, v212, v67, v65
	v_pk_fma_f16 v64, v213, v67, v66
	;; [unrolled: 1-line block ×4, first 2 shown]
	s_wait_alu 0xfffe
	s_add_co_i32 s10, s11, s10
	s_wait_alu 0xfffe
	s_cmp_ge_i32 s10, s28
	s_cbranch_scc1 .LBB64_15
; %bb.14:                               ;   in Loop: Header=BB64_9 Depth=1
	v_dual_mov_b32 v67, v36 :: v_dual_mov_b32 v66, v73
	s_branch .LBB64_9
.LBB64_15:
	v_mov_b32_e32 v4, v40
.LBB64_16:
	v_cmp_lt_i32_e32 vcc_lo, v70, v43
	s_cmp_lg_u64 s[12:13], 0
	s_cselect_b32 s3, -1, 0
	s_cmp_eq_u32 s4, 0
	s_wait_alu 0xfffd
	v_cndmask_b32_e32 v0, v4, v70, vcc_lo
	v_cmp_lt_i32_e32 vcc_lo, v68, v43
	s_cselect_b32 s5, -1, 0
	s_wait_alu 0xfffe
	s_and_b32 s3, s5, s3
	s_wait_alu 0xfffd
	v_cndmask_b32_e32 v3, v4, v68, vcc_lo
	v_cmp_lt_i32_e32 vcc_lo, v69, v43
	s_delay_alu instid0(VALU_DEP_2)
	v_lshlrev_b32_e32 v3, 2, v3
	s_wait_alu 0xfffd
	v_dual_cndmask_b32 v5, v4, v69 :: v_dual_lshlrev_b32 v0, 2, v0
	v_cmp_lt_i32_e32 vcc_lo, v71, v43
	ds_bpermute_b32 v0, v0, v73
	s_wait_dscnt 0x0
	v_dual_add_f32 v0, v73, v0 :: v_dual_lshlrev_b32 v5, 2, v5
	ds_bpermute_b32 v3, v3, v0
	s_wait_dscnt 0x0
	v_add_f32_e32 v0, v0, v3
	ds_bpermute_b32 v3, v5, v0
	s_wait_alu 0xfffd
	v_cndmask_b32_e32 v5, v4, v71, vcc_lo
	v_cmp_lt_i32_e32 vcc_lo, v72, v43
	s_wait_alu 0xfffd
	v_cndmask_b32_e32 v4, v4, v72, vcc_lo
	s_wait_alu 0xfffe
	s_and_b32 vcc_lo, exec_lo, s3
	s_delay_alu instid0(VALU_DEP_1)
	v_lshlrev_b32_e32 v4, 2, v4
	s_wait_dscnt 0x0
	v_dual_add_f32 v0, v0, v3 :: v_dual_lshlrev_b32 v5, 2, v5
	ds_bpermute_b32 v3, v5, v0
	s_wait_dscnt 0x0
	v_dual_add_f32 v0, v0, v3 :: v_dual_add_nc_u32 v3, s33, v37
	ds_bpermute_b32 v4, v4, v0
	s_wait_dscnt 0x0
	v_add_f32_e32 v37, v0, v4
	s_wait_alu 0xfffe
	s_cbranch_vccz .LBB64_18
; %bb.17:
	v_ashrrev_i32_e32 v4, 31, v3
	s_delay_alu instid0(VALU_DEP_1) | instskip(NEXT) | instid1(VALU_DEP_1)
	v_lshlrev_b64_e32 v[4:5], 2, v[3:4]
	v_add_co_u32 v4, vcc_lo, s12, v4
	s_wait_alu 0xfffd
	s_delay_alu instid0(VALU_DEP_2) | instskip(SKIP_4) | instid1(VALU_DEP_1)
	v_add_co_ci_u32_e64 v5, null, s13, v5, vcc_lo
	global_load_b32 v0, v[4:5], off
	v_max_num_f32_e32 v4, v36, v36
	s_wait_loadcnt 0x0
	v_max_num_f32_e32 v5, v0, v0
	v_max_num_f32_e32 v4, v4, v5
	s_delay_alu instid0(VALU_DEP_1) | instskip(NEXT) | instid1(VALU_DEP_1)
	v_sub_f32_e32 v0, v0, v4
	v_mul_f32_e32 v9, 0x3fb8aa3b, v0
	v_sub_f32_e32 v5, v36, v4
	v_mov_b32_e32 v36, v4
	s_delay_alu instid0(VALU_DEP_3) | instskip(NEXT) | instid1(VALU_DEP_3)
	v_rndne_f32_e32 v11, v9
	v_mul_f32_e32 v6, 0x3fb8aa3b, v5
	v_fma_f32 v10, 0x3fb8aa3b, v0, -v9
	v_cmp_ngt_f32_e32 vcc_lo, 0xc2ce8ed0, v5
	s_delay_alu instid0(VALU_DEP_3) | instskip(SKIP_1) | instid1(VALU_DEP_2)
	v_fma_f32 v7, 0x3fb8aa3b, v5, -v6
	v_rndne_f32_e32 v8, v6
	v_dual_fmac_f32 v10, 0x32a5705f, v0 :: v_dual_fmac_f32 v7, 0x32a5705f, v5
	s_delay_alu instid0(VALU_DEP_2) | instskip(SKIP_1) | instid1(VALU_DEP_2)
	v_sub_f32_e32 v6, v6, v8
	v_cvt_i32_f32_e32 v8, v8
	v_add_f32_e32 v6, v6, v7
	v_sub_f32_e32 v7, v9, v11
	s_delay_alu instid0(VALU_DEP_2) | instskip(NEXT) | instid1(VALU_DEP_1)
	v_exp_f32_e32 v6, v6
	v_add_f32_e32 v7, v7, v10
	s_delay_alu instid0(VALU_DEP_1) | instskip(NEXT) | instid1(TRANS32_DEP_2)
	v_exp_f32_e32 v7, v7
	v_ldexp_f32 v6, v6, v8
	v_cvt_i32_f32_e32 v8, v11
	s_wait_alu 0xfffd
	s_delay_alu instid0(VALU_DEP_2)
	v_cndmask_b32_e32 v6, 0, v6, vcc_lo
	v_cmp_nlt_f32_e32 vcc_lo, 0x42b17218, v5
	s_delay_alu instid0(TRANS32_DEP_1) | instid1(VALU_DEP_3)
	v_ldexp_f32 v7, v7, v8
	s_wait_alu 0xfffd
	s_delay_alu instid0(VALU_DEP_3) | instskip(SKIP_3) | instid1(VALU_DEP_3)
	v_cndmask_b32_e32 v5, 0x7f800000, v6, vcc_lo
	v_cmp_ngt_f32_e32 vcc_lo, 0xc2ce8ed0, v0
	s_wait_alu 0xfffd
	v_cndmask_b32_e32 v6, 0, v7, vcc_lo
	v_cvt_f16_f32_e32 v7, v5
	v_cmp_nlt_f32_e32 vcc_lo, 0x42b17218, v0
	s_wait_alu 0xfffd
	s_delay_alu instid0(VALU_DEP_3) | instskip(NEXT) | instid1(VALU_DEP_3)
	v_cndmask_b32_e32 v0, 0x7f800000, v6, vcc_lo
	v_and_b32_e32 v6, 0xffff, v7
	s_delay_alu instid0(VALU_DEP_2) | instskip(NEXT) | instid1(VALU_DEP_2)
	v_fmac_f32_e32 v0, v37, v5
	v_mul_u32_u24_e32 v5, 0x10001, v6
	s_delay_alu instid0(VALU_DEP_2) | instskip(NEXT) | instid1(VALU_DEP_2)
	v_mov_b32_e32 v37, v0
	v_pk_mul_f16 v50, v50, v5
	v_pk_mul_f16 v54, v54, v5
	;; [unrolled: 1-line block ×4, first 2 shown]
.LBB64_18:
	s_delay_alu instid0(VALU_DEP_1)
	v_div_scale_f32 v4, null, v37, v37, 1.0
	s_load_b32 s1, s[0:1], 0xd4
	v_mad_co_u64_u32 v[0:1], null, s2, s22, v[1:2]
	v_rcp_f32_e32 v5, v4
	v_div_scale_f32 v7, vcc_lo, 1.0, v37, 1.0
	v_cmp_eq_u32_e64 s0, 0, v2
	v_lshrrev_b32_e32 v9, 16, v50
	v_lshrrev_b32_e32 v10, 16, v64
	v_mad_co_u64_u32 v[0:1], null, v0, s23, v[3:4]
	v_lshrrev_b32_e32 v3, 16, v54
	s_delay_alu instid0(VALU_DEP_4) | instskip(NEXT) | instid1(TRANS32_DEP_1)
	v_cvt_f32_f16_e32 v17, v9
	v_fma_f32 v6, -v4, v5, 1.0
	v_lshrrev_b32_e32 v11, 16, v65
	v_cvt_f32_f16_e32 v13, v50
	v_cvt_f32_f16_e32 v16, v3
	;; [unrolled: 1-line block ×3, first 2 shown]
	v_dual_fmac_f32 v5, v6, v5 :: v_dual_mov_b32 v2, 0
	v_cvt_f32_f16_e32 v6, v54
	s_wait_kmcnt 0x0
	v_mad_co_u64_u32 v[0:1], null, s1, v0, s[4:5]
	s_delay_alu instid0(VALU_DEP_3)
	v_mul_f32_e32 v8, v7, v5
	s_cmp_lg_u32 s1, 1
	v_cvt_f32_f16_e32 v15, v65
	s_cselect_b32 s1, -1, 0
	v_cvt_f32_f16_e32 v18, v11
	v_fma_f32 v1, -v4, v8, v7
	s_wait_alu 0xfffe
	s_and_b32 s0, s0, s1
	s_delay_alu instid0(VALU_DEP_1) | instskip(SKIP_1) | instid1(VALU_DEP_2)
	v_fmac_f32_e32 v8, v1, v5
	v_lshl_add_u32 v1, v0, 8, v38
	v_fma_f32 v7, -v4, v8, v7
	s_delay_alu instid0(VALU_DEP_2) | instskip(SKIP_1) | instid1(VALU_DEP_2)
	v_lshlrev_b64_e32 v[3:4], 2, v[1:2]
	s_wait_alu 0xfffd
	v_div_fmas_f32 v5, v7, v5, v8
	v_cvt_f32_f16_e32 v7, v10
	s_delay_alu instid0(VALU_DEP_3) | instskip(SKIP_3) | instid1(VALU_DEP_1)
	v_add_co_u32 v9, vcc_lo, s16, v3
	s_wait_alu 0xfffd
	v_add_co_ci_u32_e64 v10, null, s17, v4, vcc_lo
	v_div_fixup_f32 v5, v5, v37, 1.0
	v_cndmask_b32_e64 v5, v5, 1.0, s1
	s_delay_alu instid0(VALU_DEP_1) | instskip(NEXT) | instid1(VALU_DEP_1)
	v_dual_mul_f32 v4, v5, v16 :: v_dual_add_nc_u32 v1, 0x80, v1
	v_lshlrev_b64_e32 v[1:2], 2, v[1:2]
	v_mul_f32_e32 v3, v5, v6
	v_mul_f32_e32 v8, v5, v7
	;; [unrolled: 1-line block ×4, first 2 shown]
	v_add_co_u32 v11, vcc_lo, s16, v1
	s_wait_alu 0xfffd
	v_add_co_ci_u32_e64 v12, null, s17, v2, vcc_lo
	v_mul_f32_e32 v2, v5, v17
	v_mul_f32_e32 v1, v5, v13
	;; [unrolled: 1-line block ×3, first 2 shown]
	s_clause 0x1
	global_store_b128 v[9:10], v[1:4], off
	global_store_b128 v[11:12], v[5:8], off
	s_wait_alu 0xfffe
	s_and_saveexec_b32 s1, s0
	s_cbranch_execz .LBB64_20
; %bb.19:
	v_ashrrev_i32_e32 v1, 31, v0
	s_delay_alu instid0(VALU_DEP_1) | instskip(NEXT) | instid1(VALU_DEP_1)
	v_lshlrev_b64_e32 v[0:1], 3, v[0:1]
	v_add_co_u32 v0, vcc_lo, s18, v0
	s_wait_alu 0xfffd
	s_delay_alu instid0(VALU_DEP_2)
	v_add_co_ci_u32_e64 v1, null, s19, v1, vcc_lo
	global_store_b64 v[0:1], v[36:37], off
.LBB64_20:
	s_nop 0
	s_sendmsg sendmsg(MSG_DEALLOC_VGPRS)
	s_endpgm
	.section	.rodata,"a",@progbits
	.p2align	6, 0x0
	.amdhsa_kernel _ZL15flash_attn_tileILi256ELi256ELi1ELi4ELb1EEvPKcS1_S1_S1_S1_PKiPfP15HIP_vector_typeIfLj2EEffffjfiS5_IjLj3EEiiiiiiiiiiiliiliiiiil
		.amdhsa_group_segment_fixed_size 19200
		.amdhsa_private_segment_fixed_size 0
		.amdhsa_kernarg_size 464
		.amdhsa_user_sgpr_count 2
		.amdhsa_user_sgpr_dispatch_ptr 0
		.amdhsa_user_sgpr_queue_ptr 0
		.amdhsa_user_sgpr_kernarg_segment_ptr 1
		.amdhsa_user_sgpr_dispatch_id 0
		.amdhsa_user_sgpr_private_segment_size 0
		.amdhsa_wavefront_size32 1
		.amdhsa_uses_dynamic_stack 0
		.amdhsa_enable_private_segment 0
		.amdhsa_system_sgpr_workgroup_id_x 1
		.amdhsa_system_sgpr_workgroup_id_y 1
		.amdhsa_system_sgpr_workgroup_id_z 1
		.amdhsa_system_sgpr_workgroup_info 0
		.amdhsa_system_vgpr_workitem_id 1
		.amdhsa_next_free_vgpr 233
		.amdhsa_next_free_sgpr 43
		.amdhsa_reserve_vcc 1
		.amdhsa_float_round_mode_32 0
		.amdhsa_float_round_mode_16_64 0
		.amdhsa_float_denorm_mode_32 3
		.amdhsa_float_denorm_mode_16_64 3
		.amdhsa_fp16_overflow 0
		.amdhsa_workgroup_processor_mode 1
		.amdhsa_memory_ordered 1
		.amdhsa_forward_progress 1
		.amdhsa_inst_pref_size 60
		.amdhsa_round_robin_scheduling 0
		.amdhsa_exception_fp_ieee_invalid_op 0
		.amdhsa_exception_fp_denorm_src 0
		.amdhsa_exception_fp_ieee_div_zero 0
		.amdhsa_exception_fp_ieee_overflow 0
		.amdhsa_exception_fp_ieee_underflow 0
		.amdhsa_exception_fp_ieee_inexact 0
		.amdhsa_exception_int_div_zero 0
	.end_amdhsa_kernel
	.section	.text._ZL15flash_attn_tileILi256ELi256ELi1ELi4ELb1EEvPKcS1_S1_S1_S1_PKiPfP15HIP_vector_typeIfLj2EEffffjfiS5_IjLj3EEiiiiiiiiiiiliiliiiiil,"axG",@progbits,_ZL15flash_attn_tileILi256ELi256ELi1ELi4ELb1EEvPKcS1_S1_S1_S1_PKiPfP15HIP_vector_typeIfLj2EEffffjfiS5_IjLj3EEiiiiiiiiiiiliiliiiiil,comdat
.Lfunc_end64:
	.size	_ZL15flash_attn_tileILi256ELi256ELi1ELi4ELb1EEvPKcS1_S1_S1_S1_PKiPfP15HIP_vector_typeIfLj2EEffffjfiS5_IjLj3EEiiiiiiiiiiiliiliiiiil, .Lfunc_end64-_ZL15flash_attn_tileILi256ELi256ELi1ELi4ELb1EEvPKcS1_S1_S1_S1_PKiPfP15HIP_vector_typeIfLj2EEffffjfiS5_IjLj3EEiiiiiiiiiiiliiliiiiil
                                        ; -- End function
	.set _ZL15flash_attn_tileILi256ELi256ELi1ELi4ELb1EEvPKcS1_S1_S1_S1_PKiPfP15HIP_vector_typeIfLj2EEffffjfiS5_IjLj3EEiiiiiiiiiiiliiliiiiil.num_vgpr, 233
	.set _ZL15flash_attn_tileILi256ELi256ELi1ELi4ELb1EEvPKcS1_S1_S1_S1_PKiPfP15HIP_vector_typeIfLj2EEffffjfiS5_IjLj3EEiiiiiiiiiiiliiliiiiil.num_agpr, 0
	.set _ZL15flash_attn_tileILi256ELi256ELi1ELi4ELb1EEvPKcS1_S1_S1_S1_PKiPfP15HIP_vector_typeIfLj2EEffffjfiS5_IjLj3EEiiiiiiiiiiiliiliiiiil.numbered_sgpr, 43
	.set _ZL15flash_attn_tileILi256ELi256ELi1ELi4ELb1EEvPKcS1_S1_S1_S1_PKiPfP15HIP_vector_typeIfLj2EEffffjfiS5_IjLj3EEiiiiiiiiiiiliiliiiiil.num_named_barrier, 0
	.set _ZL15flash_attn_tileILi256ELi256ELi1ELi4ELb1EEvPKcS1_S1_S1_S1_PKiPfP15HIP_vector_typeIfLj2EEffffjfiS5_IjLj3EEiiiiiiiiiiiliiliiiiil.private_seg_size, 0
	.set _ZL15flash_attn_tileILi256ELi256ELi1ELi4ELb1EEvPKcS1_S1_S1_S1_PKiPfP15HIP_vector_typeIfLj2EEffffjfiS5_IjLj3EEiiiiiiiiiiiliiliiiiil.uses_vcc, 1
	.set _ZL15flash_attn_tileILi256ELi256ELi1ELi4ELb1EEvPKcS1_S1_S1_S1_PKiPfP15HIP_vector_typeIfLj2EEffffjfiS5_IjLj3EEiiiiiiiiiiiliiliiiiil.uses_flat_scratch, 0
	.set _ZL15flash_attn_tileILi256ELi256ELi1ELi4ELb1EEvPKcS1_S1_S1_S1_PKiPfP15HIP_vector_typeIfLj2EEffffjfiS5_IjLj3EEiiiiiiiiiiiliiliiiiil.has_dyn_sized_stack, 0
	.set _ZL15flash_attn_tileILi256ELi256ELi1ELi4ELb1EEvPKcS1_S1_S1_S1_PKiPfP15HIP_vector_typeIfLj2EEffffjfiS5_IjLj3EEiiiiiiiiiiiliiliiiiil.has_recursion, 0
	.set _ZL15flash_attn_tileILi256ELi256ELi1ELi4ELb1EEvPKcS1_S1_S1_S1_PKiPfP15HIP_vector_typeIfLj2EEffffjfiS5_IjLj3EEiiiiiiiiiiiliiliiiiil.has_indirect_call, 0
	.section	.AMDGPU.csdata,"",@progbits
; Kernel info:
; codeLenInByte = 7648
; TotalNumSgprs: 45
; NumVgprs: 233
; ScratchSize: 0
; MemoryBound: 0
; FloatMode: 240
; IeeeMode: 1
; LDSByteSize: 19200 bytes/workgroup (compile time only)
; SGPRBlocks: 0
; VGPRBlocks: 29
; NumSGPRsForWavesPerEU: 45
; NumVGPRsForWavesPerEU: 233
; Occupancy: 6
; WaveLimiterHint : 1
; COMPUTE_PGM_RSRC2:SCRATCH_EN: 0
; COMPUTE_PGM_RSRC2:USER_SGPR: 2
; COMPUTE_PGM_RSRC2:TRAP_HANDLER: 0
; COMPUTE_PGM_RSRC2:TGID_X_EN: 1
; COMPUTE_PGM_RSRC2:TGID_Y_EN: 1
; COMPUTE_PGM_RSRC2:TGID_Z_EN: 1
; COMPUTE_PGM_RSRC2:TIDIG_COMP_CNT: 1
	.section	.text._ZL15flash_attn_tileILi256ELi256ELi16ELi2ELb1EEvPKcS1_S1_S1_S1_PKiPfP15HIP_vector_typeIfLj2EEffffjfiS5_IjLj3EEiiiiiiiiiiiliiliiiiil,"axG",@progbits,_ZL15flash_attn_tileILi256ELi256ELi16ELi2ELb1EEvPKcS1_S1_S1_S1_PKiPfP15HIP_vector_typeIfLj2EEffffjfiS5_IjLj3EEiiiiiiiiiiiliiliiiiil,comdat
	.globl	_ZL15flash_attn_tileILi256ELi256ELi16ELi2ELb1EEvPKcS1_S1_S1_S1_PKiPfP15HIP_vector_typeIfLj2EEffffjfiS5_IjLj3EEiiiiiiiiiiiliiliiiiil ; -- Begin function _ZL15flash_attn_tileILi256ELi256ELi16ELi2ELb1EEvPKcS1_S1_S1_S1_PKiPfP15HIP_vector_typeIfLj2EEffffjfiS5_IjLj3EEiiiiiiiiiiiliiliiiiil
	.p2align	8
	.type	_ZL15flash_attn_tileILi256ELi256ELi16ELi2ELb1EEvPKcS1_S1_S1_S1_PKiPfP15HIP_vector_typeIfLj2EEffffjfiS5_IjLj3EEiiiiiiiiiiiliiliiiiil,@function
_ZL15flash_attn_tileILi256ELi256ELi16ELi2ELb1EEvPKcS1_S1_S1_S1_PKiPfP15HIP_vector_typeIfLj2EEffffjfiS5_IjLj3EEiiiiiiiiiiiliiliiiiil: ; @_ZL15flash_attn_tileILi256ELi256ELi16ELi2ELb1EEvPKcS1_S1_S1_S1_PKiPfP15HIP_vector_typeIfLj2EEffffjfiS5_IjLj3EEiiiiiiiiiiiliiliiiiil
; %bb.0:
	s_clause 0x1
	s_load_b128 s[20:23], s[0:1], 0x5c
	s_load_b64 s[30:31], s[0:1], 0x80
	s_lshr_b32 s5, ttmp7, 16
	s_load_b64 s[38:39], s[0:1], 0xb8
	s_mov_b32 s37, 0
	s_mov_b64 s[34:35], 0
	s_wait_kmcnt 0x0
	s_lshr_b32 s2, s23, 31
	s_delay_alu instid0(SALU_CYCLE_1) | instskip(NEXT) | instid1(SALU_CYCLE_1)
	s_add_co_i32 s2, s23, s2
	s_ashr_i32 s2, s2, 1
	s_delay_alu instid0(SALU_CYCLE_1) | instskip(SKIP_1) | instid1(SALU_CYCLE_2)
	s_cvt_f32_u32 s3, s2
	s_sub_co_i32 s4, 0, s2
	v_rcp_iflag_f32_e32 v1, s3
	s_delay_alu instid0(TRANS32_DEP_1) | instskip(SKIP_2) | instid1(SALU_CYCLE_2)
	v_readfirstlane_b32 s3, v1
	s_mul_f32 s3, s3, 0x4f7ffffe
	s_wait_alu 0xfffe
	s_cvt_u32_f32 s3, s3
	s_wait_alu 0xfffe
	s_delay_alu instid0(SALU_CYCLE_2) | instskip(NEXT) | instid1(SALU_CYCLE_1)
	s_mul_i32 s4, s4, s3
	s_mul_hi_u32 s4, s3, s4
	s_delay_alu instid0(SALU_CYCLE_1)
	s_add_co_i32 s3, s3, s4
	s_wait_alu 0xfffe
	s_mul_hi_u32 s3, s5, s3
	s_wait_alu 0xfffe
	s_mul_i32 s4, s3, s2
	s_add_co_i32 s6, s3, 1
	s_sub_co_i32 s4, s5, s4
	s_delay_alu instid0(SALU_CYCLE_1)
	s_sub_co_i32 s7, s4, s2
	s_cmp_ge_u32 s4, s2
	s_cselect_b32 s3, s6, s3
	s_cselect_b32 s4, s7, s4
	s_wait_alu 0xfffe
	s_add_co_i32 s6, s3, 1
	s_cmp_ge_u32 s4, s2
	s_cselect_b32 s28, s6, s3
	s_abs_i32 s3, s31
	s_abs_i32 s7, s23
	s_wait_alu 0xfffe
	s_cvt_f32_u32 s2, s3
	s_sub_co_i32 s4, 0, s3
	s_lshl_b32 s5, s5, 1
	s_mul_i32 s6, s28, s23
	s_wait_alu 0xfffe
	v_rcp_iflag_f32_e32 v1, s2
	s_delay_alu instid0(TRANS32_DEP_1) | instskip(SKIP_2) | instid1(SALU_CYCLE_2)
	v_readfirstlane_b32 s2, v1
	s_mul_f32 s2, s2, 0x4f7ffffe
	s_wait_alu 0xfffe
	s_cvt_u32_f32 s2, s2
	s_wait_alu 0xfffe
	s_delay_alu instid0(SALU_CYCLE_2) | instskip(NEXT) | instid1(SALU_CYCLE_1)
	s_mul_i32 s4, s4, s2
	s_mul_hi_u32 s4, s2, s4
	s_delay_alu instid0(SALU_CYCLE_1)
	s_add_co_i32 s4, s2, s4
	s_sub_co_i32 s2, s5, s6
	s_mul_hi_u32 s4, s7, s4
	s_xor_b32 s5, s23, s31
	s_mul_i32 s6, s4, s3
	s_ashr_i32 s24, s5, 31
	s_sub_co_i32 s5, s7, s6
	s_add_co_i32 s6, s4, 1
	s_sub_co_i32 s7, s5, s3
	s_cmp_ge_u32 s5, s3
	s_cselect_b32 s4, s6, s4
	s_cselect_b32 s5, s7, s5
	s_add_co_i32 s6, s4, 1
	s_cmp_ge_u32 s5, s3
	s_cselect_b32 s3, s6, s4
	s_load_b512 s[4:19], s[0:1], 0x0
	s_xor_b32 s3, s3, s24
	s_wait_alu 0xfffe
	s_sub_co_i32 s40, s3, s24
	s_delay_alu instid0(SALU_CYCLE_1) | instskip(NEXT) | instid1(SALU_CYCLE_1)
	s_abs_i32 s33, s40
	s_cvt_f32_u32 s3, s33
	s_wait_alu 0xfffe
	s_delay_alu instid0(SALU_CYCLE_2) | instskip(SKIP_2) | instid1(TRANS32_DEP_1)
	v_rcp_iflag_f32_e32 v1, s3
	s_wait_kmcnt 0x0
	s_cmp_eq_u64 s[10:11], 0
	v_readfirstlane_b32 s3, v1
	s_cbranch_scc1 .LBB65_2
; %bb.1:
	s_abs_i32 s26, s38
	s_delay_alu instid0(SALU_CYCLE_1) | instskip(NEXT) | instid1(SALU_CYCLE_3)
	s_cvt_f32_u32 s24, s26
	v_rcp_iflag_f32_e32 v1, s24
	s_delay_alu instid0(TRANS32_DEP_1) | instskip(SKIP_2) | instid1(SALU_CYCLE_2)
	v_readfirstlane_b32 s24, v1
	s_mul_f32 s24, s24, 0x4f7ffffe
	s_wait_alu 0xfffe
	s_cvt_u32_f32 s27, s24
	s_sub_co_i32 s24, 0, s26
	s_wait_alu 0xfffe
	s_delay_alu instid0(SALU_CYCLE_1) | instskip(SKIP_4) | instid1(SALU_CYCLE_1)
	s_mul_i32 s24, s24, s27
	s_wait_alu 0xfffe
	s_mul_hi_u32 s29, s27, s24
	s_load_b64 s[24:25], s[0:1], 0xc8
	s_add_co_i32 s27, s27, s29
	s_mul_hi_u32 s27, s28, s27
	s_delay_alu instid0(SALU_CYCLE_1) | instskip(NEXT) | instid1(SALU_CYCLE_1)
	s_mul_i32 s27, s27, s26
	s_sub_co_i32 s27, s28, s27
	s_delay_alu instid0(SALU_CYCLE_1) | instskip(SKIP_2) | instid1(SALU_CYCLE_1)
	s_sub_co_i32 s29, s27, s26
	s_cmp_ge_u32 s27, s26
	s_cselect_b32 s27, s29, s27
	s_sub_co_i32 s29, s27, s26
	s_cmp_ge_u32 s27, s26
	s_cselect_b32 s26, s29, s27
	s_delay_alu instid0(SALU_CYCLE_1)
	s_ashr_i32 s27, s26, 31
	s_wait_kmcnt 0x0
	s_mul_u64 s[24:25], s[24:25], s[26:27]
	s_wait_alu 0xfffe
	s_add_nc_u64 s[34:35], s[10:11], s[24:25]
.LBB65_2:
	v_bfe_u32 v1, v0, 10, 10
	s_lshl_b32 s31, ttmp9, 4
	s_load_b96 s[24:26], s[0:1], 0x70
	v_and_b32_e32 v31, 0x3ff, v0
	s_delay_alu instid0(VALU_DEP_2) | instskip(NEXT) | instid1(VALU_DEP_2)
	v_lshlrev_b32_e32 v3, 2, v1
	v_lshlrev_b32_e32 v34, 4, v31
	s_delay_alu instid0(VALU_DEP_2) | instskip(SKIP_1) | instid1(VALU_DEP_2)
	v_or_b32_e32 v45, 3, v3
	v_or_b32_e32 v28, 2, v3
	v_lshrrev_b32_e32 v24, 1, v45
	s_delay_alu instid0(VALU_DEP_2) | instskip(NEXT) | instid1(VALU_DEP_2)
	v_lshrrev_b32_e32 v26, 1, v28
	v_add_nc_u32_e32 v25, s31, v24
	s_delay_alu instid0(VALU_DEP_2)
	v_add_nc_u32_e32 v27, s31, v26
	s_wait_kmcnt 0x0
	s_ashr_i32 s11, s24, 31
	s_mov_b32 s10, s24
	s_lshr_b32 s29, s11, 2
	v_mul_hi_u32 v5, v25, s20
	s_lshr_b64 s[42:43], s[10:11], 2
	v_mul_hi_u32 v4, v27, s20
	s_mul_i32 s10, s28, s26
	s_mul_i32 s24, s2, s25
	s_ashr_i32 s11, s10, 31
	s_ashr_i32 s27, s25, 31
	s_and_b32 s26, s25, -4
	v_add_nc_u32_e32 v5, v25, v5
	s_wait_alu 0xfffe
	s_ashr_i32 s25, s24, 31
	v_add_nc_u32_e32 v4, v27, v4
	s_add_nc_u64 s[4:5], s[4:5], s[10:11]
	s_cmp_eq_u64 s[14:15], 0
	v_lshrrev_b32_e32 v5, s21, v5
	s_wait_alu 0xfffe
	s_add_nc_u64 s[4:5], s[4:5], s[24:25]
	v_lshrrev_b32_e32 v6, s21, v4
	s_add_nc_u64 s[10:11], s[4:5], s[26:27]
	v_mul_lo_u32 v5, v5, s22
	s_delay_alu instid0(VALU_DEP_1) | instskip(NEXT) | instid1(VALU_DEP_1)
	v_sub_nc_u32_e32 v23, v25, v5
	v_mad_co_u64_u32 v[21:22], null, s42, v23, 0
	v_lshlrev_b32_e32 v29, 1, v1
	s_delay_alu instid0(VALU_DEP_1) | instskip(NEXT) | instid1(VALU_DEP_1)
	v_add_nc_u32_e32 v30, s31, v29
	v_mul_hi_u32 v2, v30, s20
	s_delay_alu instid0(VALU_DEP_1) | instskip(NEXT) | instid1(VALU_DEP_1)
	v_add_nc_u32_e32 v2, v30, v2
	v_lshrrev_b32_e32 v2, s21, v2
	s_delay_alu instid0(VALU_DEP_1) | instskip(NEXT) | instid1(VALU_DEP_1)
	v_mul_lo_u32 v2, v2, s22
	v_sub_nc_u32_e32 v0, v30, v2
	s_delay_alu instid0(VALU_DEP_1) | instskip(NEXT) | instid1(VALU_DEP_1)
	v_mad_co_u64_u32 v[2:3], null, s42, v0, 0
	v_mad_co_u64_u32 v[3:4], null, s29, v0, v[3:4]
	v_mul_lo_u32 v4, v6, s22
	s_delay_alu instid0(VALU_DEP_2) | instskip(NEXT) | instid1(VALU_DEP_2)
	v_lshlrev_b64_e32 v[2:3], 2, v[2:3]
	v_sub_nc_u32_e32 v12, v27, v4
	s_delay_alu instid0(VALU_DEP_2) | instskip(NEXT) | instid1(VALU_DEP_1)
	v_add_co_u32 v4, vcc_lo, s4, v2
	v_add_co_ci_u32_e64 v5, null, s5, v3, vcc_lo
	s_delay_alu instid0(VALU_DEP_3) | instskip(NEXT) | instid1(VALU_DEP_3)
	v_mad_co_u64_u32 v[19:20], null, s42, v12, 0
	v_add_co_u32 v7, vcc_lo, v4, v34
	s_wait_alu 0xfffd
	s_delay_alu instid0(VALU_DEP_3)
	v_add_co_ci_u32_e64 v8, null, 0, v5, vcc_lo
	v_add_co_u32 v2, vcc_lo, s10, v2
	s_wait_alu 0xfffd
	v_add_co_ci_u32_e64 v9, null, s11, v3, vcc_lo
	global_load_b128 v[3:6], v[7:8], off
	v_mov_b32_e32 v11, v20
	v_add_co_u32 v15, vcc_lo, v2, v34
	s_wait_alu 0xfffd
	v_add_co_ci_u32_e64 v16, null, 0, v9, vcc_lo
	s_delay_alu instid0(VALU_DEP_3)
	v_mad_co_u64_u32 v[32:33], null, s29, v12, v[11:12]
	v_mov_b32_e32 v2, v22
	s_clause 0x2
	global_load_b128 v[11:14], v[15:16], off
	global_load_b128 v[7:10], v[7:8], off offset:512
	global_load_b128 v[15:18], v[15:16], off offset:512
	v_mov_b32_e32 v20, v32
	s_delay_alu instid0(VALU_DEP_1) | instskip(SKIP_2) | instid1(VALU_DEP_2)
	v_lshlrev_b64_e32 v[19:20], 2, v[19:20]
	s_wait_loadcnt 0x3
	v_mad_co_u64_u32 v[22:23], null, s29, v23, v[2:3]
	v_add_co_u32 v2, vcc_lo, s4, v19
	s_wait_alu 0xfffd
	s_delay_alu instid0(VALU_DEP_3)
	v_add_co_ci_u32_e64 v23, null, s5, v20, vcc_lo
	s_load_b32 s4, s[0:1], 0x40
	v_add_co_u32 v32, vcc_lo, v2, v34
	v_lshlrev_b64_e32 v[19:20], 2, v[21:22]
	s_wait_alu 0xfffd
	v_add_co_ci_u32_e64 v33, null, 0, v23, vcc_lo
	s_delay_alu instid0(VALU_DEP_2) | instskip(SKIP_1) | instid1(VALU_DEP_3)
	v_add_co_u32 v2, vcc_lo, s10, v19
	s_wait_alu 0xfffd
	v_add_co_ci_u32_e64 v23, null, s11, v20, vcc_lo
	global_load_b128 v[19:22], v[32:33], off
	v_add_co_u32 v41, vcc_lo, v2, v34
	s_wait_alu 0xfffd
	v_add_co_ci_u32_e64 v42, null, 0, v23, vcc_lo
	s_clause 0x2
	global_load_b128 v[33:36], v[32:33], off offset:512
	global_load_b128 v[37:40], v[41:42], off
	global_load_b128 v[41:44], v[41:42], off offset:512
	s_wait_kmcnt 0x0
	v_fma_mixlo_f16 v3, s4, v3, 0
	v_fma_mixlo_f16 v4, s4, v4, 0
	;; [unrolled: 1-line block ×4, first 2 shown]
	s_wait_loadcnt 0x5
	v_fma_mixlo_f16 v7, s4, v7, 0
	v_fma_mixlo_f16 v8, s4, v8, 0
	;; [unrolled: 1-line block ×8, first 2 shown]
	s_wait_loadcnt 0x4
	v_fma_mixlo_f16 v15, s4, v15, 0
	v_fma_mixlo_f16 v16, s4, v16, 0
	;; [unrolled: 1-line block ×4, first 2 shown]
	v_lshlrev_b32_e32 v4, 16, v4
	v_and_b32_e32 v3, 0xffff, v3
	v_lshlrev_b32_e32 v6, 16, v6
	v_and_b32_e32 v5, 0xffff, v5
	;; [unrolled: 2-line block ×8, first 2 shown]
	v_or_b32_e32 v3, v4, v3
	v_or3_b32 v4, v6, v5, 0
	v_or_b32_e32 v5, v8, v7
	v_or3_b32 v6, v10, v9, 0
	;; [unrolled: 2-line block ×4, first 2 shown]
	v_lshlrev_b32_e32 v32, 3, v31
	v_lshlrev_b32_e32 v2, 11, v1
	v_or3_b32 v3, 0, 0, v3
	v_or3_b32 v5, 0, 0, v5
	;; [unrolled: 1-line block ×3, first 2 shown]
	v_add_nc_u32_e32 v23, 0x4400, v32
	v_or3_b32 v9, 0, 0, v9
	s_delay_alu instid0(VALU_DEP_2)
	v_add_nc_u32_e32 v46, v23, v2
	v_lshl_add_u32 v28, v28, 9, v23
	v_lshl_add_u32 v23, v45, 9, v23
	s_wait_loadcnt 0x3
	v_fma_mixlo_f16 v11, s4, v19, 0
	v_fma_mixlo_f16 v12, s4, v20, 0
	v_fma_mixlo_f16 v13, s4, v21, 0
	v_fma_mixlo_f16 v14, s4, v22, 0
	s_wait_loadcnt 0x2
	v_fma_mixlo_f16 v15, s4, v33, 0
	v_fma_mixlo_f16 v16, s4, v34, 0
	v_fma_mixlo_f16 v17, s4, v35, 0
	v_fma_mixlo_f16 v18, s4, v36, 0
	s_wait_loadcnt 0x1
	v_fma_mixlo_f16 v19, s4, v37, 0
	v_fma_mixlo_f16 v20, s4, v38, 0
	s_wait_loadcnt 0x0
	v_fma_mixlo_f16 v33, s4, v41, 0
	v_fma_mixlo_f16 v34, s4, v42, 0
	v_lshlrev_b32_e32 v12, 16, v12
	v_and_b32_e32 v11, 0xffff, v11
	v_lshlrev_b32_e32 v14, 16, v14
	v_and_b32_e32 v13, 0xffff, v13
	;; [unrolled: 2-line block ×3, first 2 shown]
	v_fma_mixlo_f16 v21, s4, v39, 0
	v_fma_mixlo_f16 v22, s4, v40, 0
	;; [unrolled: 1-line block ×4, first 2 shown]
	v_lshlrev_b32_e32 v18, 16, v18
	v_and_b32_e32 v17, 0xffff, v17
	v_lshlrev_b32_e32 v20, 16, v20
	v_and_b32_e32 v19, 0xffff, v19
	;; [unrolled: 2-line block ×3, first 2 shown]
	v_or_b32_e32 v11, v12, v11
	v_or3_b32 v12, v14, v13, 0
	v_or_b32_e32 v13, v16, v15
	v_lshlrev_b32_e32 v22, 16, v22
	v_and_b32_e32 v21, 0xffff, v21
	v_lshlrev_b32_e32 v36, 16, v36
	v_and_b32_e32 v35, 0xffff, v35
	v_or3_b32 v14, v18, v17, 0
	v_or_b32_e32 v15, v20, v19
	v_or_b32_e32 v17, v34, v33
	v_or3_b32 v11, 0, 0, v11
	v_or3_b32 v13, 0, 0, v13
	;; [unrolled: 1-line block ×6, first 2 shown]
	ds_store_2addr_b64 v46, v[3:4], v[5:6] offset1:32
	ds_store_2addr_b64 v46, v[7:8], v[9:10] offset0:64 offset1:96
	ds_store_2addr_b64 v28, v[11:12], v[13:14] offset1:32
	ds_store_2addr_b64 v23, v[15:16], v[17:18] offset1:32
	s_wait_dscnt 0x0
	s_barrier_signal -1
	s_barrier_wait -1
	global_inv scope:SCOPE_SE
	s_cbranch_scc1 .LBB65_4
; %bb.3:
	s_load_b32 s4, s[0:1], 0xd0
	s_mov_b32 s5, 0
	s_wait_kmcnt 0x0
	s_mul_i32 s4, s4, s28
	s_wait_alu 0xfffe
	s_add_co_i32 s4, s4, ttmp9
	s_wait_alu 0xfffe
	s_lshl_b64 s[4:5], s[4:5], 2
	s_wait_alu 0xfffe
	s_add_nc_u64 s[4:5], s[14:15], s[4:5]
	s_load_b32 s30, s[4:5], 0x0
.LBB65_4:
	s_and_b32 s4, ttmp7, 0xffff
	v_lshlrev_b32_e32 v28, 2, v31
	v_mbcnt_lo_u32_b32 v33, -1, 0
	s_wait_alu 0xfffe
	s_lshl_b32 s10, s4, 6
	s_wait_kmcnt 0x0
	s_wait_alu 0xfffe
	s_cmp_lt_i32 s10, s30
	s_cbranch_scc1 .LBB65_7
; %bb.5:
	v_mbcnt_lo_u32_b32 v4, -1, 0
	v_mov_b32_e32 v34, 32
	s_delay_alu instid0(VALU_DEP_2)
	v_xor_b32_e32 v83, 16, v4
	v_xor_b32_e32 v82, 8, v4
	;; [unrolled: 1-line block ×5, first 2 shown]
	s_mov_b32 s29, 0
	s_cbranch_execz .LBB65_8
; %bb.6:
	v_dual_mov_b32 v58, 0 :: v_dual_mov_b32 v3, 0xfeffffff
	v_dual_mov_b32 v76, 0 :: v_dual_mov_b32 v1, 0xfeffffff
	;; [unrolled: 1-line block ×12, first 2 shown]
	s_branch .LBB65_44
.LBB65_7:
                                        ; implicit-def: $vgpr4
                                        ; implicit-def: $vgpr34
                                        ; implicit-def: $vgpr83
                                        ; implicit-def: $vgpr82
                                        ; implicit-def: $vgpr81
                                        ; implicit-def: $vgpr80
                                        ; implicit-def: $vgpr79
	s_mov_b32 s29, 0
.LBB65_8:
	s_mul_f32 s3, s3, 0x4f7ffffe
	s_clause 0x1
	s_load_b128 s[24:27], s[0:1], 0x98
	s_load_b64 s[42:43], s[0:1], 0x8c
	s_sub_co_i32 s11, 0, s33
	s_abs_i32 s36, s2
	s_cvt_u32_f32 s5, s3
	s_mov_b32 s15, s37
	s_load_b32 s3, s[0:1], 0x54
	s_ashr_i32 s41, s2, 31
	s_mul_i32 s11, s11, s5
	v_lshrrev_b32_e32 v3, 4, v31
	s_wait_alu 0xfffe
	s_mul_hi_u32 s11, s5, s11
	v_mov_b32_e32 v49, 0
	s_wait_alu 0xfffe
	s_add_co_i32 s14, s5, s11
	s_ashr_i32 s11, s39, 1
	s_mul_u64 s[14:15], s[36:37], s[14:15]
	s_load_b64 s[38:39], s[0:1], 0xa8
	s_mul_i32 s37, s15, s33
	s_ashr_i32 s5, s40, 31
	s_sub_co_i32 s36, s36, s37
	s_wait_alu 0xfffe
	s_xor_b32 s5, s41, s5
	s_add_co_i32 s40, s15, 1
	s_wait_kmcnt 0x0
	s_ashr_i32 s14, s26, 2
	s_ashr_i32 s26, s42, 2
	s_sub_co_i32 s37, s36, s33
	s_cmp_ge_u32 s36, s33
	v_add_nc_u32_e32 v4, v3, v29
	s_cselect_b32 s15, s40, s15
	s_cselect_b32 s36, s37, s36
	s_add_co_i32 s37, s15, 1
	s_cmp_ge_u32 s36, s33
	v_mul_lo_u32 v3, s26, v4
	s_cselect_b32 s15, s37, s15
	v_add3_u32 v8, s31, v29, 1
	s_wait_alu 0xfffe
	s_xor_b32 s15, s15, s5
	s_mul_u64 s[24:25], s[24:25], s[28:29]
	s_sub_co_i32 s5, s15, s5
	s_mul_u64 s[36:37], s[38:39], s[28:29]
	s_wait_alu 0xfffe
	s_mul_i32 s38, s5, s43
	s_add_nc_u64 s[6:7], s[6:7], s[24:25]
	s_mul_i32 s24, s5, s27
	s_lshl_b32 s5, s26, 4
	v_mul_hi_u32 v6, s20, v8
	s_wait_alu 0xfffe
	v_dual_mov_b32 v52, 0 :: v_dual_add_nc_u32 v5, s5, v3
	v_dual_mov_b32 v70, 0xfeffffff :: v_dual_and_b32 v7, 60, v28
	v_mul_lo_u32 v16, s14, v1
	s_delay_alu instid0(VALU_DEP_3) | instskip(NEXT) | instid1(VALU_DEP_3)
	v_dual_mov_b32 v53, 0 :: v_dual_add_nc_u32 v12, s5, v5
	v_dual_mov_b32 v34, 32 :: v_dual_lshlrev_b32 v9, 2, v7
	v_dual_mov_b32 v51, 0 :: v_dual_add_nc_u32 v6, v8, v6
	s_delay_alu instid0(VALU_DEP_3) | instskip(SKIP_1) | instid1(VALU_DEP_3)
	v_dual_mov_b32 v57, 0 :: v_dual_add_nc_u32 v14, s5, v12
	s_lshl_b32 s5, s14, 3
	v_mad_u32_u24 v35, 0x110, v4, v9
	s_delay_alu instid0(VALU_DEP_3)
	v_lshrrev_b32_e32 v9, s21, v6
	v_dual_mov_b32 v50, 0 :: v_dual_add_nc_u32 v39, 0x4400, v2
	v_dual_mov_b32 v61, 0 :: v_dual_lshlrev_b32 v2, 9, v1
	s_wait_alu 0xfffe
	v_dual_mov_b32 v60, 0 :: v_dual_add_nc_u32 v1, s5, v16
	v_mul_lo_u32 v9, v9, s22
	v_mov_b32_e32 v63, 0
	v_ashrrev_i32_e32 v4, 31, v3
	s_delay_alu instid0(VALU_DEP_4)
	v_add_nc_u32_e32 v20, s5, v1
	v_ashrrev_i32_e32 v6, 31, v5
	v_ashrrev_i32_e32 v13, 31, v12
	;; [unrolled: 1-line block ×3, first 2 shown]
	v_lshl_add_u32 v42, v28, 2, v2
	v_dual_mov_b32 v71, 0xfeffffff :: v_dual_add_nc_u32 v22, s5, v20
	v_sub_nc_u32_e32 v8, v8, v9
	v_dual_mov_b32 v67, 0 :: v_dual_add_nc_u32 v44, 0x8400, v2
	v_ashrrev_i32_e32 v17, 31, v16
	v_ashrrev_i32_e32 v2, 31, v1
	;; [unrolled: 1-line block ×4, first 2 shown]
	v_mul_lo_u32 v41, v0, s11
	v_mul_lo_u32 v43, v8, s11
	v_lshlrev_b64_e32 v[8:9], 2, v[3:4]
	v_lshlrev_b64_e32 v[10:11], 2, v[5:6]
	;; [unrolled: 1-line block ×8, first 2 shown]
	v_dual_mov_b32 v55, 0 :: v_dual_add_nc_u32 v36, 0x1100, v35
	v_dual_mov_b32 v56, 0 :: v_dual_add_nc_u32 v37, 0x2200, v35
	;; [unrolled: 1-line block ×3, first 2 shown]
	v_mul_u32_u24_e32 v40, 0x110, v31
	v_dual_mov_b32 v54, 0 :: v_dual_add_nc_u32 v45, 0x1000, v42
	v_dual_mov_b32 v65, 0 :: v_dual_add_nc_u32 v46, 0x2000, v42
	;; [unrolled: 1-line block ×3, first 2 shown]
	v_dual_mov_b32 v69, 0xfeffffff :: v_dual_lshlrev_b32 v48, 2, v7
	v_mov_b32_e32 v64, 0
	v_mov_b32_e32 v58, 0
	;; [unrolled: 1-line block ×5, first 2 shown]
	s_ashr_i32 s39, s38, 31
	s_add_nc_u64 s[8:9], s[8:9], s[36:37]
	s_ashr_i32 s25, s24, 31
	s_add_nc_u64 s[6:7], s[6:7], s[38:39]
	s_wait_alu 0xfffe
	s_add_nc_u64 s[8:9], s[8:9], s[24:25]
	s_ashr_i32 s27, s26, 31
	s_ashr_i32 s15, s14, 31
	s_add_nc_u64 s[20:21], s[0:1], 0xd0
	s_mov_b32 s5, 0xbbbac73d
.LBB65_9:                               ; =>This Inner Loop Header: Depth=1
	s_ashr_i32 s11, s10, 31
	s_wait_alu 0xfffe
	s_mul_u64 s[24:25], s[10:11], s[26:27]
	s_wait_alu 0xfffe
	s_lshl_b64 s[24:25], s[24:25], 2
	s_wait_alu 0xfffe
	s_add_nc_u64 s[24:25], s[6:7], s[24:25]
	s_wait_alu 0xfffe
	v_add_co_u32 v0, vcc_lo, s24, v8
	s_wait_alu 0xfffd
	v_add_co_ci_u32_e64 v1, null, s25, v9, vcc_lo
	v_add_co_u32 v2, vcc_lo, s24, v10
	s_wait_alu 0xfffd
	v_add_co_ci_u32_e64 v3, null, s25, v11, vcc_lo
	;; [unrolled: 3-line block ×8, first 2 shown]
	s_clause 0x3
	global_load_b128 v[73:76], v[0:1], off
	global_load_b128 v[77:80], v[2:3], off
	;; [unrolled: 1-line block ×4, first 2 shown]
	s_wait_loadcnt 0x3
	ds_store_b128 v35, v[73:76]
	s_wait_loadcnt 0x2
	ds_store_b128 v36, v[77:80]
	;; [unrolled: 2-line block ×4, first 2 shown]
	s_wait_dscnt 0x0
	s_barrier_signal -1
	s_barrier_wait -1
	global_inv scope:SCOPE_SE
	ds_load_b128 v[81:84], v40
	ds_load_b128 v[85:88], v39
	ds_load_b128 v[89:92], v39 offset:512
	ds_load_b128 v[93:96], v39 offset:1024
	v_dual_mov_b32 v79, 0 :: v_dual_mov_b32 v80, 0
	ds_load_b128 v[97:100], v39 offset:1536
	ds_load_b128 v[101:104], v40 offset:8704
	s_wait_dscnt 0x4
	;;#ASMSTART
	v_dot2_f32_f16 v79, v81, v85, v79
	;;#ASMEND
	;;#ASMSTART
	v_dot2_f32_f16 v79, v82, v86, v79
	;;#ASMEND
	v_dual_mov_b32 v77, 0 :: v_dual_mov_b32 v78, 0
	;;#ASMSTART
	v_dot2_f32_f16 v79, v83, v87, v79
	;;#ASMEND
	;;#ASMSTART
	v_dot2_f32_f16 v79, v84, v88, v79
	;;#ASMEND
	s_wait_dscnt 0x3
	;;#ASMSTART
	v_dot2_f32_f16 v77, v81, v89, v77
	;;#ASMEND
	;;#ASMSTART
	v_dot2_f32_f16 v77, v82, v90, v77
	;;#ASMEND
	v_dual_mov_b32 v75, 0 :: v_dual_mov_b32 v76, 0
	;;#ASMSTART
	v_dot2_f32_f16 v77, v83, v91, v77
	;;#ASMEND
	;;#ASMSTART
	v_dot2_f32_f16 v77, v84, v92, v77
	;;#ASMEND
	;; [unrolled: 14-line block ×3, first 2 shown]
	s_wait_dscnt 0x1
	;;#ASMSTART
	v_dot2_f32_f16 v73, v81, v97, v73
	;;#ASMEND
	;;#ASMSTART
	v_dot2_f32_f16 v73, v82, v98, v73
	;;#ASMEND
	;; [unrolled: 3-line block ×4, first 2 shown]
	s_wait_dscnt 0x0
	;;#ASMSTART
	v_dot2_f32_f16 v80, v101, v85, v80
	;;#ASMEND
	;;#ASMSTART
	v_dot2_f32_f16 v80, v102, v86, v80
	;;#ASMEND
	;; [unrolled: 3-line block ×16, first 2 shown]
	ds_load_b128 v[81:84], v40 offset:16
	ds_load_b128 v[85:88], v39 offset:16
	;; [unrolled: 1-line block ×6, first 2 shown]
	s_wait_dscnt 0x4
	;;#ASMSTART
	v_dot2_f32_f16 v79, v81, v85, v79
	;;#ASMEND
	;;#ASMSTART
	v_dot2_f32_f16 v79, v82, v86, v79
	;;#ASMEND
	;;#ASMSTART
	v_dot2_f32_f16 v79, v83, v87, v79
	;;#ASMEND
	;;#ASMSTART
	v_dot2_f32_f16 v79, v84, v88, v79
	;;#ASMEND
	s_wait_dscnt 0x3
	;;#ASMSTART
	v_dot2_f32_f16 v77, v81, v89, v77
	;;#ASMEND
	;;#ASMSTART
	v_dot2_f32_f16 v77, v82, v90, v77
	;;#ASMEND
	;;#ASMSTART
	v_dot2_f32_f16 v77, v83, v91, v77
	;;#ASMEND
	;;#ASMSTART
	v_dot2_f32_f16 v77, v84, v92, v77
	;;#ASMEND
	;; [unrolled: 13-line block ×5, first 2 shown]
	;;#ASMSTART
	v_dot2_f32_f16 v78, v101, v89, v78
	;;#ASMEND
	;;#ASMSTART
	v_dot2_f32_f16 v78, v102, v90, v78
	;;#ASMEND
	;; [unrolled: 3-line block ×12, first 2 shown]
	ds_load_b128 v[81:84], v40 offset:32
	ds_load_b128 v[85:88], v39 offset:32
	;; [unrolled: 1-line block ×6, first 2 shown]
	s_wait_dscnt 0x4
	;;#ASMSTART
	v_dot2_f32_f16 v79, v81, v85, v79
	;;#ASMEND
	;;#ASMSTART
	v_dot2_f32_f16 v79, v82, v86, v79
	;;#ASMEND
	;;#ASMSTART
	v_dot2_f32_f16 v79, v83, v87, v79
	;;#ASMEND
	;;#ASMSTART
	v_dot2_f32_f16 v79, v84, v88, v79
	;;#ASMEND
	s_wait_dscnt 0x3
	;;#ASMSTART
	v_dot2_f32_f16 v77, v81, v89, v77
	;;#ASMEND
	;;#ASMSTART
	v_dot2_f32_f16 v77, v82, v90, v77
	;;#ASMEND
	;;#ASMSTART
	v_dot2_f32_f16 v77, v83, v91, v77
	;;#ASMEND
	;;#ASMSTART
	v_dot2_f32_f16 v77, v84, v92, v77
	;;#ASMEND
	;; [unrolled: 13-line block ×5, first 2 shown]
	;;#ASMSTART
	v_dot2_f32_f16 v78, v101, v89, v78
	;;#ASMEND
	;;#ASMSTART
	v_dot2_f32_f16 v78, v102, v90, v78
	;;#ASMEND
	;; [unrolled: 3-line block ×12, first 2 shown]
	ds_load_b128 v[81:84], v40 offset:48
	ds_load_b128 v[85:88], v39 offset:48
	;; [unrolled: 1-line block ×6, first 2 shown]
	s_wait_dscnt 0x4
	;;#ASMSTART
	v_dot2_f32_f16 v79, v81, v85, v79
	;;#ASMEND
	;;#ASMSTART
	v_dot2_f32_f16 v79, v82, v86, v79
	;;#ASMEND
	;;#ASMSTART
	v_dot2_f32_f16 v79, v83, v87, v79
	;;#ASMEND
	;;#ASMSTART
	v_dot2_f32_f16 v79, v84, v88, v79
	;;#ASMEND
	s_wait_dscnt 0x3
	;;#ASMSTART
	v_dot2_f32_f16 v77, v81, v89, v77
	;;#ASMEND
	;;#ASMSTART
	v_dot2_f32_f16 v77, v82, v90, v77
	;;#ASMEND
	;;#ASMSTART
	v_dot2_f32_f16 v77, v83, v91, v77
	;;#ASMEND
	;;#ASMSTART
	v_dot2_f32_f16 v77, v84, v92, v77
	;;#ASMEND
	;; [unrolled: 13-line block ×5, first 2 shown]
	;;#ASMSTART
	v_dot2_f32_f16 v78, v101, v89, v78
	;;#ASMEND
	;;#ASMSTART
	v_dot2_f32_f16 v78, v102, v90, v78
	;;#ASMEND
	;; [unrolled: 3-line block ×12, first 2 shown]
	ds_load_b128 v[81:84], v40 offset:64
	ds_load_b128 v[85:88], v39 offset:64
	;; [unrolled: 1-line block ×6, first 2 shown]
	s_wait_dscnt 0x4
	;;#ASMSTART
	v_dot2_f32_f16 v79, v81, v85, v79
	;;#ASMEND
	;;#ASMSTART
	v_dot2_f32_f16 v79, v82, v86, v79
	;;#ASMEND
	;;#ASMSTART
	v_dot2_f32_f16 v79, v83, v87, v79
	;;#ASMEND
	;;#ASMSTART
	v_dot2_f32_f16 v79, v84, v88, v79
	;;#ASMEND
	s_wait_dscnt 0x3
	;;#ASMSTART
	v_dot2_f32_f16 v77, v81, v89, v77
	;;#ASMEND
	;;#ASMSTART
	v_dot2_f32_f16 v77, v82, v90, v77
	;;#ASMEND
	;;#ASMSTART
	v_dot2_f32_f16 v77, v83, v91, v77
	;;#ASMEND
	;;#ASMSTART
	v_dot2_f32_f16 v77, v84, v92, v77
	;;#ASMEND
	;; [unrolled: 13-line block ×5, first 2 shown]
	;;#ASMSTART
	v_dot2_f32_f16 v78, v101, v89, v78
	;;#ASMEND
	;;#ASMSTART
	v_dot2_f32_f16 v78, v102, v90, v78
	;;#ASMEND
	;; [unrolled: 3-line block ×12, first 2 shown]
	ds_load_b128 v[81:84], v40 offset:80
	ds_load_b128 v[85:88], v39 offset:80
	;; [unrolled: 1-line block ×6, first 2 shown]
	s_wait_dscnt 0x4
	;;#ASMSTART
	v_dot2_f32_f16 v79, v81, v85, v79
	;;#ASMEND
	;;#ASMSTART
	v_dot2_f32_f16 v79, v82, v86, v79
	;;#ASMEND
	;;#ASMSTART
	v_dot2_f32_f16 v79, v83, v87, v79
	;;#ASMEND
	;;#ASMSTART
	v_dot2_f32_f16 v79, v84, v88, v79
	;;#ASMEND
	s_wait_dscnt 0x3
	;;#ASMSTART
	v_dot2_f32_f16 v77, v81, v89, v77
	;;#ASMEND
	;;#ASMSTART
	v_dot2_f32_f16 v77, v82, v90, v77
	;;#ASMEND
	;;#ASMSTART
	v_dot2_f32_f16 v77, v83, v91, v77
	;;#ASMEND
	;;#ASMSTART
	v_dot2_f32_f16 v77, v84, v92, v77
	;;#ASMEND
	;; [unrolled: 13-line block ×5, first 2 shown]
	;;#ASMSTART
	v_dot2_f32_f16 v78, v101, v89, v78
	;;#ASMEND
	;;#ASMSTART
	v_dot2_f32_f16 v78, v102, v90, v78
	;;#ASMEND
	;;#ASMSTART
	v_dot2_f32_f16 v78, v103, v91, v78
	;;#ASMEND
	;;#ASMSTART
	v_dot2_f32_f16 v78, v104, v92, v78
	;;#ASMEND
	;;#ASMSTART
	v_dot2_f32_f16 v76, v101, v93, v76
	;;#ASMEND
	;;#ASMSTART
	v_dot2_f32_f16 v76, v102, v94, v76
	;;#ASMEND
	;;#ASMSTART
	v_dot2_f32_f16 v76, v103, v95, v76
	;;#ASMEND
	;;#ASMSTART
	v_dot2_f32_f16 v76, v104, v96, v76
	;;#ASMEND
	;;#ASMSTART
	v_dot2_f32_f16 v74, v101, v97, v74
	;;#ASMEND
	;;#ASMSTART
	v_dot2_f32_f16 v74, v102, v98, v74
	;;#ASMEND
	;;#ASMSTART
	v_dot2_f32_f16 v74, v103, v99, v74
	;;#ASMEND
	;;#ASMSTART
	v_dot2_f32_f16 v74, v104, v100, v74
	;;#ASMEND
	ds_load_b128 v[81:84], v40 offset:96
	ds_load_b128 v[85:88], v39 offset:96
	;; [unrolled: 1-line block ×6, first 2 shown]
	s_wait_dscnt 0x4
	;;#ASMSTART
	v_dot2_f32_f16 v79, v81, v85, v79
	;;#ASMEND
	;;#ASMSTART
	v_dot2_f32_f16 v79, v82, v86, v79
	;;#ASMEND
	;;#ASMSTART
	v_dot2_f32_f16 v79, v83, v87, v79
	;;#ASMEND
	;;#ASMSTART
	v_dot2_f32_f16 v79, v84, v88, v79
	;;#ASMEND
	s_wait_dscnt 0x3
	;;#ASMSTART
	v_dot2_f32_f16 v77, v81, v89, v77
	;;#ASMEND
	;;#ASMSTART
	v_dot2_f32_f16 v77, v82, v90, v77
	;;#ASMEND
	;;#ASMSTART
	v_dot2_f32_f16 v77, v83, v91, v77
	;;#ASMEND
	;;#ASMSTART
	v_dot2_f32_f16 v77, v84, v92, v77
	;;#ASMEND
	;; [unrolled: 13-line block ×5, first 2 shown]
	;;#ASMSTART
	v_dot2_f32_f16 v78, v101, v89, v78
	;;#ASMEND
	;;#ASMSTART
	v_dot2_f32_f16 v78, v102, v90, v78
	;;#ASMEND
	;; [unrolled: 3-line block ×12, first 2 shown]
	ds_load_b128 v[81:84], v40 offset:112
	ds_load_b128 v[85:88], v39 offset:112
	;; [unrolled: 1-line block ×6, first 2 shown]
	s_wait_dscnt 0x4
	;;#ASMSTART
	v_dot2_f32_f16 v79, v81, v85, v79
	;;#ASMEND
	;;#ASMSTART
	v_dot2_f32_f16 v79, v82, v86, v79
	;;#ASMEND
	;;#ASMSTART
	v_dot2_f32_f16 v79, v83, v87, v79
	;;#ASMEND
	;;#ASMSTART
	v_dot2_f32_f16 v79, v84, v88, v79
	;;#ASMEND
	s_wait_dscnt 0x3
	;;#ASMSTART
	v_dot2_f32_f16 v77, v81, v89, v77
	;;#ASMEND
	;;#ASMSTART
	v_dot2_f32_f16 v77, v82, v90, v77
	;;#ASMEND
	;;#ASMSTART
	v_dot2_f32_f16 v77, v83, v91, v77
	;;#ASMEND
	;;#ASMSTART
	v_dot2_f32_f16 v77, v84, v92, v77
	;;#ASMEND
	;; [unrolled: 13-line block ×5, first 2 shown]
	;;#ASMSTART
	v_dot2_f32_f16 v78, v101, v89, v78
	;;#ASMEND
	;;#ASMSTART
	v_dot2_f32_f16 v78, v102, v90, v78
	;;#ASMEND
	;; [unrolled: 3-line block ×12, first 2 shown]
	ds_load_b128 v[81:84], v40 offset:128
	ds_load_b128 v[85:88], v39 offset:128
	;; [unrolled: 1-line block ×6, first 2 shown]
	s_wait_dscnt 0x4
	;;#ASMSTART
	v_dot2_f32_f16 v79, v81, v85, v79
	;;#ASMEND
	;;#ASMSTART
	v_dot2_f32_f16 v79, v82, v86, v79
	;;#ASMEND
	;;#ASMSTART
	v_dot2_f32_f16 v79, v83, v87, v79
	;;#ASMEND
	;;#ASMSTART
	v_dot2_f32_f16 v79, v84, v88, v79
	;;#ASMEND
	s_wait_dscnt 0x3
	;;#ASMSTART
	v_dot2_f32_f16 v77, v81, v89, v77
	;;#ASMEND
	;;#ASMSTART
	v_dot2_f32_f16 v77, v82, v90, v77
	;;#ASMEND
	;;#ASMSTART
	v_dot2_f32_f16 v77, v83, v91, v77
	;;#ASMEND
	;;#ASMSTART
	v_dot2_f32_f16 v77, v84, v92, v77
	;;#ASMEND
	s_wait_dscnt 0x2
	;;#ASMSTART
	v_dot2_f32_f16 v75, v81, v93, v75
	;;#ASMEND
	;;#ASMSTART
	v_dot2_f32_f16 v75, v82, v94, v75
	;;#ASMEND
	;;#ASMSTART
	v_dot2_f32_f16 v75, v83, v95, v75
	;;#ASMEND
	;;#ASMSTART
	v_dot2_f32_f16 v75, v84, v96, v75
	;;#ASMEND
	s_wait_dscnt 0x1
	;;#ASMSTART
	v_dot2_f32_f16 v73, v81, v97, v73
	;;#ASMEND
	;;#ASMSTART
	v_dot2_f32_f16 v73, v82, v98, v73
	;;#ASMEND
	;;#ASMSTART
	v_dot2_f32_f16 v73, v83, v99, v73
	;;#ASMEND
	;;#ASMSTART
	v_dot2_f32_f16 v73, v84, v100, v73
	;;#ASMEND
	s_wait_dscnt 0x0
	;;#ASMSTART
	v_dot2_f32_f16 v80, v101, v85, v80
	;;#ASMEND
	;;#ASMSTART
	v_dot2_f32_f16 v80, v102, v86, v80
	;;#ASMEND
	;;#ASMSTART
	v_dot2_f32_f16 v80, v103, v87, v80
	;;#ASMEND
	;;#ASMSTART
	v_dot2_f32_f16 v80, v104, v88, v80
	;;#ASMEND
	;;#ASMSTART
	v_dot2_f32_f16 v78, v101, v89, v78
	;;#ASMEND
	;;#ASMSTART
	v_dot2_f32_f16 v78, v102, v90, v78
	;;#ASMEND
	;; [unrolled: 3-line block ×12, first 2 shown]
	ds_load_b128 v[81:84], v40 offset:144
	ds_load_b128 v[85:88], v39 offset:144
	;; [unrolled: 1-line block ×6, first 2 shown]
	s_wait_dscnt 0x4
	;;#ASMSTART
	v_dot2_f32_f16 v79, v81, v85, v79
	;;#ASMEND
	;;#ASMSTART
	v_dot2_f32_f16 v79, v82, v86, v79
	;;#ASMEND
	;;#ASMSTART
	v_dot2_f32_f16 v79, v83, v87, v79
	;;#ASMEND
	;;#ASMSTART
	v_dot2_f32_f16 v79, v84, v88, v79
	;;#ASMEND
	s_wait_dscnt 0x3
	;;#ASMSTART
	v_dot2_f32_f16 v77, v81, v89, v77
	;;#ASMEND
	;;#ASMSTART
	v_dot2_f32_f16 v77, v82, v90, v77
	;;#ASMEND
	;;#ASMSTART
	v_dot2_f32_f16 v77, v83, v91, v77
	;;#ASMEND
	;;#ASMSTART
	v_dot2_f32_f16 v77, v84, v92, v77
	;;#ASMEND
	;; [unrolled: 13-line block ×5, first 2 shown]
	;;#ASMSTART
	v_dot2_f32_f16 v78, v101, v89, v78
	;;#ASMEND
	;;#ASMSTART
	v_dot2_f32_f16 v78, v102, v90, v78
	;;#ASMEND
	;; [unrolled: 3-line block ×12, first 2 shown]
	ds_load_b128 v[81:84], v40 offset:160
	ds_load_b128 v[85:88], v39 offset:160
	;; [unrolled: 1-line block ×6, first 2 shown]
	s_wait_dscnt 0x4
	;;#ASMSTART
	v_dot2_f32_f16 v79, v81, v85, v79
	;;#ASMEND
	;;#ASMSTART
	v_dot2_f32_f16 v79, v82, v86, v79
	;;#ASMEND
	;;#ASMSTART
	v_dot2_f32_f16 v79, v83, v87, v79
	;;#ASMEND
	;;#ASMSTART
	v_dot2_f32_f16 v79, v84, v88, v79
	;;#ASMEND
	s_wait_dscnt 0x3
	;;#ASMSTART
	v_dot2_f32_f16 v77, v81, v89, v77
	;;#ASMEND
	;;#ASMSTART
	v_dot2_f32_f16 v77, v82, v90, v77
	;;#ASMEND
	;;#ASMSTART
	v_dot2_f32_f16 v77, v83, v91, v77
	;;#ASMEND
	;;#ASMSTART
	v_dot2_f32_f16 v77, v84, v92, v77
	;;#ASMEND
	;; [unrolled: 13-line block ×5, first 2 shown]
	;;#ASMSTART
	v_dot2_f32_f16 v78, v101, v89, v78
	;;#ASMEND
	;;#ASMSTART
	v_dot2_f32_f16 v78, v102, v90, v78
	;;#ASMEND
	;; [unrolled: 3-line block ×12, first 2 shown]
	ds_load_b128 v[81:84], v40 offset:176
	ds_load_b128 v[85:88], v39 offset:176
	;; [unrolled: 1-line block ×6, first 2 shown]
	s_wait_dscnt 0x4
	;;#ASMSTART
	v_dot2_f32_f16 v79, v81, v85, v79
	;;#ASMEND
	;;#ASMSTART
	v_dot2_f32_f16 v79, v82, v86, v79
	;;#ASMEND
	;;#ASMSTART
	v_dot2_f32_f16 v79, v83, v87, v79
	;;#ASMEND
	;;#ASMSTART
	v_dot2_f32_f16 v79, v84, v88, v79
	;;#ASMEND
	s_wait_dscnt 0x3
	;;#ASMSTART
	v_dot2_f32_f16 v77, v81, v89, v77
	;;#ASMEND
	;;#ASMSTART
	v_dot2_f32_f16 v77, v82, v90, v77
	;;#ASMEND
	;;#ASMSTART
	v_dot2_f32_f16 v77, v83, v91, v77
	;;#ASMEND
	;;#ASMSTART
	v_dot2_f32_f16 v77, v84, v92, v77
	;;#ASMEND
	;; [unrolled: 13-line block ×5, first 2 shown]
	;;#ASMSTART
	v_dot2_f32_f16 v78, v101, v89, v78
	;;#ASMEND
	;;#ASMSTART
	v_dot2_f32_f16 v78, v102, v90, v78
	;;#ASMEND
	;; [unrolled: 3-line block ×12, first 2 shown]
	ds_load_b128 v[81:84], v40 offset:192
	ds_load_b128 v[85:88], v39 offset:192
	;; [unrolled: 1-line block ×6, first 2 shown]
	s_wait_dscnt 0x4
	;;#ASMSTART
	v_dot2_f32_f16 v79, v81, v85, v79
	;;#ASMEND
	;;#ASMSTART
	v_dot2_f32_f16 v79, v82, v86, v79
	;;#ASMEND
	;;#ASMSTART
	v_dot2_f32_f16 v79, v83, v87, v79
	;;#ASMEND
	;;#ASMSTART
	v_dot2_f32_f16 v79, v84, v88, v79
	;;#ASMEND
	s_wait_dscnt 0x3
	;;#ASMSTART
	v_dot2_f32_f16 v77, v81, v89, v77
	;;#ASMEND
	;;#ASMSTART
	v_dot2_f32_f16 v77, v82, v90, v77
	;;#ASMEND
	;;#ASMSTART
	v_dot2_f32_f16 v77, v83, v91, v77
	;;#ASMEND
	;;#ASMSTART
	v_dot2_f32_f16 v77, v84, v92, v77
	;;#ASMEND
	;; [unrolled: 13-line block ×5, first 2 shown]
	;;#ASMSTART
	v_dot2_f32_f16 v78, v101, v89, v78
	;;#ASMEND
	;;#ASMSTART
	v_dot2_f32_f16 v78, v102, v90, v78
	;;#ASMEND
	;; [unrolled: 3-line block ×12, first 2 shown]
	ds_load_b128 v[81:84], v40 offset:208
	ds_load_b128 v[85:88], v39 offset:208
	;; [unrolled: 1-line block ×6, first 2 shown]
	s_wait_dscnt 0x4
	;;#ASMSTART
	v_dot2_f32_f16 v79, v81, v85, v79
	;;#ASMEND
	;;#ASMSTART
	v_dot2_f32_f16 v79, v82, v86, v79
	;;#ASMEND
	;;#ASMSTART
	v_dot2_f32_f16 v79, v83, v87, v79
	;;#ASMEND
	;;#ASMSTART
	v_dot2_f32_f16 v79, v84, v88, v79
	;;#ASMEND
	s_wait_dscnt 0x3
	;;#ASMSTART
	v_dot2_f32_f16 v77, v81, v89, v77
	;;#ASMEND
	;;#ASMSTART
	v_dot2_f32_f16 v77, v82, v90, v77
	;;#ASMEND
	;;#ASMSTART
	v_dot2_f32_f16 v77, v83, v91, v77
	;;#ASMEND
	;;#ASMSTART
	v_dot2_f32_f16 v77, v84, v92, v77
	;;#ASMEND
	;; [unrolled: 13-line block ×5, first 2 shown]
	;;#ASMSTART
	v_dot2_f32_f16 v78, v101, v89, v78
	;;#ASMEND
	;;#ASMSTART
	v_dot2_f32_f16 v78, v102, v90, v78
	;;#ASMEND
	;; [unrolled: 3-line block ×12, first 2 shown]
	ds_load_b128 v[81:84], v40 offset:224
	ds_load_b128 v[85:88], v39 offset:224
	;; [unrolled: 1-line block ×6, first 2 shown]
	s_wait_dscnt 0x4
	;;#ASMSTART
	v_dot2_f32_f16 v79, v81, v85, v79
	;;#ASMEND
	;;#ASMSTART
	v_dot2_f32_f16 v79, v82, v86, v79
	;;#ASMEND
	;;#ASMSTART
	v_dot2_f32_f16 v79, v83, v87, v79
	;;#ASMEND
	;;#ASMSTART
	v_dot2_f32_f16 v79, v84, v88, v79
	;;#ASMEND
	s_wait_dscnt 0x3
	;;#ASMSTART
	v_dot2_f32_f16 v77, v81, v89, v77
	;;#ASMEND
	;;#ASMSTART
	v_dot2_f32_f16 v77, v82, v90, v77
	;;#ASMEND
	;;#ASMSTART
	v_dot2_f32_f16 v77, v83, v91, v77
	;;#ASMEND
	;;#ASMSTART
	v_dot2_f32_f16 v77, v84, v92, v77
	;;#ASMEND
	;; [unrolled: 13-line block ×5, first 2 shown]
	;;#ASMSTART
	v_dot2_f32_f16 v78, v101, v89, v78
	;;#ASMEND
	;;#ASMSTART
	v_dot2_f32_f16 v78, v102, v90, v78
	;;#ASMEND
	;; [unrolled: 3-line block ×12, first 2 shown]
	ds_load_b128 v[81:84], v40 offset:240
	ds_load_b128 v[85:88], v39 offset:240
	;; [unrolled: 1-line block ×6, first 2 shown]
	s_wait_dscnt 0x4
	;;#ASMSTART
	v_dot2_f32_f16 v79, v81, v85, v79
	;;#ASMEND
	;;#ASMSTART
	v_dot2_f32_f16 v79, v82, v86, v79
	;;#ASMEND
	;;#ASMSTART
	v_dot2_f32_f16 v79, v83, v87, v79
	;;#ASMEND
	;;#ASMSTART
	v_dot2_f32_f16 v79, v84, v88, v79
	;;#ASMEND
	s_wait_dscnt 0x3
	;;#ASMSTART
	v_dot2_f32_f16 v77, v81, v89, v77
	;;#ASMEND
	;;#ASMSTART
	v_dot2_f32_f16 v77, v82, v90, v77
	;;#ASMEND
	;;#ASMSTART
	v_dot2_f32_f16 v77, v83, v91, v77
	;;#ASMEND
	;;#ASMSTART
	v_dot2_f32_f16 v77, v84, v92, v77
	;;#ASMEND
	;; [unrolled: 13-line block ×5, first 2 shown]
	;;#ASMSTART
	v_dot2_f32_f16 v78, v101, v89, v78
	;;#ASMEND
	;;#ASMSTART
	v_dot2_f32_f16 v78, v102, v90, v78
	;;#ASMEND
	;; [unrolled: 3-line block ×12, first 2 shown]
	s_wait_loadcnt 0x0
	s_barrier_signal -1
	s_barrier_wait -1
	global_inv scope:SCOPE_SE
	s_clause 0x3
	global_load_b128 v[81:84], v[0:1], off offset:256
	global_load_b128 v[0:3], v[2:3], off offset:256
	;; [unrolled: 1-line block ×4, first 2 shown]
	s_wait_loadcnt 0x3
	ds_store_b128 v35, v[81:84]
	s_wait_loadcnt 0x2
	ds_store_b128 v36, v[0:3]
	;; [unrolled: 2-line block ×4, first 2 shown]
	s_wait_dscnt 0x0
	s_barrier_signal -1
	s_barrier_wait -1
	global_inv scope:SCOPE_SE
	ds_load_b128 v[0:3], v40
	ds_load_b128 v[4:7], v39 offset:256
	ds_load_b128 v[81:84], v39 offset:768
	;; [unrolled: 1-line block ×5, first 2 shown]
	s_wait_dscnt 0x4
	;;#ASMSTART
	v_dot2_f32_f16 v79, v0, v4, v79
	;;#ASMEND
	;;#ASMSTART
	v_dot2_f32_f16 v79, v1, v5, v79
	;;#ASMEND
	;;#ASMSTART
	v_dot2_f32_f16 v79, v2, v6, v79
	;;#ASMEND
	;;#ASMSTART
	v_dot2_f32_f16 v79, v3, v7, v79
	;;#ASMEND
	s_wait_dscnt 0x3
	;;#ASMSTART
	v_dot2_f32_f16 v77, v0, v81, v77
	;;#ASMEND
	;;#ASMSTART
	v_dot2_f32_f16 v77, v1, v82, v77
	;;#ASMEND
	;;#ASMSTART
	v_dot2_f32_f16 v77, v2, v83, v77
	;;#ASMEND
	;;#ASMSTART
	v_dot2_f32_f16 v77, v3, v84, v77
	;;#ASMEND
	;; [unrolled: 13-line block ×5, first 2 shown]
	;;#ASMSTART
	v_dot2_f32_f16 v78, v93, v81, v78
	;;#ASMEND
	;;#ASMSTART
	v_dot2_f32_f16 v78, v94, v82, v78
	;;#ASMEND
	;; [unrolled: 3-line block ×12, first 2 shown]
	ds_load_b128 v[0:3], v40 offset:16
	ds_load_b128 v[4:7], v39 offset:272
	;; [unrolled: 1-line block ×6, first 2 shown]
	s_wait_dscnt 0x4
	;;#ASMSTART
	v_dot2_f32_f16 v79, v0, v4, v79
	;;#ASMEND
	;;#ASMSTART
	v_dot2_f32_f16 v79, v1, v5, v79
	;;#ASMEND
	;;#ASMSTART
	v_dot2_f32_f16 v79, v2, v6, v79
	;;#ASMEND
	;;#ASMSTART
	v_dot2_f32_f16 v79, v3, v7, v79
	;;#ASMEND
	s_wait_dscnt 0x3
	;;#ASMSTART
	v_dot2_f32_f16 v77, v0, v81, v77
	;;#ASMEND
	;;#ASMSTART
	v_dot2_f32_f16 v77, v1, v82, v77
	;;#ASMEND
	;;#ASMSTART
	v_dot2_f32_f16 v77, v2, v83, v77
	;;#ASMEND
	;;#ASMSTART
	v_dot2_f32_f16 v77, v3, v84, v77
	;;#ASMEND
	;; [unrolled: 13-line block ×5, first 2 shown]
	;;#ASMSTART
	v_dot2_f32_f16 v78, v93, v81, v78
	;;#ASMEND
	;;#ASMSTART
	v_dot2_f32_f16 v78, v94, v82, v78
	;;#ASMEND
	;; [unrolled: 3-line block ×12, first 2 shown]
	ds_load_b128 v[0:3], v40 offset:32
	ds_load_b128 v[4:7], v39 offset:288
	;; [unrolled: 1-line block ×6, first 2 shown]
	s_wait_dscnt 0x4
	;;#ASMSTART
	v_dot2_f32_f16 v79, v0, v4, v79
	;;#ASMEND
	;;#ASMSTART
	v_dot2_f32_f16 v79, v1, v5, v79
	;;#ASMEND
	;;#ASMSTART
	v_dot2_f32_f16 v79, v2, v6, v79
	;;#ASMEND
	;;#ASMSTART
	v_dot2_f32_f16 v79, v3, v7, v79
	;;#ASMEND
	s_wait_dscnt 0x3
	;;#ASMSTART
	v_dot2_f32_f16 v77, v0, v81, v77
	;;#ASMEND
	;;#ASMSTART
	v_dot2_f32_f16 v77, v1, v82, v77
	;;#ASMEND
	;;#ASMSTART
	v_dot2_f32_f16 v77, v2, v83, v77
	;;#ASMEND
	;;#ASMSTART
	v_dot2_f32_f16 v77, v3, v84, v77
	;;#ASMEND
	;; [unrolled: 13-line block ×5, first 2 shown]
	;;#ASMSTART
	v_dot2_f32_f16 v78, v93, v81, v78
	;;#ASMEND
	;;#ASMSTART
	v_dot2_f32_f16 v78, v94, v82, v78
	;;#ASMEND
	;; [unrolled: 3-line block ×12, first 2 shown]
	ds_load_b128 v[0:3], v40 offset:48
	ds_load_b128 v[4:7], v39 offset:304
	;; [unrolled: 1-line block ×6, first 2 shown]
	s_wait_dscnt 0x4
	;;#ASMSTART
	v_dot2_f32_f16 v79, v0, v4, v79
	;;#ASMEND
	;;#ASMSTART
	v_dot2_f32_f16 v79, v1, v5, v79
	;;#ASMEND
	;;#ASMSTART
	v_dot2_f32_f16 v79, v2, v6, v79
	;;#ASMEND
	;;#ASMSTART
	v_dot2_f32_f16 v79, v3, v7, v79
	;;#ASMEND
	s_wait_dscnt 0x3
	;;#ASMSTART
	v_dot2_f32_f16 v77, v0, v81, v77
	;;#ASMEND
	;;#ASMSTART
	v_dot2_f32_f16 v77, v1, v82, v77
	;;#ASMEND
	;;#ASMSTART
	v_dot2_f32_f16 v77, v2, v83, v77
	;;#ASMEND
	;;#ASMSTART
	v_dot2_f32_f16 v77, v3, v84, v77
	;;#ASMEND
	;; [unrolled: 13-line block ×5, first 2 shown]
	;;#ASMSTART
	v_dot2_f32_f16 v78, v93, v81, v78
	;;#ASMEND
	;;#ASMSTART
	v_dot2_f32_f16 v78, v94, v82, v78
	;;#ASMEND
	;; [unrolled: 3-line block ×12, first 2 shown]
	ds_load_b128 v[0:3], v40 offset:64
	ds_load_b128 v[4:7], v39 offset:320
	;; [unrolled: 1-line block ×6, first 2 shown]
	s_wait_dscnt 0x4
	;;#ASMSTART
	v_dot2_f32_f16 v79, v0, v4, v79
	;;#ASMEND
	;;#ASMSTART
	v_dot2_f32_f16 v79, v1, v5, v79
	;;#ASMEND
	;;#ASMSTART
	v_dot2_f32_f16 v79, v2, v6, v79
	;;#ASMEND
	;;#ASMSTART
	v_dot2_f32_f16 v79, v3, v7, v79
	;;#ASMEND
	s_wait_dscnt 0x3
	;;#ASMSTART
	v_dot2_f32_f16 v77, v0, v81, v77
	;;#ASMEND
	;;#ASMSTART
	v_dot2_f32_f16 v77, v1, v82, v77
	;;#ASMEND
	;;#ASMSTART
	v_dot2_f32_f16 v77, v2, v83, v77
	;;#ASMEND
	;;#ASMSTART
	v_dot2_f32_f16 v77, v3, v84, v77
	;;#ASMEND
	;; [unrolled: 13-line block ×5, first 2 shown]
	;;#ASMSTART
	v_dot2_f32_f16 v78, v93, v81, v78
	;;#ASMEND
	;;#ASMSTART
	v_dot2_f32_f16 v78, v94, v82, v78
	;;#ASMEND
	;; [unrolled: 3-line block ×12, first 2 shown]
	ds_load_b128 v[0:3], v40 offset:80
	ds_load_b128 v[4:7], v39 offset:336
	;; [unrolled: 1-line block ×6, first 2 shown]
	s_wait_dscnt 0x4
	;;#ASMSTART
	v_dot2_f32_f16 v79, v0, v4, v79
	;;#ASMEND
	;;#ASMSTART
	v_dot2_f32_f16 v79, v1, v5, v79
	;;#ASMEND
	;;#ASMSTART
	v_dot2_f32_f16 v79, v2, v6, v79
	;;#ASMEND
	;;#ASMSTART
	v_dot2_f32_f16 v79, v3, v7, v79
	;;#ASMEND
	s_wait_dscnt 0x3
	;;#ASMSTART
	v_dot2_f32_f16 v77, v0, v81, v77
	;;#ASMEND
	;;#ASMSTART
	v_dot2_f32_f16 v77, v1, v82, v77
	;;#ASMEND
	;;#ASMSTART
	v_dot2_f32_f16 v77, v2, v83, v77
	;;#ASMEND
	;;#ASMSTART
	v_dot2_f32_f16 v77, v3, v84, v77
	;;#ASMEND
	;; [unrolled: 13-line block ×5, first 2 shown]
	;;#ASMSTART
	v_dot2_f32_f16 v78, v93, v81, v78
	;;#ASMEND
	;;#ASMSTART
	v_dot2_f32_f16 v78, v94, v82, v78
	;;#ASMEND
	;; [unrolled: 3-line block ×12, first 2 shown]
	ds_load_b128 v[0:3], v40 offset:96
	ds_load_b128 v[4:7], v39 offset:352
	ds_load_b128 v[81:84], v39 offset:864
	ds_load_b128 v[85:88], v39 offset:1376
	ds_load_b128 v[89:92], v39 offset:1888
	ds_load_b128 v[93:96], v40 offset:8800
	s_wait_dscnt 0x4
	;;#ASMSTART
	v_dot2_f32_f16 v79, v0, v4, v79
	;;#ASMEND
	;;#ASMSTART
	v_dot2_f32_f16 v79, v1, v5, v79
	;;#ASMEND
	;;#ASMSTART
	v_dot2_f32_f16 v79, v2, v6, v79
	;;#ASMEND
	;;#ASMSTART
	v_dot2_f32_f16 v79, v3, v7, v79
	;;#ASMEND
	s_wait_dscnt 0x3
	;;#ASMSTART
	v_dot2_f32_f16 v77, v0, v81, v77
	;;#ASMEND
	;;#ASMSTART
	v_dot2_f32_f16 v77, v1, v82, v77
	;;#ASMEND
	;;#ASMSTART
	v_dot2_f32_f16 v77, v2, v83, v77
	;;#ASMEND
	;;#ASMSTART
	v_dot2_f32_f16 v77, v3, v84, v77
	;;#ASMEND
	;; [unrolled: 13-line block ×5, first 2 shown]
	;;#ASMSTART
	v_dot2_f32_f16 v78, v93, v81, v78
	;;#ASMEND
	;;#ASMSTART
	v_dot2_f32_f16 v78, v94, v82, v78
	;;#ASMEND
	;; [unrolled: 3-line block ×12, first 2 shown]
	ds_load_b128 v[0:3], v40 offset:112
	ds_load_b128 v[4:7], v39 offset:368
	;; [unrolled: 1-line block ×6, first 2 shown]
	s_wait_dscnt 0x4
	;;#ASMSTART
	v_dot2_f32_f16 v79, v0, v4, v79
	;;#ASMEND
	;;#ASMSTART
	v_dot2_f32_f16 v79, v1, v5, v79
	;;#ASMEND
	;;#ASMSTART
	v_dot2_f32_f16 v79, v2, v6, v79
	;;#ASMEND
	;;#ASMSTART
	v_dot2_f32_f16 v79, v3, v7, v79
	;;#ASMEND
	s_wait_dscnt 0x3
	;;#ASMSTART
	v_dot2_f32_f16 v77, v0, v81, v77
	;;#ASMEND
	;;#ASMSTART
	v_dot2_f32_f16 v77, v1, v82, v77
	;;#ASMEND
	;;#ASMSTART
	v_dot2_f32_f16 v77, v2, v83, v77
	;;#ASMEND
	;;#ASMSTART
	v_dot2_f32_f16 v77, v3, v84, v77
	;;#ASMEND
	;; [unrolled: 13-line block ×5, first 2 shown]
	;;#ASMSTART
	v_dot2_f32_f16 v78, v93, v81, v78
	;;#ASMEND
	;;#ASMSTART
	v_dot2_f32_f16 v78, v94, v82, v78
	;;#ASMEND
	;; [unrolled: 3-line block ×12, first 2 shown]
	ds_load_b128 v[0:3], v40 offset:128
	ds_load_b128 v[4:7], v39 offset:384
	;; [unrolled: 1-line block ×6, first 2 shown]
	s_wait_dscnt 0x4
	;;#ASMSTART
	v_dot2_f32_f16 v79, v0, v4, v79
	;;#ASMEND
	;;#ASMSTART
	v_dot2_f32_f16 v79, v1, v5, v79
	;;#ASMEND
	;;#ASMSTART
	v_dot2_f32_f16 v79, v2, v6, v79
	;;#ASMEND
	;;#ASMSTART
	v_dot2_f32_f16 v79, v3, v7, v79
	;;#ASMEND
	s_wait_dscnt 0x3
	;;#ASMSTART
	v_dot2_f32_f16 v77, v0, v81, v77
	;;#ASMEND
	;;#ASMSTART
	v_dot2_f32_f16 v77, v1, v82, v77
	;;#ASMEND
	;;#ASMSTART
	v_dot2_f32_f16 v77, v2, v83, v77
	;;#ASMEND
	;;#ASMSTART
	v_dot2_f32_f16 v77, v3, v84, v77
	;;#ASMEND
	;; [unrolled: 13-line block ×5, first 2 shown]
	;;#ASMSTART
	v_dot2_f32_f16 v78, v93, v81, v78
	;;#ASMEND
	;;#ASMSTART
	v_dot2_f32_f16 v78, v94, v82, v78
	;;#ASMEND
	;; [unrolled: 3-line block ×12, first 2 shown]
	ds_load_b128 v[0:3], v40 offset:144
	ds_load_b128 v[4:7], v39 offset:400
	;; [unrolled: 1-line block ×6, first 2 shown]
	s_wait_dscnt 0x4
	;;#ASMSTART
	v_dot2_f32_f16 v79, v0, v4, v79
	;;#ASMEND
	;;#ASMSTART
	v_dot2_f32_f16 v79, v1, v5, v79
	;;#ASMEND
	;;#ASMSTART
	v_dot2_f32_f16 v79, v2, v6, v79
	;;#ASMEND
	;;#ASMSTART
	v_dot2_f32_f16 v79, v3, v7, v79
	;;#ASMEND
	s_wait_dscnt 0x3
	;;#ASMSTART
	v_dot2_f32_f16 v77, v0, v81, v77
	;;#ASMEND
	;;#ASMSTART
	v_dot2_f32_f16 v77, v1, v82, v77
	;;#ASMEND
	;;#ASMSTART
	v_dot2_f32_f16 v77, v2, v83, v77
	;;#ASMEND
	;;#ASMSTART
	v_dot2_f32_f16 v77, v3, v84, v77
	;;#ASMEND
	;; [unrolled: 13-line block ×5, first 2 shown]
	;;#ASMSTART
	v_dot2_f32_f16 v78, v93, v81, v78
	;;#ASMEND
	;;#ASMSTART
	v_dot2_f32_f16 v78, v94, v82, v78
	;;#ASMEND
	;;#ASMSTART
	v_dot2_f32_f16 v78, v95, v83, v78
	;;#ASMEND
	;;#ASMSTART
	v_dot2_f32_f16 v78, v96, v84, v78
	;;#ASMEND
	;;#ASMSTART
	v_dot2_f32_f16 v76, v93, v85, v76
	;;#ASMEND
	;;#ASMSTART
	v_dot2_f32_f16 v76, v94, v86, v76
	;;#ASMEND
	;;#ASMSTART
	v_dot2_f32_f16 v76, v95, v87, v76
	;;#ASMEND
	;;#ASMSTART
	v_dot2_f32_f16 v76, v96, v88, v76
	;;#ASMEND
	;;#ASMSTART
	v_dot2_f32_f16 v74, v93, v89, v74
	;;#ASMEND
	;;#ASMSTART
	v_dot2_f32_f16 v74, v94, v90, v74
	;;#ASMEND
	;;#ASMSTART
	v_dot2_f32_f16 v74, v95, v91, v74
	;;#ASMEND
	;;#ASMSTART
	v_dot2_f32_f16 v74, v96, v92, v74
	;;#ASMEND
	ds_load_b128 v[0:3], v40 offset:160
	ds_load_b128 v[4:7], v39 offset:416
	;; [unrolled: 1-line block ×6, first 2 shown]
	s_wait_dscnt 0x4
	;;#ASMSTART
	v_dot2_f32_f16 v79, v0, v4, v79
	;;#ASMEND
	;;#ASMSTART
	v_dot2_f32_f16 v79, v1, v5, v79
	;;#ASMEND
	;;#ASMSTART
	v_dot2_f32_f16 v79, v2, v6, v79
	;;#ASMEND
	;;#ASMSTART
	v_dot2_f32_f16 v79, v3, v7, v79
	;;#ASMEND
	s_wait_dscnt 0x3
	;;#ASMSTART
	v_dot2_f32_f16 v77, v0, v81, v77
	;;#ASMEND
	;;#ASMSTART
	v_dot2_f32_f16 v77, v1, v82, v77
	;;#ASMEND
	;;#ASMSTART
	v_dot2_f32_f16 v77, v2, v83, v77
	;;#ASMEND
	;;#ASMSTART
	v_dot2_f32_f16 v77, v3, v84, v77
	;;#ASMEND
	;; [unrolled: 13-line block ×5, first 2 shown]
	;;#ASMSTART
	v_dot2_f32_f16 v78, v93, v81, v78
	;;#ASMEND
	;;#ASMSTART
	v_dot2_f32_f16 v78, v94, v82, v78
	;;#ASMEND
	;; [unrolled: 3-line block ×12, first 2 shown]
	ds_load_b128 v[0:3], v40 offset:176
	ds_load_b128 v[4:7], v39 offset:432
	;; [unrolled: 1-line block ×6, first 2 shown]
	s_wait_dscnt 0x4
	;;#ASMSTART
	v_dot2_f32_f16 v79, v0, v4, v79
	;;#ASMEND
	;;#ASMSTART
	v_dot2_f32_f16 v79, v1, v5, v79
	;;#ASMEND
	;;#ASMSTART
	v_dot2_f32_f16 v79, v2, v6, v79
	;;#ASMEND
	;;#ASMSTART
	v_dot2_f32_f16 v79, v3, v7, v79
	;;#ASMEND
	s_wait_dscnt 0x3
	;;#ASMSTART
	v_dot2_f32_f16 v77, v0, v81, v77
	;;#ASMEND
	;;#ASMSTART
	v_dot2_f32_f16 v77, v1, v82, v77
	;;#ASMEND
	;;#ASMSTART
	v_dot2_f32_f16 v77, v2, v83, v77
	;;#ASMEND
	;;#ASMSTART
	v_dot2_f32_f16 v77, v3, v84, v77
	;;#ASMEND
	;; [unrolled: 13-line block ×5, first 2 shown]
	;;#ASMSTART
	v_dot2_f32_f16 v78, v93, v81, v78
	;;#ASMEND
	;;#ASMSTART
	v_dot2_f32_f16 v78, v94, v82, v78
	;;#ASMEND
	;; [unrolled: 3-line block ×12, first 2 shown]
	ds_load_b128 v[0:3], v40 offset:192
	ds_load_b128 v[4:7], v39 offset:448
	;; [unrolled: 1-line block ×6, first 2 shown]
	s_wait_dscnt 0x4
	;;#ASMSTART
	v_dot2_f32_f16 v79, v0, v4, v79
	;;#ASMEND
	;;#ASMSTART
	v_dot2_f32_f16 v79, v1, v5, v79
	;;#ASMEND
	;;#ASMSTART
	v_dot2_f32_f16 v79, v2, v6, v79
	;;#ASMEND
	;;#ASMSTART
	v_dot2_f32_f16 v79, v3, v7, v79
	;;#ASMEND
	s_wait_dscnt 0x3
	;;#ASMSTART
	v_dot2_f32_f16 v77, v0, v81, v77
	;;#ASMEND
	;;#ASMSTART
	v_dot2_f32_f16 v77, v1, v82, v77
	;;#ASMEND
	;;#ASMSTART
	v_dot2_f32_f16 v77, v2, v83, v77
	;;#ASMEND
	;;#ASMSTART
	v_dot2_f32_f16 v77, v3, v84, v77
	;;#ASMEND
	;; [unrolled: 13-line block ×5, first 2 shown]
	;;#ASMSTART
	v_dot2_f32_f16 v78, v93, v81, v78
	;;#ASMEND
	;;#ASMSTART
	v_dot2_f32_f16 v78, v94, v82, v78
	;;#ASMEND
	;; [unrolled: 3-line block ×12, first 2 shown]
	ds_load_b128 v[0:3], v40 offset:208
	ds_load_b128 v[4:7], v39 offset:464
	;; [unrolled: 1-line block ×6, first 2 shown]
	s_wait_dscnt 0x4
	;;#ASMSTART
	v_dot2_f32_f16 v79, v0, v4, v79
	;;#ASMEND
	;;#ASMSTART
	v_dot2_f32_f16 v79, v1, v5, v79
	;;#ASMEND
	;;#ASMSTART
	v_dot2_f32_f16 v79, v2, v6, v79
	;;#ASMEND
	;;#ASMSTART
	v_dot2_f32_f16 v79, v3, v7, v79
	;;#ASMEND
	s_wait_dscnt 0x3
	;;#ASMSTART
	v_dot2_f32_f16 v77, v0, v81, v77
	;;#ASMEND
	;;#ASMSTART
	v_dot2_f32_f16 v77, v1, v82, v77
	;;#ASMEND
	;;#ASMSTART
	v_dot2_f32_f16 v77, v2, v83, v77
	;;#ASMEND
	;;#ASMSTART
	v_dot2_f32_f16 v77, v3, v84, v77
	;;#ASMEND
	;; [unrolled: 13-line block ×5, first 2 shown]
	;;#ASMSTART
	v_dot2_f32_f16 v78, v93, v81, v78
	;;#ASMEND
	;;#ASMSTART
	v_dot2_f32_f16 v78, v94, v82, v78
	;;#ASMEND
	;; [unrolled: 3-line block ×12, first 2 shown]
	ds_load_b128 v[0:3], v40 offset:224
	ds_load_b128 v[4:7], v39 offset:480
	;; [unrolled: 1-line block ×6, first 2 shown]
	s_wait_dscnt 0x4
	;;#ASMSTART
	v_dot2_f32_f16 v79, v0, v4, v79
	;;#ASMEND
	;;#ASMSTART
	v_dot2_f32_f16 v79, v1, v5, v79
	;;#ASMEND
	;;#ASMSTART
	v_dot2_f32_f16 v79, v2, v6, v79
	;;#ASMEND
	;;#ASMSTART
	v_dot2_f32_f16 v79, v3, v7, v79
	;;#ASMEND
	s_wait_dscnt 0x3
	;;#ASMSTART
	v_dot2_f32_f16 v77, v0, v81, v77
	;;#ASMEND
	;;#ASMSTART
	v_dot2_f32_f16 v77, v1, v82, v77
	;;#ASMEND
	;;#ASMSTART
	v_dot2_f32_f16 v77, v2, v83, v77
	;;#ASMEND
	;;#ASMSTART
	v_dot2_f32_f16 v77, v3, v84, v77
	;;#ASMEND
	;; [unrolled: 13-line block ×5, first 2 shown]
	;;#ASMSTART
	v_dot2_f32_f16 v78, v93, v81, v78
	;;#ASMEND
	;;#ASMSTART
	v_dot2_f32_f16 v78, v94, v82, v78
	;;#ASMEND
	;; [unrolled: 3-line block ×12, first 2 shown]
	ds_load_b128 v[0:3], v40 offset:240
	ds_load_b128 v[4:7], v39 offset:496
	;; [unrolled: 1-line block ×6, first 2 shown]
	s_wait_dscnt 0x4
	;;#ASMSTART
	v_dot2_f32_f16 v79, v0, v4, v79
	;;#ASMEND
	;;#ASMSTART
	v_dot2_f32_f16 v79, v1, v5, v79
	;;#ASMEND
	;;#ASMSTART
	v_dot2_f32_f16 v79, v2, v6, v79
	;;#ASMEND
	;;#ASMSTART
	v_dot2_f32_f16 v79, v3, v7, v79
	;;#ASMEND
	s_wait_dscnt 0x3
	;;#ASMSTART
	v_dot2_f32_f16 v77, v0, v81, v77
	;;#ASMEND
	;;#ASMSTART
	v_dot2_f32_f16 v77, v1, v82, v77
	;;#ASMEND
	;;#ASMSTART
	v_dot2_f32_f16 v77, v2, v83, v77
	;;#ASMEND
	;;#ASMSTART
	v_dot2_f32_f16 v77, v3, v84, v77
	;;#ASMEND
	;; [unrolled: 13-line block ×5, first 2 shown]
	;;#ASMSTART
	v_dot2_f32_f16 v78, v93, v81, v78
	;;#ASMEND
	;;#ASMSTART
	v_dot2_f32_f16 v78, v94, v82, v78
	;;#ASMEND
	;;#ASMSTART
	v_dot2_f32_f16 v78, v95, v83, v78
	;;#ASMEND
	;;#ASMSTART
	v_dot2_f32_f16 v78, v96, v84, v78
	;;#ASMEND
	;;#ASMSTART
	v_dot2_f32_f16 v76, v93, v85, v76
	;;#ASMEND
	v_cmp_ngt_f32_e64 s24, 0x3f200000, |v79|
	;;#ASMSTART
	v_dot2_f32_f16 v76, v94, v86, v76
	;;#ASMEND
	;;#ASMSTART
	v_dot2_f32_f16 v76, v95, v87, v76
	;;#ASMEND
	;; [unrolled: 3-line block ×7, first 2 shown]
                                        ; implicit-def: $vgpr2
	s_and_saveexec_b32 s25, s24
	s_wait_alu 0xfffe
	s_xor_b32 s24, exec_lo, s25
	s_cbranch_execz .LBB65_11
; %bb.10:                               ;   in Loop: Header=BB65_9 Depth=1
	v_add_f32_e64 v0, |v79|, |v79|
	s_delay_alu instid0(VALU_DEP_1) | instskip(SKIP_1) | instid1(VALU_DEP_2)
	v_mul_f32_e32 v1, 0x3fb8aa3b, v0
	v_cmp_ngt_f32_e32 vcc_lo, 0xc2ce8ed0, v0
	v_rndne_f32_e32 v2, v1
	v_fma_f32 v3, 0x3fb8aa3b, v0, -v1
	s_delay_alu instid0(VALU_DEP_2) | instskip(NEXT) | instid1(VALU_DEP_2)
	v_sub_f32_e32 v1, v1, v2
	v_fmac_f32_e32 v3, 0x32a5705f, v0
	v_cvt_i32_f32_e32 v2, v2
	s_delay_alu instid0(VALU_DEP_2) | instskip(NEXT) | instid1(VALU_DEP_1)
	v_add_f32_e32 v1, v1, v3
	v_exp_f32_e32 v1, v1
	s_delay_alu instid0(TRANS32_DEP_1) | instskip(SKIP_1) | instid1(VALU_DEP_1)
	v_ldexp_f32 v1, v1, v2
	s_wait_alu 0xfffd
	v_cndmask_b32_e32 v1, 0, v1, vcc_lo
	v_cmp_nlt_f32_e32 vcc_lo, 0x42b17218, v0
	s_wait_alu 0xfffd
	s_delay_alu instid0(VALU_DEP_2) | instskip(NEXT) | instid1(VALU_DEP_1)
	v_cndmask_b32_e32 v0, 0x7f800000, v1, vcc_lo
	v_add_f32_e32 v0, 1.0, v0
	s_delay_alu instid0(VALU_DEP_1) | instskip(NEXT) | instid1(TRANS32_DEP_1)
	v_rcp_f32_e32 v0, v0
	v_fma_f32 v2, v0, -2.0, 1.0
.LBB65_11:                              ;   in Loop: Header=BB65_9 Depth=1
	s_wait_alu 0xfffe
	s_and_not1_saveexec_b32 s24, s24
	s_cbranch_execz .LBB65_13
; %bb.12:                               ;   in Loop: Header=BB65_9 Depth=1
	v_mul_f32_e32 v0, v79, v79
	s_delay_alu instid0(VALU_DEP_1) | instskip(NEXT) | instid1(VALU_DEP_1)
	v_fmaak_f32 v1, s5, v0, 0x3ca908c9
	v_fmaak_f32 v1, v0, v1, 0xbd5c1c4e
	s_delay_alu instid0(VALU_DEP_1) | instskip(NEXT) | instid1(VALU_DEP_1)
	v_fmaak_f32 v1, v0, v1, 0x3e088382
	v_fmaak_f32 v1, v0, v1, 0xbeaaaa99
	s_delay_alu instid0(VALU_DEP_1) | instskip(NEXT) | instid1(VALU_DEP_1)
	v_mul_f32_e64 v1, |v79|, v1
	v_fma_f32 v2, v0, v1, |v79|
.LBB65_13:                              ;   in Loop: Header=BB65_9 Depth=1
	s_wait_alu 0xfffe
	s_or_b32 exec_lo, exec_lo, s24
	v_add_nc_u32_e32 v90, s10, v31
	v_cmp_ngt_f32_e64 s24, 0x3f200000, |v80|
                                        ; implicit-def: $vgpr3
	s_delay_alu instid0(VALU_DEP_2) | instskip(NEXT) | instid1(VALU_DEP_1)
	v_add_nc_u32_e32 v0, v90, v41
	v_ashrrev_i32_e32 v1, 31, v0
	s_delay_alu instid0(VALU_DEP_1) | instskip(NEXT) | instid1(VALU_DEP_1)
	v_lshlrev_b64_e32 v[0:1], 1, v[0:1]
	v_add_co_u32 v0, vcc_lo, s34, v0
	s_wait_alu 0xfffd
	s_delay_alu instid0(VALU_DEP_2)
	v_add_co_ci_u32_e64 v1, null, s35, v1, vcc_lo
	global_load_u16 v87, v[0:1], off
	s_and_saveexec_b32 s25, s24
	s_wait_alu 0xfffe
	s_xor_b32 s24, exec_lo, s25
	s_cbranch_execz .LBB65_15
; %bb.14:                               ;   in Loop: Header=BB65_9 Depth=1
	v_add_f32_e64 v3, |v80|, |v80|
	s_delay_alu instid0(VALU_DEP_1) | instskip(SKIP_1) | instid1(VALU_DEP_2)
	v_mul_f32_e32 v4, 0x3fb8aa3b, v3
	v_cmp_ngt_f32_e32 vcc_lo, 0xc2ce8ed0, v3
	v_rndne_f32_e32 v5, v4
	v_fma_f32 v6, 0x3fb8aa3b, v3, -v4
	s_delay_alu instid0(VALU_DEP_2) | instskip(NEXT) | instid1(VALU_DEP_2)
	v_sub_f32_e32 v4, v4, v5
	v_fmac_f32_e32 v6, 0x32a5705f, v3
	v_cvt_i32_f32_e32 v5, v5
	s_delay_alu instid0(VALU_DEP_2) | instskip(NEXT) | instid1(VALU_DEP_1)
	v_add_f32_e32 v4, v4, v6
	v_exp_f32_e32 v4, v4
	s_delay_alu instid0(TRANS32_DEP_1) | instskip(SKIP_1) | instid1(VALU_DEP_1)
	v_ldexp_f32 v4, v4, v5
	s_wait_alu 0xfffd
	v_cndmask_b32_e32 v4, 0, v4, vcc_lo
	v_cmp_nlt_f32_e32 vcc_lo, 0x42b17218, v3
	s_wait_alu 0xfffd
	s_delay_alu instid0(VALU_DEP_2) | instskip(NEXT) | instid1(VALU_DEP_1)
	v_cndmask_b32_e32 v3, 0x7f800000, v4, vcc_lo
	v_add_f32_e32 v3, 1.0, v3
	s_delay_alu instid0(VALU_DEP_1) | instskip(NEXT) | instid1(TRANS32_DEP_1)
	v_rcp_f32_e32 v3, v3
	v_fma_f32 v3, v3, -2.0, 1.0
.LBB65_15:                              ;   in Loop: Header=BB65_9 Depth=1
	s_wait_alu 0xfffe
	s_and_not1_saveexec_b32 s24, s24
	s_cbranch_execz .LBB65_17
; %bb.16:                               ;   in Loop: Header=BB65_9 Depth=1
	v_mul_f32_e32 v3, v80, v80
	s_delay_alu instid0(VALU_DEP_1) | instskip(NEXT) | instid1(VALU_DEP_1)
	v_fmaak_f32 v4, s5, v3, 0x3ca908c9
	v_fmaak_f32 v4, v3, v4, 0xbd5c1c4e
	s_delay_alu instid0(VALU_DEP_1) | instskip(NEXT) | instid1(VALU_DEP_1)
	v_fmaak_f32 v4, v3, v4, 0x3e088382
	v_fmaak_f32 v4, v3, v4, 0xbeaaaa99
	s_delay_alu instid0(VALU_DEP_1) | instskip(NEXT) | instid1(VALU_DEP_1)
	v_mul_f32_e64 v4, |v80|, v4
	v_fma_f32 v3, v3, v4, |v80|
.LBB65_17:                              ;   in Loop: Header=BB65_9 Depth=1
	s_wait_alu 0xfffe
	s_or_b32 exec_lo, exec_lo, s24
	global_load_u16 v0, v[0:1], off offset:64
	v_bfi_b32 v1, 0x7fffffff, v2, v79
	v_bfi_b32 v2, 0x7fffffff, v3, v80
	v_xor_b32_e32 v83, 16, v33
	v_xor_b32_e32 v82, 8, v33
	;; [unrolled: 1-line block ×3, first 2 shown]
	s_wait_loadcnt 0x1
	v_fma_mix_f32 v7, s3, v1, v87 op_sel_hi:[0,0,1]
	v_xor_b32_e32 v80, 2, v33
	v_cmp_gt_i32_e32 vcc_lo, 32, v83
	v_xor_b32_e32 v79, 1, v33
	v_cmp_ngt_f32_e64 s24, 0x3f200000, |v77|
	v_add_f32_e32 v1, 0x40051340, v7
	s_wait_loadcnt 0x0
	v_fma_mix_f32 v84, s3, v2, v0 op_sel_hi:[0,0,1]
	s_wait_alu 0xfffd
	v_cndmask_b32_e32 v2, v33, v83, vcc_lo
	v_cmp_gt_i32_e32 vcc_lo, 32, v82
	s_delay_alu instid0(VALU_DEP_3) | instskip(NEXT) | instid1(VALU_DEP_3)
	v_add_f32_e32 v3, 0x40051340, v84
	v_lshlrev_b32_e32 v85, 2, v2
	s_delay_alu instid0(VALU_DEP_2)
	v_max3_num_f32 v1, v70, v1, v3
	s_wait_alu 0xfffd
	v_cndmask_b32_e32 v3, v33, v82, vcc_lo
	v_cmp_gt_i32_e32 vcc_lo, 32, v81
	ds_bpermute_b32 v2, v85, v1
	s_wait_dscnt 0x0
	v_max_num_f32_e32 v2, v2, v2
	s_delay_alu instid0(VALU_DEP_1)
	v_dual_max_num_f32 v1, v1, v2 :: v_dual_lshlrev_b32 v6, 2, v3
	ds_bpermute_b32 v2, v6, v1
	s_wait_alu 0xfffd
	v_cndmask_b32_e32 v3, v33, v81, vcc_lo
	v_cmp_gt_i32_e32 vcc_lo, 32, v80
	s_wait_dscnt 0x0
	s_delay_alu instid0(VALU_DEP_2) | instskip(SKIP_3) | instid1(VALU_DEP_2)
	v_dual_max_num_f32 v2, v2, v2 :: v_dual_lshlrev_b32 v5, 2, v3
	s_wait_alu 0xfffd
	v_cndmask_b32_e32 v3, v33, v80, vcc_lo
	v_cmp_gt_i32_e32 vcc_lo, 32, v79
	v_dual_max_num_f32 v1, v1, v2 :: v_dual_lshlrev_b32 v4, 2, v3
	s_wait_alu 0xfffd
	v_cndmask_b32_e32 v3, v33, v79, vcc_lo
	ds_bpermute_b32 v2, v5, v1
	s_wait_dscnt 0x0
	v_max_num_f32_e32 v2, v2, v2
	s_delay_alu instid0(VALU_DEP_1) | instskip(SKIP_3) | instid1(VALU_DEP_1)
	v_max_num_f32_e32 v1, v1, v2
	ds_bpermute_b32 v2, v4, v1
	s_wait_dscnt 0x0
	v_dual_max_num_f32 v2, v2, v2 :: v_dual_lshlrev_b32 v3, 2, v3
	v_max_num_f32_e32 v2, v1, v2
                                        ; implicit-def: $vgpr1
	ds_bpermute_b32 v86, v3, v2
	s_and_saveexec_b32 s25, s24
	s_wait_alu 0xfffe
	s_xor_b32 s24, exec_lo, s25
	s_cbranch_execz .LBB65_19
; %bb.18:                               ;   in Loop: Header=BB65_9 Depth=1
	v_add_f32_e64 v1, |v77|, |v77|
	s_delay_alu instid0(VALU_DEP_1) | instskip(SKIP_1) | instid1(VALU_DEP_2)
	v_mul_f32_e32 v88, 0x3fb8aa3b, v1
	v_cmp_ngt_f32_e32 vcc_lo, 0xc2ce8ed0, v1
	v_rndne_f32_e32 v89, v88
	v_fma_f32 v91, 0x3fb8aa3b, v1, -v88
	s_delay_alu instid0(VALU_DEP_2) | instskip(NEXT) | instid1(VALU_DEP_2)
	v_sub_f32_e32 v88, v88, v89
	v_fmac_f32_e32 v91, 0x32a5705f, v1
	v_cvt_i32_f32_e32 v89, v89
	s_delay_alu instid0(VALU_DEP_2) | instskip(NEXT) | instid1(VALU_DEP_1)
	v_add_f32_e32 v88, v88, v91
	v_exp_f32_e32 v88, v88
	s_delay_alu instid0(TRANS32_DEP_1) | instskip(SKIP_1) | instid1(VALU_DEP_1)
	v_ldexp_f32 v88, v88, v89
	s_wait_alu 0xfffd
	v_cndmask_b32_e32 v88, 0, v88, vcc_lo
	v_cmp_nlt_f32_e32 vcc_lo, 0x42b17218, v1
	s_wait_alu 0xfffd
	s_delay_alu instid0(VALU_DEP_2) | instskip(NEXT) | instid1(VALU_DEP_1)
	v_cndmask_b32_e32 v1, 0x7f800000, v88, vcc_lo
	v_add_f32_e32 v1, 1.0, v1
	s_delay_alu instid0(VALU_DEP_1) | instskip(NEXT) | instid1(TRANS32_DEP_1)
	v_rcp_f32_e32 v1, v1
	v_fma_f32 v1, v1, -2.0, 1.0
.LBB65_19:                              ;   in Loop: Header=BB65_9 Depth=1
	s_wait_alu 0xfffe
	s_and_not1_saveexec_b32 s24, s24
	s_cbranch_execz .LBB65_21
; %bb.20:                               ;   in Loop: Header=BB65_9 Depth=1
	v_mul_f32_e32 v1, v77, v77
	s_delay_alu instid0(VALU_DEP_1) | instskip(NEXT) | instid1(VALU_DEP_1)
	v_fmaak_f32 v88, s5, v1, 0x3ca908c9
	v_fmaak_f32 v88, v1, v88, 0xbd5c1c4e
	s_delay_alu instid0(VALU_DEP_1) | instskip(NEXT) | instid1(VALU_DEP_1)
	v_fmaak_f32 v88, v1, v88, 0x3e088382
	v_fmaak_f32 v88, v1, v88, 0xbeaaaa99
	s_delay_alu instid0(VALU_DEP_1) | instskip(NEXT) | instid1(VALU_DEP_1)
	v_mul_f32_e64 v88, |v77|, v88
	v_fma_f32 v1, v1, v88, |v77|
.LBB65_21:                              ;   in Loop: Header=BB65_9 Depth=1
	s_wait_alu 0xfffe
	s_or_b32 exec_lo, exec_lo, s24
	v_cmp_ngt_f32_e64 s24, 0x3f200000, |v78|
                                        ; implicit-def: $vgpr89
	s_and_saveexec_b32 s25, s24
	s_wait_alu 0xfffe
	s_xor_b32 s24, exec_lo, s25
	s_cbranch_execz .LBB65_23
; %bb.22:                               ;   in Loop: Header=BB65_9 Depth=1
	v_add_f32_e64 v88, |v78|, |v78|
	s_delay_alu instid0(VALU_DEP_1) | instskip(SKIP_1) | instid1(VALU_DEP_2)
	v_mul_f32_e32 v89, 0x3fb8aa3b, v88
	v_cmp_ngt_f32_e32 vcc_lo, 0xc2ce8ed0, v88
	v_rndne_f32_e32 v91, v89
	v_fma_f32 v92, 0x3fb8aa3b, v88, -v89
	s_delay_alu instid0(VALU_DEP_1) | instskip(SKIP_1) | instid1(VALU_DEP_2)
	v_dual_sub_f32 v89, v89, v91 :: v_dual_fmac_f32 v92, 0x32a5705f, v88
	v_cvt_i32_f32_e32 v91, v91
	v_add_f32_e32 v89, v89, v92
	s_delay_alu instid0(VALU_DEP_1) | instskip(NEXT) | instid1(TRANS32_DEP_1)
	v_exp_f32_e32 v89, v89
	v_ldexp_f32 v89, v89, v91
	s_wait_alu 0xfffd
	s_delay_alu instid0(VALU_DEP_1) | instskip(SKIP_2) | instid1(VALU_DEP_2)
	v_cndmask_b32_e32 v89, 0, v89, vcc_lo
	v_cmp_nlt_f32_e32 vcc_lo, 0x42b17218, v88
	s_wait_alu 0xfffd
	v_cndmask_b32_e32 v88, 0x7f800000, v89, vcc_lo
	s_delay_alu instid0(VALU_DEP_1) | instskip(NEXT) | instid1(VALU_DEP_1)
	v_add_f32_e32 v88, 1.0, v88
	v_rcp_f32_e32 v88, v88
	s_delay_alu instid0(TRANS32_DEP_1)
	v_fma_f32 v89, v88, -2.0, 1.0
.LBB65_23:                              ;   in Loop: Header=BB65_9 Depth=1
	s_wait_alu 0xfffe
	s_and_not1_saveexec_b32 s24, s24
	s_cbranch_execz .LBB65_25
; %bb.24:                               ;   in Loop: Header=BB65_9 Depth=1
	v_mul_f32_e32 v88, v78, v78
	s_delay_alu instid0(VALU_DEP_1) | instskip(NEXT) | instid1(VALU_DEP_1)
	v_fmaak_f32 v89, s5, v88, 0x3ca908c9
	v_fmaak_f32 v89, v88, v89, 0xbd5c1c4e
	s_delay_alu instid0(VALU_DEP_1) | instskip(NEXT) | instid1(VALU_DEP_1)
	v_fmaak_f32 v89, v88, v89, 0x3e088382
	v_fmaak_f32 v89, v88, v89, 0xbeaaaa99
	s_delay_alu instid0(VALU_DEP_1) | instskip(NEXT) | instid1(VALU_DEP_1)
	v_mul_f32_e64 v89, |v78|, v89
	v_fma_f32 v89, v88, v89, |v78|
.LBB65_25:                              ;   in Loop: Header=BB65_9 Depth=1
	s_wait_alu 0xfffe
	s_or_b32 exec_lo, exec_lo, s24
	v_cvt_f32_f16_e32 v87, v87
	v_cvt_f32_f16_e32 v88, v0
	v_bfi_b32 v0, 0x7fffffff, v1, v77
	v_bfi_b32 v1, 0x7fffffff, v89, v78
	v_cmp_ngt_f32_e64 s24, 0x3f200000, |v75|
                                        ; implicit-def: $vgpr77
	s_delay_alu instid0(VALU_DEP_2) | instskip(NEXT) | instid1(VALU_DEP_1)
	v_dual_fmac_f32 v87, s3, v0 :: v_dual_fmac_f32 v88, s3, v1
	v_dual_add_f32 v0, 0x40051340, v87 :: v_dual_add_f32 v1, 0x40051340, v88
	s_delay_alu instid0(VALU_DEP_1) | instskip(SKIP_3) | instid1(VALU_DEP_1)
	v_max3_num_f32 v0, v72, v0, v1
	ds_bpermute_b32 v1, v85, v0
	s_wait_dscnt 0x0
	v_max_num_f32_e32 v1, v1, v1
	v_max_num_f32_e32 v0, v0, v1
	ds_bpermute_b32 v1, v6, v0
	s_wait_dscnt 0x0
	v_max_num_f32_e32 v1, v1, v1
	s_delay_alu instid0(VALU_DEP_1) | instskip(SKIP_3) | instid1(VALU_DEP_1)
	v_max_num_f32_e32 v0, v0, v1
	ds_bpermute_b32 v1, v5, v0
	s_wait_dscnt 0x0
	v_max_num_f32_e32 v1, v1, v1
	v_max_num_f32_e32 v0, v0, v1
	ds_bpermute_b32 v1, v4, v0
	s_wait_dscnt 0x0
	v_max_num_f32_e32 v1, v1, v1
	s_delay_alu instid0(VALU_DEP_1)
	v_max_num_f32_e32 v78, v0, v1
	ds_bpermute_b32 v89, v3, v78
	s_and_saveexec_b32 s25, s24
	s_wait_alu 0xfffe
	s_xor_b32 s24, exec_lo, s25
	s_cbranch_execz .LBB65_27
; %bb.26:                               ;   in Loop: Header=BB65_9 Depth=1
	v_add_f32_e64 v0, |v75|, |v75|
	s_delay_alu instid0(VALU_DEP_1) | instskip(SKIP_1) | instid1(VALU_DEP_2)
	v_mul_f32_e32 v1, 0x3fb8aa3b, v0
	v_cmp_ngt_f32_e32 vcc_lo, 0xc2ce8ed0, v0
	v_rndne_f32_e32 v77, v1
	v_fma_f32 v91, 0x3fb8aa3b, v0, -v1
	s_delay_alu instid0(VALU_DEP_2) | instskip(NEXT) | instid1(VALU_DEP_2)
	v_sub_f32_e32 v1, v1, v77
	v_fmac_f32_e32 v91, 0x32a5705f, v0
	v_cvt_i32_f32_e32 v77, v77
	s_delay_alu instid0(VALU_DEP_2) | instskip(NEXT) | instid1(VALU_DEP_1)
	v_add_f32_e32 v1, v1, v91
	v_exp_f32_e32 v1, v1
	s_delay_alu instid0(TRANS32_DEP_1) | instskip(SKIP_1) | instid1(VALU_DEP_1)
	v_ldexp_f32 v1, v1, v77
	s_wait_alu 0xfffd
	v_cndmask_b32_e32 v1, 0, v1, vcc_lo
	v_cmp_nlt_f32_e32 vcc_lo, 0x42b17218, v0
	s_wait_alu 0xfffd
	s_delay_alu instid0(VALU_DEP_2) | instskip(NEXT) | instid1(VALU_DEP_1)
	v_cndmask_b32_e32 v0, 0x7f800000, v1, vcc_lo
	v_add_f32_e32 v0, 1.0, v0
	s_delay_alu instid0(VALU_DEP_1) | instskip(NEXT) | instid1(TRANS32_DEP_1)
	v_rcp_f32_e32 v0, v0
	v_fma_f32 v77, v0, -2.0, 1.0
.LBB65_27:                              ;   in Loop: Header=BB65_9 Depth=1
	s_wait_alu 0xfffe
	s_and_not1_saveexec_b32 s24, s24
	s_cbranch_execz .LBB65_29
; %bb.28:                               ;   in Loop: Header=BB65_9 Depth=1
	v_mul_f32_e32 v0, v75, v75
	s_delay_alu instid0(VALU_DEP_1) | instskip(NEXT) | instid1(VALU_DEP_1)
	v_fmaak_f32 v1, s5, v0, 0x3ca908c9
	v_fmaak_f32 v1, v0, v1, 0xbd5c1c4e
	s_delay_alu instid0(VALU_DEP_1) | instskip(NEXT) | instid1(VALU_DEP_1)
	v_fmaak_f32 v1, v0, v1, 0x3e088382
	v_fmaak_f32 v1, v0, v1, 0xbeaaaa99
	s_delay_alu instid0(VALU_DEP_1) | instskip(NEXT) | instid1(VALU_DEP_1)
	v_mul_f32_e64 v1, |v75|, v1
	v_fma_f32 v77, v0, v1, |v75|
.LBB65_29:                              ;   in Loop: Header=BB65_9 Depth=1
	s_wait_alu 0xfffe
	s_or_b32 exec_lo, exec_lo, s24
	v_add_nc_u32_e32 v0, v90, v43
	v_cmp_ngt_f32_e64 s24, 0x3f200000, |v76|
                                        ; implicit-def: $vgpr91
	s_delay_alu instid0(VALU_DEP_2) | instskip(NEXT) | instid1(VALU_DEP_1)
	v_ashrrev_i32_e32 v1, 31, v0
	v_lshlrev_b64_e32 v[0:1], 1, v[0:1]
	s_delay_alu instid0(VALU_DEP_1) | instskip(SKIP_1) | instid1(VALU_DEP_2)
	v_add_co_u32 v0, vcc_lo, s34, v0
	s_wait_alu 0xfffd
	v_add_co_ci_u32_e64 v1, null, s35, v1, vcc_lo
	global_load_u16 v90, v[0:1], off
	s_and_saveexec_b32 s25, s24
	s_wait_alu 0xfffe
	s_xor_b32 s24, exec_lo, s25
	s_cbranch_execz .LBB65_31
; %bb.30:                               ;   in Loop: Header=BB65_9 Depth=1
	v_add_f32_e64 v91, |v76|, |v76|
	s_delay_alu instid0(VALU_DEP_1) | instskip(SKIP_1) | instid1(VALU_DEP_2)
	v_mul_f32_e32 v92, 0x3fb8aa3b, v91
	v_cmp_ngt_f32_e32 vcc_lo, 0xc2ce8ed0, v91
	v_rndne_f32_e32 v93, v92
	v_fma_f32 v94, 0x3fb8aa3b, v91, -v92
	s_delay_alu instid0(VALU_DEP_2) | instskip(NEXT) | instid1(VALU_DEP_2)
	v_sub_f32_e32 v92, v92, v93
	v_fmac_f32_e32 v94, 0x32a5705f, v91
	v_cvt_i32_f32_e32 v93, v93
	s_delay_alu instid0(VALU_DEP_2) | instskip(NEXT) | instid1(VALU_DEP_1)
	v_add_f32_e32 v92, v92, v94
	v_exp_f32_e32 v92, v92
	s_delay_alu instid0(TRANS32_DEP_1) | instskip(SKIP_1) | instid1(VALU_DEP_1)
	v_ldexp_f32 v92, v92, v93
	s_wait_alu 0xfffd
	v_cndmask_b32_e32 v92, 0, v92, vcc_lo
	v_cmp_nlt_f32_e32 vcc_lo, 0x42b17218, v91
	s_wait_alu 0xfffd
	s_delay_alu instid0(VALU_DEP_2) | instskip(NEXT) | instid1(VALU_DEP_1)
	v_cndmask_b32_e32 v91, 0x7f800000, v92, vcc_lo
	v_add_f32_e32 v91, 1.0, v91
	s_delay_alu instid0(VALU_DEP_1) | instskip(NEXT) | instid1(TRANS32_DEP_1)
	v_rcp_f32_e32 v91, v91
	v_fma_f32 v91, v91, -2.0, 1.0
.LBB65_31:                              ;   in Loop: Header=BB65_9 Depth=1
	s_wait_alu 0xfffe
	s_and_not1_saveexec_b32 s24, s24
	s_cbranch_execz .LBB65_33
; %bb.32:                               ;   in Loop: Header=BB65_9 Depth=1
	v_mul_f32_e32 v91, v76, v76
	s_delay_alu instid0(VALU_DEP_1) | instskip(NEXT) | instid1(VALU_DEP_1)
	v_fmaak_f32 v92, s5, v91, 0x3ca908c9
	v_fmaak_f32 v92, v91, v92, 0xbd5c1c4e
	s_delay_alu instid0(VALU_DEP_1) | instskip(NEXT) | instid1(VALU_DEP_1)
	v_fmaak_f32 v92, v91, v92, 0x3e088382
	v_fmaak_f32 v92, v91, v92, 0xbeaaaa99
	s_delay_alu instid0(VALU_DEP_1) | instskip(NEXT) | instid1(VALU_DEP_1)
	v_mul_f32_e64 v92, |v76|, v92
	v_fma_f32 v91, v91, v92, |v76|
.LBB65_33:                              ;   in Loop: Header=BB65_9 Depth=1
	s_wait_alu 0xfffe
	s_or_b32 exec_lo, exec_lo, s24
	global_load_u16 v0, v[0:1], off offset:64
	v_bfi_b32 v1, 0x7fffffff, v77, v75
	v_bfi_b32 v76, 0x7fffffff, v91, v76
	v_cmp_ngt_f32_e64 s24, 0x3f200000, |v73|
                                        ; implicit-def: $vgpr92
	s_wait_loadcnt 0x1
	s_delay_alu instid0(VALU_DEP_3) | instskip(NEXT) | instid1(VALU_DEP_1)
	v_fma_mix_f32 v75, s3, v1, v90 op_sel_hi:[0,0,1]
	v_add_f32_e32 v1, 0x40051340, v75
	s_wait_loadcnt 0x0
	v_fma_mix_f32 v76, s3, v76, v0 op_sel_hi:[0,0,1]
	s_delay_alu instid0(VALU_DEP_1) | instskip(NEXT) | instid1(VALU_DEP_1)
	v_add_f32_e32 v77, 0x40051340, v76
	v_max3_num_f32 v1, v71, v1, v77
	ds_bpermute_b32 v77, v85, v1
	s_wait_dscnt 0x0
	v_max_num_f32_e32 v77, v77, v77
	s_delay_alu instid0(VALU_DEP_1) | instskip(SKIP_3) | instid1(VALU_DEP_1)
	v_max_num_f32_e32 v1, v1, v77
	ds_bpermute_b32 v77, v6, v1
	s_wait_dscnt 0x0
	v_max_num_f32_e32 v77, v77, v77
	v_max_num_f32_e32 v1, v1, v77
	ds_bpermute_b32 v77, v5, v1
	s_wait_dscnt 0x0
	v_max_num_f32_e32 v77, v77, v77
	s_delay_alu instid0(VALU_DEP_1) | instskip(SKIP_3) | instid1(VALU_DEP_1)
	v_max_num_f32_e32 v1, v1, v77
	ds_bpermute_b32 v77, v4, v1
	s_wait_dscnt 0x0
	v_max_num_f32_e32 v77, v77, v77
	v_max_num_f32_e32 v1, v1, v77
	ds_bpermute_b32 v91, v3, v1
	s_and_saveexec_b32 s25, s24
	s_wait_alu 0xfffe
	s_xor_b32 s24, exec_lo, s25
	s_cbranch_execz .LBB65_35
; %bb.34:                               ;   in Loop: Header=BB65_9 Depth=1
	v_add_f32_e64 v77, |v73|, |v73|
	s_delay_alu instid0(VALU_DEP_1) | instskip(SKIP_1) | instid1(VALU_DEP_2)
	v_mul_f32_e32 v92, 0x3fb8aa3b, v77
	v_cmp_ngt_f32_e32 vcc_lo, 0xc2ce8ed0, v77
	v_rndne_f32_e32 v93, v92
	v_fma_f32 v94, 0x3fb8aa3b, v77, -v92
	s_delay_alu instid0(VALU_DEP_2) | instskip(NEXT) | instid1(VALU_DEP_2)
	v_sub_f32_e32 v92, v92, v93
	v_fmac_f32_e32 v94, 0x32a5705f, v77
	v_cvt_i32_f32_e32 v93, v93
	s_delay_alu instid0(VALU_DEP_2) | instskip(NEXT) | instid1(VALU_DEP_1)
	v_add_f32_e32 v92, v92, v94
	v_exp_f32_e32 v92, v92
	s_delay_alu instid0(TRANS32_DEP_1) | instskip(SKIP_1) | instid1(VALU_DEP_1)
	v_ldexp_f32 v92, v92, v93
	s_wait_alu 0xfffd
	v_cndmask_b32_e32 v92, 0, v92, vcc_lo
	v_cmp_nlt_f32_e32 vcc_lo, 0x42b17218, v77
	s_wait_alu 0xfffd
	s_delay_alu instid0(VALU_DEP_2) | instskip(NEXT) | instid1(VALU_DEP_1)
	v_cndmask_b32_e32 v77, 0x7f800000, v92, vcc_lo
	v_add_f32_e32 v77, 1.0, v77
	s_delay_alu instid0(VALU_DEP_1) | instskip(NEXT) | instid1(TRANS32_DEP_1)
	v_rcp_f32_e32 v77, v77
	v_fma_f32 v92, v77, -2.0, 1.0
.LBB65_35:                              ;   in Loop: Header=BB65_9 Depth=1
	s_wait_alu 0xfffe
	s_and_not1_saveexec_b32 s24, s24
	s_cbranch_execz .LBB65_37
; %bb.36:                               ;   in Loop: Header=BB65_9 Depth=1
	v_mul_f32_e32 v77, v73, v73
	s_delay_alu instid0(VALU_DEP_1) | instskip(NEXT) | instid1(VALU_DEP_1)
	v_fmaak_f32 v92, s5, v77, 0x3ca908c9
	v_fmaak_f32 v92, v77, v92, 0xbd5c1c4e
	s_delay_alu instid0(VALU_DEP_1) | instskip(NEXT) | instid1(VALU_DEP_1)
	v_fmaak_f32 v92, v77, v92, 0x3e088382
	v_fmaak_f32 v92, v77, v92, 0xbeaaaa99
	s_delay_alu instid0(VALU_DEP_1) | instskip(NEXT) | instid1(VALU_DEP_1)
	v_mul_f32_e64 v92, |v73|, v92
	v_fma_f32 v92, v77, v92, |v73|
.LBB65_37:                              ;   in Loop: Header=BB65_9 Depth=1
	s_wait_alu 0xfffe
	s_or_b32 exec_lo, exec_lo, s24
	v_cmp_ngt_f32_e64 s24, 0x3f200000, |v74|
                                        ; implicit-def: $vgpr93
	s_and_saveexec_b32 s25, s24
	s_wait_alu 0xfffe
	s_xor_b32 s24, exec_lo, s25
	s_cbranch_execz .LBB65_39
; %bb.38:                               ;   in Loop: Header=BB65_9 Depth=1
	v_add_f32_e64 v77, |v74|, |v74|
	s_delay_alu instid0(VALU_DEP_1) | instskip(SKIP_1) | instid1(VALU_DEP_2)
	v_mul_f32_e32 v93, 0x3fb8aa3b, v77
	v_cmp_ngt_f32_e32 vcc_lo, 0xc2ce8ed0, v77
	v_rndne_f32_e32 v94, v93
	v_fma_f32 v95, 0x3fb8aa3b, v77, -v93
	s_delay_alu instid0(VALU_DEP_2) | instskip(NEXT) | instid1(VALU_DEP_2)
	v_sub_f32_e32 v93, v93, v94
	v_fmac_f32_e32 v95, 0x32a5705f, v77
	v_cvt_i32_f32_e32 v94, v94
	s_delay_alu instid0(VALU_DEP_2) | instskip(NEXT) | instid1(VALU_DEP_1)
	v_add_f32_e32 v93, v93, v95
	v_exp_f32_e32 v93, v93
	s_delay_alu instid0(TRANS32_DEP_1) | instskip(SKIP_1) | instid1(VALU_DEP_1)
	v_ldexp_f32 v93, v93, v94
	s_wait_alu 0xfffd
	v_cndmask_b32_e32 v93, 0, v93, vcc_lo
	v_cmp_nlt_f32_e32 vcc_lo, 0x42b17218, v77
	s_wait_alu 0xfffd
	s_delay_alu instid0(VALU_DEP_2) | instskip(NEXT) | instid1(VALU_DEP_1)
	v_cndmask_b32_e32 v77, 0x7f800000, v93, vcc_lo
	v_add_f32_e32 v77, 1.0, v77
	s_delay_alu instid0(VALU_DEP_1) | instskip(NEXT) | instid1(TRANS32_DEP_1)
	v_rcp_f32_e32 v77, v77
	v_fma_f32 v93, v77, -2.0, 1.0
.LBB65_39:                              ;   in Loop: Header=BB65_9 Depth=1
	s_wait_alu 0xfffe
	s_and_not1_saveexec_b32 s24, s24
	s_cbranch_execz .LBB65_41
; %bb.40:                               ;   in Loop: Header=BB65_9 Depth=1
	v_mul_f32_e32 v77, v74, v74
	s_delay_alu instid0(VALU_DEP_1) | instskip(NEXT) | instid1(VALU_DEP_1)
	v_fmaak_f32 v93, s5, v77, 0x3ca908c9
	v_fmaak_f32 v93, v77, v93, 0xbd5c1c4e
	s_delay_alu instid0(VALU_DEP_1) | instskip(NEXT) | instid1(VALU_DEP_1)
	v_fmaak_f32 v93, v77, v93, 0x3e088382
	v_fmaak_f32 v93, v77, v93, 0xbeaaaa99
	s_delay_alu instid0(VALU_DEP_1) | instskip(NEXT) | instid1(VALU_DEP_1)
	v_mul_f32_e64 v93, |v74|, v93
	v_fma_f32 v93, v77, v93, |v74|
.LBB65_41:                              ;   in Loop: Header=BB65_9 Depth=1
	s_wait_alu 0xfffe
	s_or_b32 exec_lo, exec_lo, s24
	v_cvt_f32_f16_e32 v90, v90
	v_cvt_f32_f16_e32 v110, v0
	v_bfi_b32 v0, 0x7fffffff, v92, v73
	v_bfi_b32 v73, 0x7fffffff, v93, v74
	v_dual_max_num_f32 v2, v2, v2 :: v_dual_lshlrev_b32 v77, 2, v28
	s_delay_alu instid0(VALU_DEP_3) | instskip(SKIP_1) | instid1(VALU_DEP_3)
	v_dual_max_num_f32 v1, v1, v1 :: v_dual_fmac_f32 v90, s3, v0
	s_wait_dscnt 0x0
	v_dual_fmac_f32 v110, s3, v73 :: v_dual_max_num_f32 v73, v91, v91
	v_dual_max_num_f32 v0, v86, v86 :: v_dual_max_num_f32 v89, v89, v89
	s_delay_alu instid0(VALU_DEP_3) | instskip(SKIP_1) | instid1(VALU_DEP_4)
	v_add_f32_e32 v74, 0x40051340, v90
	v_max_num_f32_e32 v78, v78, v78
	v_add_f32_e32 v86, 0x40051340, v110
	s_delay_alu instid0(VALU_DEP_4)
	v_max_num_f32_e32 v0, v2, v0
	v_max_num_f32_e32 v2, v1, v73
	s_mul_u64 s[24:25], s[10:11], s[14:15]
	v_max_num_f32_e32 v1, v78, v89
	v_max3_num_f32 v74, v69, v74, v86
	s_wait_alu 0xfffe
	s_lshl_b64 s[24:25], s[24:25], 2
	v_sub_f32_e32 v71, v71, v2
	s_wait_alu 0xfffe
	s_add_nc_u64 s[24:25], s[8:9], s[24:25]
	v_sub_f32_e32 v7, v7, v0
	ds_bpermute_b32 v73, v85, v74
	s_wait_alu 0xfffe
	v_add_co_u32 v94, vcc_lo, s24, v16
	s_wait_alu 0xfffd
	v_add_co_ci_u32_e64 v95, null, s25, v17, vcc_lo
	v_add_co_u32 v96, vcc_lo, s24, v18
	s_wait_alu 0xfffd
	v_add_co_ci_u32_e64 v97, null, s25, v19, vcc_lo
	v_add_co_u32 v94, vcc_lo, v94, v77
	v_sub_f32_e32 v78, v84, v0
	v_dual_sub_f32 v84, v87, v1 :: v_dual_mul_f32 v87, 0x3fb8aa3b, v7
	v_dual_sub_f32 v75, v75, v2 :: v_dual_add_nc_u32 v86, v44, v32
	v_sub_f32_e32 v70, v70, v0
	s_wait_alu 0xfffd
	v_add_co_ci_u32_e64 v95, null, 0, v95, vcc_lo
	v_add_co_u32 v98, vcc_lo, v96, v77
	s_wait_alu 0xfffd
	v_add_co_ci_u32_e64 v99, null, 0, v97, vcc_lo
	v_add_co_u32 v96, vcc_lo, s24, v20
	v_sub_f32_e32 v85, v88, v1
	v_dual_sub_f32 v76, v76, v2 :: v_dual_mul_f32 v113, 0x3fb8aa3b, v71
	v_mul_f32_e32 v111, 0x3fb8aa3b, v75
	v_mul_f32_e32 v89, 0x3fb8aa3b, v70
	s_wait_dscnt 0x0
	v_dual_mul_f32 v88, 0x3fb8aa3b, v78 :: v_dual_max_num_f32 v73, v73, v73
	s_wait_alu 0xfffd
	v_add_co_ci_u32_e64 v97, null, s25, v21, vcc_lo
	v_add_co_u32 v100, vcc_lo, s24, v22
	s_wait_alu 0xfffd
	v_add_co_ci_u32_e64 v101, null, s25, v23, vcc_lo
	v_add_co_u32 v102, vcc_lo, v96, v77
	v_dual_mul_f32 v112, 0x3fb8aa3b, v76 :: v_dual_max_num_f32 v73, v74, v73
	s_wait_alu 0xfffd
	v_add_co_ci_u32_e64 v103, null, 0, v97, vcc_lo
	v_add_co_u32 v106, vcc_lo, v100, v77
	s_wait_alu 0xfffd
	v_add_co_ci_u32_e64 v107, null, 0, v101, vcc_lo
	s_barrier_signal -1
	s_barrier_wait -1
	global_inv scope:SCOPE_SE
	s_clause 0x3
	global_load_b128 v[94:97], v[94:95], off
	global_load_b128 v[98:101], v[98:99], off
	;; [unrolled: 1-line block ×4, first 2 shown]
	ds_bpermute_b32 v6, v6, v73
	v_dual_sub_f32 v72, v72, v1 :: v_dual_mul_f32 v91, 0x3fb8aa3b, v84
	v_fma_f32 v125, 0x3fb8aa3b, v75, -v111
	v_fma_f32 v116, 0x3fb8aa3b, v78, -v88
	v_rndne_f32_e32 v117, v88
	s_delay_alu instid0(VALU_DEP_4)
	v_mul_f32_e32 v93, 0x3fb8aa3b, v72
	v_fma_f32 v119, 0x3fb8aa3b, v84, -v91
	v_fmac_f32_e32 v125, 0x32a5705f, v75
	v_rndne_f32_e32 v120, v91
	v_fma_f32 v129, 0x3fb8aa3b, v71, -v113
	v_fma_f32 v123, 0x3fb8aa3b, v72, -v93
	v_dual_fmac_f32 v116, 0x32a5705f, v78 :: v_dual_fmac_f32 v119, 0x32a5705f, v84
	s_delay_alu instid0(VALU_DEP_4) | instskip(NEXT) | instid1(VALU_DEP_3)
	v_dual_sub_f32 v88, v88, v117 :: v_dual_sub_f32 v91, v91, v120
	v_fmac_f32_e32 v123, 0x32a5705f, v72
	v_fmac_f32_e32 v129, 0x32a5705f, v71
	v_fma_f32 v114, 0x3fb8aa3b, v7, -v87
	s_delay_alu instid0(VALU_DEP_4)
	v_add_f32_e32 v88, v88, v116
	s_wait_dscnt 0x0
	v_max_num_f32_e32 v6, v6, v6
	v_rndne_f32_e32 v115, v87
	v_mul_f32_e32 v92, 0x3fb8aa3b, v85
	v_rndne_f32_e32 v74, v89
	v_exp_f32_e32 v88, v88
	v_max_num_f32_e32 v6, v73, v6
	v_fmac_f32_e32 v114, 0x32a5705f, v7
	v_sub_f32_e32 v87, v87, v115
	v_cvt_i32_f32_e32 v117, v117
	v_fma_f32 v118, 0x3fb8aa3b, v70, -v89
	ds_bpermute_b32 v5, v5, v6
	v_sub_f32_e32 v89, v89, v74
	v_fma_f32 v121, 0x3fb8aa3b, v85, -v92
	v_rndne_f32_e32 v126, v111
	v_ldexp_f32 v88, v88, v117
	v_add_f32_e32 v87, v87, v114
	s_delay_alu instid0(VALU_DEP_4) | instskip(SKIP_2) | instid1(VALU_DEP_4)
	v_dual_fmac_f32 v118, 0x32a5705f, v70 :: v_dual_fmac_f32 v121, 0x32a5705f, v85
	v_cvt_i32_f32_e32 v115, v115
	v_rndne_f32_e32 v128, v112
	v_exp_f32_e32 v87, v87
	v_sub_f32_e32 v111, v111, v126
	v_cmp_ngt_f32_e32 vcc_lo, 0xc2ce8ed0, v7
	v_rndne_f32_e32 v122, v92
	v_fma_f32 v127, 0x3fb8aa3b, v76, -v112
	v_cvt_i32_f32_e32 v74, v74
	v_sub_f32_e32 v112, v112, v128
	v_rndne_f32_e32 v124, v93
	v_sub_f32_e32 v92, v92, v122
	v_cvt_i32_f32_e32 v120, v120
	s_wait_dscnt 0x0
	v_max_num_f32_e32 v5, v5, v5
	v_ldexp_f32 v87, v87, v115
	v_sub_f32_e32 v93, v93, v124
	v_dual_fmac_f32 v127, 0x32a5705f, v76 :: v_dual_add_f32 v92, v92, v121
	s_delay_alu instid0(VALU_DEP_4)
	v_max_num_f32_e32 v5, v6, v5
	s_wait_alu 0xfffd
	v_cndmask_b32_e32 v87, 0, v87, vcc_lo
	v_cmp_ngt_f32_e32 vcc_lo, 0xc2ce8ed0, v78
	v_cvt_i32_f32_e32 v73, v122
	v_exp_f32_e32 v92, v92
	ds_bpermute_b32 v4, v4, v5
	s_wait_alu 0xfffd
	v_dual_add_f32 v89, v89, v118 :: v_dual_cndmask_b32 v88, 0, v88
	v_cmp_ngt_f32_e32 vcc_lo, 0xc2ce8ed0, v70
	v_rndne_f32_e32 v130, v113
	v_cvt_i32_f32_e32 v122, v124
	v_add_f32_e32 v112, v112, v127
	v_cvt_i32_f32_e32 v124, v126
	v_cvt_i32_f32_e32 v126, v128
	v_ldexp_f32 v73, v92, v73
	v_sub_f32_e32 v113, v113, v130
	v_cvt_i32_f32_e32 v128, v130
	s_or_b32 s24, s10, 32
	s_wait_alu 0xfffe
	s_ashr_i32 s25, s24, 31
	v_add_f32_e32 v113, v113, v129
	s_wait_alu 0xfffe
	s_mul_u64 s[24:25], s[24:25], s[14:15]
	s_wait_alu 0xfffe
	s_lshl_b64 s[24:25], s[24:25], 2
	s_wait_dscnt 0x0
	v_max_num_f32_e32 v4, v4, v4
	v_exp_f32_e32 v89, v89
	v_add_f32_e32 v111, v111, v125
	s_wait_alu 0xfffe
	s_add_nc_u64 s[24:25], s[8:9], s[24:25]
	v_max_num_f32_e32 v4, v5, v4
	ds_bpermute_b32 v3, v3, v4
	v_ldexp_f32 v74, v89, v74
	s_wait_alu 0xfffd
	s_delay_alu instid0(VALU_DEP_1) | instskip(NEXT) | instid1(VALU_DEP_1)
	v_dual_add_f32 v91, v91, v119 :: v_dual_cndmask_b32 v74, 0, v74
	v_exp_f32_e32 v91, v91
	v_cmp_ngt_f32_e32 vcc_lo, 0xc2ce8ed0, v84
	s_delay_alu instid0(TRANS32_DEP_1) | instskip(SKIP_3) | instid1(VALU_DEP_2)
	v_ldexp_f32 v89, v91, v120
	s_wait_dscnt 0x0
	v_max_num_f32_e32 v3, v3, v3
	s_wait_alu 0xfffd
	v_cndmask_b32_e32 v89, 0, v89, vcc_lo
	v_cmp_ngt_f32_e32 vcc_lo, 0xc2ce8ed0, v85
	s_delay_alu instid0(VALU_DEP_3) | instskip(SKIP_4) | instid1(VALU_DEP_1)
	v_max_num_f32_e32 v3, v4, v3
	s_wait_alu 0xfffd
	v_cndmask_b32_e32 v73, 0, v73, vcc_lo
	v_cmp_ngt_f32_e32 vcc_lo, 0xc2ce8ed0, v72
	v_add_f32_e32 v93, v93, v123
	v_exp_f32_e32 v6, v93
	v_exp_f32_e32 v93, v111
	;; [unrolled: 1-line block ×4, first 2 shown]
	v_ldexp_f32 v6, v6, v122
	s_delay_alu instid0(TRANS32_DEP_3) | instskip(NEXT) | instid1(TRANS32_DEP_2)
	v_ldexp_f32 v91, v93, v124
	v_ldexp_f32 v92, v111, v126
	s_delay_alu instid0(TRANS32_DEP_1)
	v_ldexp_f32 v93, v112, v128
	s_wait_alu 0xfffd
	v_cndmask_b32_e32 v6, 0, v6, vcc_lo
	v_cmp_ngt_f32_e32 vcc_lo, 0xc2ce8ed0, v75
	s_wait_alu 0xfffd
	v_cndmask_b32_e32 v91, 0, v91, vcc_lo
	v_cmp_ngt_f32_e32 vcc_lo, 0xc2ce8ed0, v76
	;; [unrolled: 3-line block ×3, first 2 shown]
	s_wait_alu 0xfffd
	v_cndmask_b32_e32 v92, 0, v93, vcc_lo
	v_cmp_nlt_f32_e32 vcc_lo, 0x42b17218, v7
	s_wait_alu 0xfffd
	v_cndmask_b32_e32 v7, 0x7f800000, v87, vcc_lo
	v_cmp_nlt_f32_e32 vcc_lo, 0x42b17218, v78
	;; [unrolled: 3-line block ×3, first 2 shown]
	v_sub_f32_e32 v88, v90, v3
	s_wait_alu 0xfffd
	v_cndmask_b32_e32 v70, 0x7f800000, v74, vcc_lo
	v_cmp_nlt_f32_e32 vcc_lo, 0x42b17218, v84
	s_wait_alu 0xfffd
	v_cndmask_b32_e32 v74, 0x7f800000, v89, vcc_lo
	v_cmp_nlt_f32_e32 vcc_lo, 0x42b17218, v85
	;; [unrolled: 3-line block ×3, first 2 shown]
	v_add_f32_e32 v73, v7, v78
	v_cvt_f16_f32_e32 v85, v74
	s_wait_alu 0xfffd
	v_cndmask_b32_e32 v6, 0x7f800000, v6, vcc_lo
	v_cmp_nlt_f32_e32 vcc_lo, 0x42b17218, v75
	v_fmac_f32_e32 v73, v68, v70
	s_delay_alu instid0(VALU_DEP_3) | instskip(SKIP_3) | instid1(VALU_DEP_2)
	v_cvt_f16_f32_e32 v4, v6
	s_wait_alu 0xfffd
	v_cndmask_b32_e32 v72, 0x7f800000, v91, vcc_lo
	v_cmp_nlt_f32_e32 vcc_lo, 0x42b17218, v76
	v_cvt_f16_f32_e32 v87, v72
	s_wait_alu 0xfffd
	v_cndmask_b32_e32 v5, 0x7f800000, v5, vcc_lo
	v_cmp_nlt_f32_e32 vcc_lo, 0x42b17218, v71
	s_delay_alu instid0(VALU_DEP_2) | instskip(SKIP_3) | instid1(VALU_DEP_2)
	v_add_f32_e32 v75, v72, v5
	v_cvt_f16_f32_e32 v89, v5
	v_dual_sub_f32 v5, v69, v3 :: v_dual_add_f32 v74, v74, v84
	v_cvt_f16_f32_e32 v84, v84
	v_mul_f32_e32 v68, 0x3fb8aa3b, v5
	s_delay_alu instid0(VALU_DEP_3) | instskip(NEXT) | instid1(VALU_DEP_2)
	v_fmac_f32_e32 v74, v67, v6
	v_rndne_f32_e32 v112, v68
	v_fma_f32 v111, 0x3fb8aa3b, v5, -v68
	s_delay_alu instid0(VALU_DEP_2) | instskip(SKIP_4) | instid1(VALU_DEP_2)
	v_sub_f32_e32 v68, v68, v112
	v_cvt_f16_f32_e32 v76, v7
	v_cvt_f16_f32_e32 v7, v78
	;; [unrolled: 1-line block ×3, first 2 shown]
	v_fmac_f32_e32 v111, 0x32a5705f, v5
	v_and_b32_e32 v78, 0xffff, v78
	v_sub_f32_e32 v72, v110, v3
	s_delay_alu instid0(VALU_DEP_3) | instskip(SKIP_2) | instid1(VALU_DEP_4)
	v_dual_add_f32 v67, v68, v111 :: v_dual_and_b32 v68, 0xffff, v4
	v_pack_b32_f16 v4, v76, v85
	v_cvt_i32_f32_e32 v85, v112
	v_mul_f32_e32 v91, 0x3fb8aa3b, v72
	s_delay_alu instid0(VALU_DEP_4) | instskip(NEXT) | instid1(VALU_DEP_1)
	v_exp_f32_e32 v67, v67
	v_fma_f32 v93, 0x3fb8aa3b, v72, -v91
	v_rndne_f32_e32 v110, v91
	s_delay_alu instid0(VALU_DEP_2) | instskip(NEXT) | instid1(VALU_DEP_2)
	v_fmac_f32_e32 v93, 0x32a5705f, v72
	v_sub_f32_e32 v91, v91, v110
	s_wait_alu 0xfffd
	v_cndmask_b32_e32 v71, 0x7f800000, v92, vcc_lo
	v_cvt_i32_f32_e32 v76, v110
	v_cmp_ngt_f32_e32 vcc_lo, 0xc2ce8ed0, v88
	s_delay_alu instid0(TRANS32_DEP_1) | instskip(NEXT) | instid1(VALU_DEP_4)
	v_ldexp_f32 v67, v67, v85
	v_dual_add_f32 v6, v91, v93 :: v_dual_fmac_f32 v75, v66, v71
	v_cvt_f16_f32_e32 v90, v71
	s_delay_alu instid0(VALU_DEP_2) | instskip(SKIP_1) | instid1(TRANS32_DEP_1)
	v_exp_f32_e32 v66, v6
	v_pack_b32_f16 v6, v7, v84
	v_ldexp_f32 v66, v66, v76
	v_mul_f32_e32 v69, 0x3fb8aa3b, v88
	s_delay_alu instid0(VALU_DEP_1) | instskip(SKIP_1) | instid1(VALU_DEP_2)
	v_fma_f32 v70, 0x3fb8aa3b, v88, -v69
	v_rndne_f32_e32 v92, v69
	v_fmac_f32_e32 v70, 0x32a5705f, v88
	s_delay_alu instid0(VALU_DEP_2) | instskip(SKIP_1) | instid1(VALU_DEP_2)
	v_sub_f32_e32 v69, v69, v92
	v_cvt_i32_f32_e32 v71, v92
	v_add_f32_e32 v69, v69, v70
	v_and_b32_e32 v70, 0xffff, v90
	s_delay_alu instid0(VALU_DEP_2) | instskip(NEXT) | instid1(TRANS32_DEP_1)
	v_exp_f32_e32 v69, v69
	v_ldexp_f32 v7, v69, v71
	v_mul_u32_u24_e32 v71, 0x10001, v78
	s_delay_alu instid0(VALU_DEP_3) | instskip(SKIP_1) | instid1(VALU_DEP_3)
	v_mul_u32_u24_e32 v78, 0x10001, v70
	s_wait_alu 0xfffd
	v_cndmask_b32_e32 v7, 0, v7, vcc_lo
	v_cmp_ngt_f32_e32 vcc_lo, 0xc2ce8ed0, v72
	v_pk_mul_f16 v110, v64, v71
	v_pk_mul_f16 v112, v63, v71
	;; [unrolled: 1-line block ×4, first 2 shown]
	s_wait_alu 0xfffd
	v_cndmask_b32_e32 v66, 0, v66, vcc_lo
	v_cmp_ngt_f32_e32 vcc_lo, 0xc2ce8ed0, v5
	v_pk_mul_f16 v55, v55, v78
	v_pk_mul_f16 v56, v56, v78
	s_wait_alu 0xfffd
	v_cndmask_b32_e32 v67, 0, v67, vcc_lo
	v_cmp_nlt_f32_e32 vcc_lo, 0x42b17218, v88
	s_wait_alu 0xfffd
	v_cndmask_b32_e32 v69, 0x7f800000, v7, vcc_lo
	v_cmp_nlt_f32_e32 vcc_lo, 0x42b17218, v72
	v_mul_u32_u24_e32 v72, 0x10001, v68
	s_wait_alu 0xfffd
	v_cndmask_b32_e32 v66, 0x7f800000, v66, vcc_lo
	v_cmp_nlt_f32_e32 vcc_lo, 0x42b17218, v5
	v_cvt_f16_f32_e32 v5, v69
	v_pk_mul_f16 v113, v61, v72
	s_delay_alu instid0(VALU_DEP_4)
	v_cvt_f16_f32_e32 v7, v66
	s_wait_alu 0xfffd
	v_cndmask_b32_e32 v67, 0x7f800000, v67, vcc_lo
	v_pack_b32_f16 v5, v87, v5
	v_add_f32_e32 v76, v69, v66
	v_pack_b32_f16 v7, v89, v7
	s_delay_alu instid0(VALU_DEP_4)
	v_cvt_f16_f32_e32 v64, v67
	ds_store_2addr_b64 v86, v[4:5], v[6:7] offset1:32
	s_wait_loadcnt 0x3
	ds_store_b128 v42, v[94:97]
	s_wait_loadcnt 0x2
	ds_store_b128 v45, v[98:101]
	;; [unrolled: 2-line block ×4, first 2 shown]
	s_wait_dscnt 0x0
	s_barrier_signal -1
	s_barrier_wait -1
	global_inv scope:SCOPE_SE
	ds_load_b128 v[4:7], v44
	v_and_b32_e32 v61, 0xffff, v64
	v_pk_mul_f16 v100, v59, v72
	v_pk_mul_f16 v101, v60, v72
	v_fmac_f32_e32 v76, v65, v67
	s_delay_alu instid0(VALU_DEP_4)
	v_mul_u32_u24_e32 v63, 0x10001, v61
	ds_load_b128 v[59:62], v44 offset:16
	v_pk_mul_f16 v52, v52, v63
	v_pk_mul_f16 v53, v53, v63
	;; [unrolled: 1-line block ×4, first 2 shown]
	ds_load_2addr_b64 v[63:66], v32 offset1:32
	ds_load_b128 v[67:70], v44 offset:32
	ds_load_b128 v[84:87], v44 offset:48
	ds_load_2addr_b64 v[88:91], v32 offset0:64 offset1:96
	ds_load_2addr_b64 v[92:95], v32 offset0:128 offset1:160
	;; [unrolled: 1-line block ×3, first 2 shown]
	s_wait_dscnt 0x7
	v_lshrrev_b32_e32 v102, 16, v4
	v_lshrrev_b32_e32 v103, 16, v5
	v_and_b32_e32 v4, 0xffff, v4
	v_and_b32_e32 v5, 0xffff, v5
	v_lshrrev_b32_e32 v104, 16, v6
	v_mul_u32_u24_e32 v102, 0x10001, v102
	v_lshrrev_b32_e32 v105, 16, v7
	v_mul_u32_u24_e32 v4, 0x10001, v4
	v_mul_u32_u24_e32 v5, 0x10001, v5
	v_and_b32_e32 v6, 0xffff, v6
	v_and_b32_e32 v7, 0xffff, v7
	v_mul_u32_u24_e32 v103, 0x10001, v103
	s_wait_dscnt 0x5
	v_pk_mul_f16 v114, v63, v4
	v_pk_mul_f16 v115, v63, v102
	;; [unrolled: 1-line block ×3, first 2 shown]
	v_lshrrev_b32_e32 v106, 16, v59
	v_lshrrev_b32_e32 v107, 16, v60
	v_and_b32_e32 v59, 0xffff, v59
	v_and_b32_e32 v60, 0xffff, v60
	v_mul_u32_u24_e32 v6, 0x10001, v6
	v_mul_u32_u24_e32 v104, 0x10001, v104
	;; [unrolled: 1-line block ×4, first 2 shown]
	v_pk_fma_f16 v52, v63, v103, v52
	v_pk_fma_f16 v63, v64, v4, v110
	;; [unrolled: 1-line block ×13, first 2 shown]
	v_lshrrev_b32_e32 v108, 16, v61
	v_and_b32_e32 v61, 0xffff, v61
	v_and_b32_e32 v109, 0xffff, v62
	v_mul_u32_u24_e32 v59, 0x10001, v59
	v_mul_u32_u24_e32 v106, 0x10001, v106
	;; [unrolled: 1-line block ×4, first 2 shown]
	v_pk_fma_f16 v51, v65, v103, v51
	v_pk_fma_f16 v65, v66, v102, v101
	;; [unrolled: 1-line block ×3, first 2 shown]
	s_wait_dscnt 0x2
	v_pk_fma_f16 v52, v88, v105, v52
	v_pk_fma_f16 v58, v89, v6, v63
	v_pk_fma_f16 v63, v89, v104, v110
	v_pk_fma_f16 v57, v89, v7, v57
	v_pk_fma_f16 v53, v89, v105, v53
	v_pk_fma_f16 v64, v90, v6, v64
	v_pk_fma_f16 v66, v90, v104, v100
	v_pk_fma_f16 v55, v90, v7, v55
	v_pk_fma_f16 v4, v91, v6, v4
	v_pk_fma_f16 v5, v91, v7, v5
	v_pk_fma_f16 v6, v88, v6, v56
	v_pk_fma_f16 v54, v88, v104, v54
	v_pk_fma_f16 v7, v88, v7, v50
	s_wait_dscnt 0x1
	v_pk_fma_f16 v50, v92, v107, v52
	v_pk_fma_f16 v52, v93, v59, v58
	;; [unrolled: 1-line block ×13, first 2 shown]
	v_lshrrev_b32_e32 v7, 16, v62
	v_mul_u32_u24_e32 v54, 0x10001, v61
	v_mul_u32_u24_e32 v59, 0x10001, v108
	;; [unrolled: 1-line block ×3, first 2 shown]
	v_add_nc_u32_e32 v53, 0x800, v32
	v_pk_fma_f16 v51, v90, v105, v51
	v_pk_fma_f16 v65, v91, v104, v65
	v_mul_u32_u24_e32 v61, 0x10001, v7
	s_wait_dscnt 0x0
	v_pk_fma_f16 v62, v96, v54, v4
	v_pk_fma_f16 v72, v96, v59, v5
	;; [unrolled: 1-line block ×3, first 2 shown]
	ds_load_2addr_b64 v[4:7], v53 offset1:32
	v_pk_fma_f16 v51, v94, v107, v51
	v_pk_fma_f16 v65, v95, v106, v65
	;; [unrolled: 1-line block ×10, first 2 shown]
	v_and_b32_e32 v51, 0xffff, v67
	v_lshrrev_b32_e32 v65, 16, v67
	v_and_b32_e32 v66, 0xffff, v68
	v_lshrrev_b32_e32 v67, 16, v68
	v_pk_fma_f16 v49, v95, v107, v49
	v_pk_fma_f16 v50, v96, v61, v50
	v_mul_u32_u24_e32 v68, 0x10001, v51
	v_mul_u32_u24_e32 v65, 0x10001, v65
	;; [unrolled: 1-line block ×4, first 2 shown]
	v_pk_fma_f16 v57, v97, v60, v57
	v_pk_fma_f16 v58, v97, v61, v58
	;; [unrolled: 1-line block ×5, first 2 shown]
	s_wait_dscnt 0x0
	v_pk_fma_f16 v62, v4, v68, v62
	v_pk_fma_f16 v71, v4, v65, v72
	;; [unrolled: 1-line block ×5, first 2 shown]
	ds_load_2addr_b64 v[49:52], v53 offset0:64 offset1:96
	v_pk_fma_f16 v56, v5, v65, v56
	v_pk_fma_f16 v57, v5, v66, v57
	;; [unrolled: 1-line block ×9, first 2 shown]
	v_and_b32_e32 v5, 0xffff, v69
	v_lshrrev_b32_e32 v6, 16, v69
	v_and_b32_e32 v65, 0xffff, v70
	v_lshrrev_b32_e32 v68, 16, v70
	v_pk_fma_f16 v60, v7, v66, v60
	v_mul_u32_u24_e32 v66, 0x10001, v5
	v_mul_u32_u24_e32 v69, 0x10001, v6
	;; [unrolled: 1-line block ×4, first 2 shown]
	v_pk_fma_f16 v61, v7, v67, v61
	s_wait_dscnt 0x0
	v_pk_fma_f16 v62, v49, v66, v62
	v_pk_fma_f16 v67, v49, v69, v71
	;; [unrolled: 1-line block ×4, first 2 shown]
	ds_load_2addr_b64 v[4:7], v53 offset0:128 offset1:160
	v_pk_fma_f16 v71, v50, v66, v78
	v_pk_fma_f16 v56, v50, v69, v56
	;; [unrolled: 1-line block ×8, first 2 shown]
	v_and_b32_e32 v54, 0xffff, v84
	v_lshrrev_b32_e32 v55, 16, v84
	v_and_b32_e32 v57, 0xffff, v85
	v_pk_fma_f16 v59, v52, v69, v59
	v_lshrrev_b32_e32 v69, 16, v85
	v_pk_fma_f16 v60, v52, v65, v60
	v_mul_u32_u24_e32 v65, 0x10001, v54
	v_mul_u32_u24_e32 v78, 0x10001, v55
	;; [unrolled: 1-line block ×4, first 2 shown]
	v_pk_fma_f16 v52, v52, v68, v61
	s_wait_dscnt 0x0
	v_pk_fma_f16 v61, v4, v65, v62
	v_pk_fma_f16 v62, v4, v78, v67
	;; [unrolled: 1-line block ×4, first 2 shown]
	ds_load_2addr_b64 v[54:57], v53 offset0:192 offset1:224
	v_pk_fma_f16 v51, v51, v68, v88
	v_pk_fma_f16 v49, v4, v69, v49
	;; [unrolled: 1-line block ×5, first 2 shown]
	v_and_b32_e32 v4, 0xffff, v86
	v_lshrrev_b32_e32 v5, 16, v86
	v_pk_fma_f16 v85, v6, v65, v58
	v_pk_fma_f16 v63, v6, v78, v63
	;; [unrolled: 1-line block ×8, first 2 shown]
	v_and_b32_e32 v50, 0xffff, v87
	v_mul_u32_u24_e32 v69, 0x10001, v4
	v_mul_u32_u24_e32 v84, 0x10001, v5
	ds_load_b128 v[4:7], v44 offset:64
	v_lshrrev_b32_e32 v58, 16, v87
	v_mul_u32_u24_e32 v86, 0x10001, v50
	v_add_nc_u32_e32 v50, 0x1000, v32
	s_wait_dscnt 0x1
	v_pk_fma_f16 v88, v54, v69, v61
	v_pk_fma_f16 v89, v54, v84, v62
	v_mul_u32_u24_e32 v87, 0x10001, v58
	v_pk_fma_f16 v67, v54, v86, v67
	ds_load_2addr_b64 v[58:61], v50 offset1:32
	v_pk_fma_f16 v90, v56, v86, v64
	v_pk_fma_f16 v66, v57, v84, v66
	;; [unrolled: 1-line block ×11, first 2 shown]
	ds_load_b128 v[62:65], v44 offset:80
	s_wait_dscnt 0x2
	v_and_b32_e32 v55, 0xffff, v4
	v_lshrrev_b32_e32 v4, 16, v4
	v_and_b32_e32 v56, 0xffff, v5
	v_lshrrev_b32_e32 v5, 16, v5
	v_pk_fma_f16 v78, v57, v86, v78
	v_mul_u32_u24_e32 v84, 0x10001, v55
	v_mul_u32_u24_e32 v4, 0x10001, v4
	;; [unrolled: 1-line block ×4, first 2 shown]
	v_pk_fma_f16 v52, v57, v87, v52
	s_wait_dscnt 0x1
	v_pk_fma_f16 v87, v58, v84, v88
	v_pk_fma_f16 v88, v58, v4, v89
	;; [unrolled: 1-line block ×5, first 2 shown]
	ds_load_2addr_b64 v[54:57], v50 offset0:64 offset1:96
	v_pk_fma_f16 v68, v59, v4, v68
	v_pk_fma_f16 v70, v59, v86, v70
	;; [unrolled: 1-line block ×9, first 2 shown]
	v_and_b32_e32 v4, 0xffff, v6
	v_lshrrev_b32_e32 v6, 16, v6
	v_and_b32_e32 v69, 0xffff, v7
	v_lshrrev_b32_e32 v7, 16, v7
	v_pk_fma_f16 v78, v61, v86, v78
	v_mul_u32_u24_e32 v84, 0x10001, v4
	v_mul_u32_u24_e32 v86, 0x10001, v6
	v_pk_fma_f16 v52, v61, v5, v52
	v_mul_u32_u24_e32 v89, 0x10001, v7
	ds_load_2addr_b64 v[4:7], v50 offset0:128 offset1:160
	v_mul_u32_u24_e32 v69, 0x10001, v69
	s_wait_dscnt 0x1
	v_pk_fma_f16 v61, v54, v84, v87
	v_pk_fma_f16 v87, v54, v86, v88
	;; [unrolled: 1-line block ×8, first 2 shown]
	v_and_b32_e32 v55, 0xffff, v62
	v_pk_fma_f16 v70, v56, v84, v71
	v_pk_fma_f16 v71, v56, v86, v72
	;; [unrolled: 1-line block ×4, first 2 shown]
	v_lshrrev_b32_e32 v56, 16, v62
	v_and_b32_e32 v62, 0xffff, v63
	v_lshrrev_b32_e32 v63, 16, v63
	v_pk_fma_f16 v69, v57, v69, v78
	v_mul_u32_u24_e32 v78, 0x10001, v55
	v_pk_fma_f16 v60, v57, v84, v60
	v_pk_fma_f16 v66, v57, v86, v66
	v_mul_u32_u24_e32 v84, 0x10001, v56
	v_mul_u32_u24_e32 v62, 0x10001, v62
	;; [unrolled: 1-line block ×3, first 2 shown]
	v_pk_fma_f16 v52, v57, v89, v52
	s_wait_dscnt 0x0
	v_pk_fma_f16 v86, v5, v78, v54
	ds_load_2addr_b64 v[54:57], v50 offset0:192 offset1:224
	v_pk_fma_f16 v61, v4, v78, v61
	v_pk_fma_f16 v85, v4, v84, v87
	;; [unrolled: 1-line block ×7, first 2 shown]
	v_and_b32_e32 v4, 0xffff, v64
	v_lshrrev_b32_e32 v5, 16, v64
	v_pk_fma_f16 v70, v6, v78, v70
	v_pk_fma_f16 v71, v6, v84, v71
	;; [unrolled: 1-line block ×8, first 2 shown]
	v_and_b32_e32 v51, 0xffff, v65
	v_lshrrev_b32_e32 v59, 16, v65
	v_mul_u32_u24_e32 v62, 0x10001, v4
	v_mul_u32_u24_e32 v63, 0x10001, v5
	ds_load_b128 v[4:7], v44 offset:96
	v_mul_u32_u24_e32 v84, 0x10001, v51
	v_mul_u32_u24_e32 v89, 0x10001, v59
	v_add_nc_u32_e32 v51, 0x1800, v32
	s_wait_dscnt 0x1
	v_pk_fma_f16 v90, v54, v62, v61
	v_pk_fma_f16 v85, v54, v63, v85
	;; [unrolled: 1-line block ×6, first 2 shown]
	ds_load_2addr_b64 v[58:61], v51 offset1:32
	v_pk_fma_f16 v68, v55, v84, v68
	v_pk_fma_f16 v87, v55, v89, v87
	;; [unrolled: 1-line block ×8, first 2 shown]
	ds_load_b128 v[62:65], v44 offset:112
	s_wait_dscnt 0x2
	v_and_b32_e32 v55, 0xffff, v4
	v_lshrrev_b32_e32 v4, 16, v4
	v_and_b32_e32 v56, 0xffff, v5
	v_lshrrev_b32_e32 v5, 16, v5
	v_pk_fma_f16 v69, v57, v84, v69
	v_mul_u32_u24_e32 v84, 0x10001, v55
	v_mul_u32_u24_e32 v4, 0x10001, v4
	;; [unrolled: 1-line block ×4, first 2 shown]
	v_pk_fma_f16 v52, v57, v89, v52
	s_wait_dscnt 0x1
	v_pk_fma_f16 v89, v58, v84, v90
	v_pk_fma_f16 v85, v58, v4, v85
	;; [unrolled: 1-line block ×5, first 2 shown]
	ds_load_2addr_b64 v[54:57], v51 offset0:64 offset1:96
	v_pk_fma_f16 v86, v59, v4, v86
	v_pk_fma_f16 v70, v60, v84, v70
	;; [unrolled: 1-line block ×5, first 2 shown]
	v_and_b32_e32 v4, 0xffff, v6
	v_lshrrev_b32_e32 v6, 16, v6
	v_and_b32_e32 v84, 0xffff, v7
	v_lshrrev_b32_e32 v7, 16, v7
	v_pk_fma_f16 v68, v59, v91, v68
	v_pk_fma_f16 v59, v59, v5, v87
	;; [unrolled: 1-line block ×4, first 2 shown]
	v_mul_u32_u24_e32 v87, 0x10001, v4
	v_mul_u32_u24_e32 v88, 0x10001, v6
	;; [unrolled: 1-line block ×3, first 2 shown]
	v_pk_fma_f16 v52, v61, v5, v52
	ds_load_2addr_b64 v[4:7], v51 offset0:128 offset1:160
	v_mul_u32_u24_e32 v84, 0x10001, v84
	v_pk_fma_f16 v69, v61, v91, v69
	s_wait_dscnt 0x1
	v_pk_fma_f16 v61, v54, v87, v89
	v_pk_fma_f16 v85, v54, v88, v85
	;; [unrolled: 1-line block ×12, first 2 shown]
	v_and_b32_e32 v55, 0xffff, v62
	v_lshrrev_b32_e32 v56, 16, v62
	v_and_b32_e32 v62, 0xffff, v63
	v_lshrrev_b32_e32 v63, 16, v63
	v_pk_fma_f16 v69, v57, v84, v69
	v_mul_u32_u24_e32 v84, 0x10001, v55
	v_mul_u32_u24_e32 v86, 0x10001, v56
	;; [unrolled: 1-line block ×4, first 2 shown]
	v_pk_fma_f16 v78, v57, v87, v78
	v_pk_fma_f16 v66, v57, v88, v66
	;; [unrolled: 1-line block ×3, first 2 shown]
	s_wait_dscnt 0x0
	v_pk_fma_f16 v87, v4, v84, v61
	v_pk_fma_f16 v85, v4, v86, v85
	;; [unrolled: 1-line block ×8, first 2 shown]
	v_and_b32_e32 v58, 0xffff, v64
	v_lshrrev_b32_e32 v59, 16, v64
	ds_load_2addr_b64 v[54:57], v51 offset0:192 offset1:224
	v_pk_fma_f16 v70, v6, v84, v70
	v_pk_fma_f16 v71, v6, v86, v71
	;; [unrolled: 1-line block ×7, first 2 shown]
	v_lshrrev_b32_e32 v52, 16, v65
	v_mul_u32_u24_e32 v86, 0x10001, v58
	v_mul_u32_u24_e32 v89, 0x10001, v59
	ds_load_b128 v[58:61], v44 offset:128
	v_pk_fma_f16 v69, v7, v62, v69
	v_mul_u32_u24_e32 v91, 0x10001, v52
	v_add_nc_u32_e32 v52, 0x2000, v32
	v_and_b32_e32 v7, 0xffff, v65
	ds_load_2addr_b64 v[62:65], v52 offset1:32
	v_mul_u32_u24_e32 v90, 0x10001, v7
	s_wait_dscnt 0x2
	v_pk_fma_f16 v87, v54, v86, v87
	v_pk_fma_f16 v85, v54, v89, v85
	;; [unrolled: 1-line block ×12, first 2 shown]
	ds_load_b128 v[4:7], v44 offset:144
	s_wait_dscnt 0x2
	v_and_b32_e32 v55, 0xffff, v58
	v_lshrrev_b32_e32 v56, 16, v58
	v_and_b32_e32 v58, 0xffff, v59
	v_lshrrev_b32_e32 v59, 16, v59
	v_pk_fma_f16 v78, v57, v86, v78
	v_pk_fma_f16 v66, v57, v89, v66
	v_mul_u32_u24_e32 v86, 0x10001, v55
	v_mul_u32_u24_e32 v89, 0x10001, v56
	;; [unrolled: 1-line block ×4, first 2 shown]
	v_pk_fma_f16 v69, v57, v90, v69
	v_pk_fma_f16 v84, v57, v91, v84
	s_wait_dscnt 0x1
	v_pk_fma_f16 v87, v62, v86, v87
	v_pk_fma_f16 v85, v62, v89, v85
	;; [unrolled: 1-line block ×4, first 2 shown]
	ds_load_2addr_b64 v[54:57], v52 offset0:64 offset1:96
	v_pk_fma_f16 v49, v63, v86, v49
	v_pk_fma_f16 v88, v63, v89, v88
	;; [unrolled: 1-line block ×6, first 2 shown]
	v_and_b32_e32 v86, 0xffff, v60
	v_lshrrev_b32_e32 v60, 16, v60
	v_and_b32_e32 v89, 0xffff, v61
	v_lshrrev_b32_e32 v61, 16, v61
	v_pk_fma_f16 v68, v63, v58, v68
	v_pk_fma_f16 v72, v64, v58, v72
	;; [unrolled: 1-line block ×3, first 2 shown]
	v_mul_u32_u24_e32 v58, 0x10001, v86
	v_mul_u32_u24_e32 v60, 0x10001, v60
	v_mul_u32_u24_e32 v169, 0x10001, v89
	v_mul_u32_u24_e32 v170, 0x10001, v61
	v_pk_fma_f16 v63, v63, v59, v92
	v_pk_fma_f16 v64, v64, v59, v93
	s_wait_dscnt 0x0
	v_pk_fma_f16 v172, v54, v58, v87
	v_pk_fma_f16 v173, v54, v60, v85
	v_pk_fma_f16 v174, v54, v169, v67
	v_pk_fma_f16 v175, v54, v170, v62
	s_wait_alu 0xfffe
	v_add_co_u32 v54, vcc_lo, s24, v16
	v_pk_fma_f16 v176, v55, v58, v49
	v_pk_fma_f16 v177, v55, v60, v88
	;; [unrolled: 1-line block ×5, first 2 shown]
	s_wait_alu 0xfffd
	v_add_co_ci_u32_e64 v55, null, s25, v17, vcc_lo
	v_add_co_u32 v70, vcc_lo, s24, v18
	v_pk_fma_f16 v181, v56, v60, v71
	s_wait_alu 0xfffd
	v_add_co_ci_u32_e64 v71, null, s25, v19, vcc_lo
	v_add_co_u32 v54, vcc_lo, v54, v77
	s_wait_alu 0xfffd
	v_add_co_ci_u32_e64 v55, null, 0, v55, vcc_lo
	v_add_co_u32 v70, vcc_lo, v70, v77
	v_pk_fma_f16 v182, v57, v58, v78
	s_wait_alu 0xfffd
	v_add_co_ci_u32_e64 v71, null, 0, v71, vcc_lo
	v_add_co_u32 v78, vcc_lo, s24, v20
	s_wait_alu 0xfffd
	v_add_co_ci_u32_e64 v152, null, s25, v21, vcc_lo
	v_add_co_u32 v153, vcc_lo, s24, v22
	;; [unrolled: 3-line block ×3, first 2 shown]
	v_lshrrev_b32_e32 v184, 16, v4
	v_add_nc_u32_e32 v49, 0x2800, v32
	v_lshrrev_b32_e32 v185, 16, v5
	v_and_b32_e32 v186, 0xffff, v4
	v_and_b32_e32 v187, 0xffff, v5
	v_add_nc_u32_e32 v5, 0x3000, v32
	v_add_nc_u32_e32 v4, 0x3800, v32
	s_wait_alu 0xfffd
	v_add_co_ci_u32_e64 v161, null, 0, v152, vcc_lo
	v_add_co_u32 v77, vcc_lo, v153, v77
	s_wait_alu 0xfffd
	v_add_co_ci_u32_e64 v78, null, 0, v154, vcc_lo
	v_pk_fma_f16 v171, v65, v59, v84
	v_pk_fma_f16 v72, v56, v169, v72
	;; [unrolled: 1-line block ×4, first 2 shown]
	ds_load_2addr_b64 v[58:61], v52 offset0:128 offset1:160
	ds_load_2addr_b64 v[62:65], v52 offset0:192 offset1:224
	ds_load_2addr_b64 v[66:69], v49 offset1:32
	ds_load_2addr_b64 v[84:87], v49 offset0:64 offset1:96
	ds_load_2addr_b64 v[88:91], v49 offset0:128 offset1:160
	ds_load_b128 v[92:95], v44 offset:160
	ds_load_b128 v[96:99], v44 offset:176
	ds_load_2addr_b64 v[100:103], v49 offset0:192 offset1:224
	ds_load_2addr_b64 v[104:107], v5 offset1:32
	ds_load_2addr_b64 v[108:111], v5 offset0:64 offset1:96
	ds_load_2addr_b64 v[112:115], v5 offset0:128 offset1:160
	ds_load_b128 v[116:119], v44 offset:192
	ds_load_b128 v[120:123], v44 offset:208
	;; [unrolled: 6-line block ×3, first 2 shown]
	ds_load_2addr_b64 v[148:151], v4 offset0:192 offset1:224
	s_wait_loadcnt_dscnt 0x0
	s_barrier_signal -1
	s_barrier_wait -1
	global_inv scope:SCOPE_SE
	s_clause 0x3
	global_load_b128 v[152:155], v[54:55], off
	global_load_b128 v[156:159], v[70:71], off
	;; [unrolled: 1-line block ×4, first 2 shown]
	v_mul_u32_u24_e32 v55, 0x10001, v186
	v_mul_u32_u24_e32 v70, 0x10001, v184
	v_mul_u32_u24_e32 v71, 0x10001, v187
	v_mul_u32_u24_e32 v77, 0x10001, v185
	v_pk_fma_f16 v54, v57, v169, v168
	v_pk_fma_f16 v57, v57, v170, v171
	s_wait_loadcnt 0x3
	ds_store_b128 v42, v[152:155]
	s_wait_loadcnt 0x2
	ds_store_b128 v45, v[156:159]
	;; [unrolled: 2-line block ×4, first 2 shown]
	v_pk_fma_f16 v78, v58, v55, v172
	v_pk_fma_f16 v168, v58, v70, v173
	;; [unrolled: 1-line block ×10, first 2 shown]
	v_and_b32_e32 v70, 0xffff, v6
	v_lshrrev_b32_e32 v6, 16, v6
	v_and_b32_e32 v175, 0xffff, v7
	v_lshrrev_b32_e32 v7, 16, v7
	v_pk_fma_f16 v170, v59, v55, v176
	v_pk_fma_f16 v172, v59, v71, v178
	;; [unrolled: 1-line block ×3, first 2 shown]
	v_mul_u32_u24_e32 v70, 0x10001, v70
	v_mul_u32_u24_e32 v6, 0x10001, v6
	;; [unrolled: 1-line block ×4, first 2 shown]
	v_pk_fma_f16 v59, v59, v77, v179
	v_pk_fma_f16 v55, v61, v55, v182
	;; [unrolled: 1-line block ×11, first 2 shown]
	v_and_b32_e32 v60, 0xffff, v92
	v_pk_fma_f16 v169, v63, v71, v172
	v_pk_fma_f16 v59, v63, v7, v59
	;; [unrolled: 1-line block ×6, first 2 shown]
	v_lshrrev_b32_e32 v64, 16, v92
	v_and_b32_e32 v70, 0xffff, v93
	v_lshrrev_b32_e32 v92, 16, v93
	v_mul_u32_u24_e32 v60, 0x10001, v60
	v_pk_fma_f16 v54, v65, v71, v54
	v_mul_u32_u24_e32 v64, 0x10001, v64
	v_mul_u32_u24_e32 v70, 0x10001, v70
	v_mul_u32_u24_e32 v71, 0x10001, v92
	v_pk_fma_f16 v7, v65, v7, v57
	v_pk_fma_f16 v57, v66, v60, v61
	;; [unrolled: 1-line block ×5, first 2 shown]
	v_and_b32_e32 v60, 0xffff, v94
	v_pk_fma_f16 v61, v66, v64, v77
	v_pk_fma_f16 v65, v66, v70, v78
	;; [unrolled: 1-line block ×8, first 2 shown]
	v_lshrrev_b32_e32 v64, 16, v94
	v_mul_u32_u24_e32 v60, 0x10001, v60
	v_pk_fma_f16 v72, v68, v70, v72
	v_pk_fma_f16 v56, v68, v71, v56
	v_and_b32_e32 v68, 0xffff, v95
	v_mul_u32_u24_e32 v64, 0x10001, v64
	v_pk_fma_f16 v57, v84, v60, v57
	v_pk_fma_f16 v62, v85, v60, v62
	;; [unrolled: 1-line block ×4, first 2 shown]
	v_and_b32_e32 v60, 0xffff, v96
	v_pk_fma_f16 v61, v84, v64, v61
	v_pk_fma_f16 v66, v85, v64, v66
	;; [unrolled: 1-line block ×4, first 2 shown]
	v_lshrrev_b32_e32 v64, 16, v96
	v_mul_u32_u24_e32 v60, 0x10001, v60
	v_mul_u32_u24_e32 v68, 0x10001, v68
	v_lshrrev_b32_e32 v78, 16, v95
	v_pk_fma_f16 v54, v69, v70, v54
	v_mul_u32_u24_e32 v64, 0x10001, v64
	v_pk_fma_f16 v57, v88, v60, v57
	v_pk_fma_f16 v62, v89, v60, v62
	;; [unrolled: 1-line block ×4, first 2 shown]
	v_and_b32_e32 v60, 0xffff, v98
	v_pk_fma_f16 v61, v88, v64, v61
	v_pk_fma_f16 v66, v89, v64, v66
	;; [unrolled: 1-line block ×4, first 2 shown]
	v_lshrrev_b32_e32 v64, 16, v98
	v_mul_u32_u24_e32 v60, 0x10001, v60
	v_pk_fma_f16 v7, v69, v71, v7
	v_pk_fma_f16 v71, v86, v68, v72
	v_and_b32_e32 v72, 0xffff, v97
	v_mul_u32_u24_e32 v64, 0x10001, v64
	v_pk_fma_f16 v57, v100, v60, v57
	v_pk_fma_f16 v62, v101, v60, v62
	;; [unrolled: 1-line block ×4, first 2 shown]
	v_and_b32_e32 v60, 0xffff, v116
	v_pk_fma_f16 v61, v100, v64, v61
	v_pk_fma_f16 v66, v101, v64, v66
	;; [unrolled: 1-line block ×4, first 2 shown]
	v_lshrrev_b32_e32 v64, 16, v116
	v_mul_u32_u24_e32 v60, 0x10001, v60
	v_mul_u32_u24_e32 v70, 0x10001, v78
	v_pk_fma_f16 v65, v84, v68, v65
	v_pk_fma_f16 v69, v85, v68, v77
	v_mul_u32_u24_e32 v64, 0x10001, v64
	v_pk_fma_f16 v57, v104, v60, v57
	v_pk_fma_f16 v62, v105, v60, v62
	;; [unrolled: 1-line block ×4, first 2 shown]
	v_and_b32_e32 v60, 0xffff, v118
	v_pk_fma_f16 v61, v104, v64, v61
	v_pk_fma_f16 v66, v105, v64, v66
	;; [unrolled: 1-line block ×4, first 2 shown]
	v_lshrrev_b32_e32 v64, 16, v118
	v_mul_u32_u24_e32 v60, 0x10001, v60
	v_lshrrev_b32_e32 v77, 16, v97
	v_pk_fma_f16 v54, v87, v68, v54
	v_mul_u32_u24_e32 v68, 0x10001, v72
	v_mul_u32_u24_e32 v64, 0x10001, v64
	v_pk_fma_f16 v57, v108, v60, v57
	v_pk_fma_f16 v62, v109, v60, v62
	v_pk_fma_f16 v63, v110, v60, v63
	v_pk_fma_f16 v55, v111, v60, v55
	v_and_b32_e32 v60, 0xffff, v120
	v_pk_fma_f16 v58, v84, v70, v58
	v_pk_fma_f16 v59, v85, v70, v59
	;; [unrolled: 1-line block ×3, first 2 shown]
	v_mul_u32_u24_e32 v72, 0x10001, v77
	v_pk_fma_f16 v7, v87, v70, v7
	v_pk_fma_f16 v70, v90, v68, v71
	v_and_b32_e32 v71, 0xffff, v99
	v_lshrrev_b32_e32 v77, 16, v99
	v_pk_fma_f16 v61, v108, v64, v61
	v_pk_fma_f16 v66, v109, v64, v66
	v_pk_fma_f16 v67, v110, v64, v67
	v_pk_fma_f16 v6, v111, v64, v6
	v_lshrrev_b32_e32 v64, 16, v120
	v_mul_u32_u24_e32 v60, 0x10001, v60
	v_pk_fma_f16 v65, v88, v68, v65
	v_pk_fma_f16 v58, v88, v72, v58
	;; [unrolled: 1-line block ×6, first 2 shown]
	v_mul_u32_u24_e32 v68, 0x10001, v71
	v_mul_u32_u24_e32 v71, 0x10001, v77
	v_pk_fma_f16 v7, v91, v72, v7
	v_and_b32_e32 v72, 0xffff, v117
	v_lshrrev_b32_e32 v77, 16, v117
	v_mul_u32_u24_e32 v64, 0x10001, v64
	v_pk_fma_f16 v57, v112, v60, v57
	v_pk_fma_f16 v62, v113, v60, v62
	;; [unrolled: 1-line block ×4, first 2 shown]
	v_and_b32_e32 v60, 0xffff, v122
	v_pk_fma_f16 v65, v100, v68, v65
	v_pk_fma_f16 v58, v100, v71, v58
	;; [unrolled: 1-line block ×7, first 2 shown]
	v_mul_u32_u24_e32 v68, 0x10001, v72
	v_mul_u32_u24_e32 v72, 0x10001, v77
	v_pk_fma_f16 v7, v103, v71, v7
	v_and_b32_e32 v71, 0xffff, v119
	v_lshrrev_b32_e32 v77, 16, v119
	v_pk_fma_f16 v61, v112, v64, v61
	v_pk_fma_f16 v66, v113, v64, v66
	;; [unrolled: 1-line block ×4, first 2 shown]
	v_lshrrev_b32_e32 v64, 16, v122
	v_mul_u32_u24_e32 v60, 0x10001, v60
	v_pk_fma_f16 v65, v104, v68, v65
	v_pk_fma_f16 v58, v104, v72, v58
	v_pk_fma_f16 v69, v105, v68, v69
	v_pk_fma_f16 v59, v105, v72, v59
	v_pk_fma_f16 v70, v106, v68, v70
	v_pk_fma_f16 v56, v106, v72, v56
	v_pk_fma_f16 v54, v107, v68, v54
	v_mul_u32_u24_e32 v68, 0x10001, v71
	v_mul_u32_u24_e32 v71, 0x10001, v77
	v_pk_fma_f16 v7, v107, v72, v7
	v_and_b32_e32 v72, 0xffff, v121
	v_lshrrev_b32_e32 v77, 16, v121
	v_mul_u32_u24_e32 v64, 0x10001, v64
	v_pk_fma_f16 v57, v124, v60, v57
	v_pk_fma_f16 v62, v125, v60, v62
	;; [unrolled: 1-line block ×4, first 2 shown]
	v_and_b32_e32 v60, 0xffff, v140
	v_pk_fma_f16 v65, v108, v68, v65
	v_pk_fma_f16 v58, v108, v71, v58
	;; [unrolled: 1-line block ×7, first 2 shown]
	v_mul_u32_u24_e32 v68, 0x10001, v72
	v_mul_u32_u24_e32 v72, 0x10001, v77
	v_pk_fma_f16 v7, v111, v71, v7
	v_and_b32_e32 v71, 0xffff, v123
	v_lshrrev_b32_e32 v77, 16, v123
	v_pk_fma_f16 v61, v124, v64, v61
	v_pk_fma_f16 v66, v125, v64, v66
	;; [unrolled: 1-line block ×4, first 2 shown]
	v_lshrrev_b32_e32 v64, 16, v140
	v_mul_u32_u24_e32 v60, 0x10001, v60
	v_pk_fma_f16 v65, v112, v68, v65
	v_pk_fma_f16 v58, v112, v72, v58
	;; [unrolled: 1-line block ×7, first 2 shown]
	v_mul_u32_u24_e32 v68, 0x10001, v71
	v_mul_u32_u24_e32 v71, 0x10001, v77
	v_pk_fma_f16 v7, v115, v72, v7
	v_and_b32_e32 v72, 0xffff, v141
	v_lshrrev_b32_e32 v77, 16, v141
	v_mul_u32_u24_e32 v64, 0x10001, v64
	v_pk_fma_f16 v57, v128, v60, v57
	v_pk_fma_f16 v62, v129, v60, v62
	;; [unrolled: 1-line block ×4, first 2 shown]
	v_and_b32_e32 v60, 0xffff, v142
	v_pk_fma_f16 v65, v124, v68, v65
	v_pk_fma_f16 v58, v124, v71, v58
	;; [unrolled: 1-line block ×7, first 2 shown]
	v_mul_u32_u24_e32 v68, 0x10001, v72
	v_mul_u32_u24_e32 v72, 0x10001, v77
	v_pk_fma_f16 v7, v127, v71, v7
	v_pk_fma_f16 v61, v128, v64, v61
	v_pk_fma_f16 v66, v129, v64, v66
	v_pk_fma_f16 v67, v130, v64, v67
	v_pk_fma_f16 v6, v131, v64, v6
	v_lshrrev_b32_e32 v64, 16, v142
	v_and_b32_e32 v71, 0xffff, v143
	v_lshrrev_b32_e32 v77, 16, v143
	v_mul_u32_u24_e32 v60, 0x10001, v60
	v_pk_fma_f16 v65, v128, v68, v65
	v_pk_fma_f16 v58, v128, v72, v58
	;; [unrolled: 1-line block ×7, first 2 shown]
	v_mul_u32_u24_e32 v64, 0x10001, v64
	v_mul_u32_u24_e32 v68, 0x10001, v71
	;; [unrolled: 1-line block ×3, first 2 shown]
	v_pk_fma_f16 v7, v131, v72, v7
	v_pk_fma_f16 v57, v132, v60, v57
	;; [unrolled: 1-line block ×5, first 2 shown]
	v_and_b32_e32 v60, 0xffff, v144
	v_and_b32_e32 v72, 0xffff, v145
	v_lshrrev_b32_e32 v77, 16, v145
	v_pk_fma_f16 v61, v132, v64, v61
	v_pk_fma_f16 v65, v132, v68, v65
	;; [unrolled: 1-line block ×8, first 2 shown]
	v_lshrrev_b32_e32 v64, 16, v144
	v_pk_fma_f16 v54, v135, v68, v54
	v_mul_u32_u24_e32 v60, 0x10001, v60
	v_mul_u32_u24_e32 v68, 0x10001, v72
	;; [unrolled: 1-line block ×3, first 2 shown]
	v_pk_fma_f16 v58, v132, v71, v58
	v_pk_fma_f16 v59, v133, v71, v59
	v_mul_u32_u24_e32 v64, 0x10001, v64
	v_pk_fma_f16 v7, v135, v71, v7
	v_pk_fma_f16 v71, v136, v60, v57
	;; [unrolled: 1-line block ×4, first 2 shown]
	v_and_b32_e32 v55, 0xffff, v146
	v_lshrrev_b32_e32 v56, 16, v146
	v_and_b32_e32 v57, 0xffff, v147
	v_pk_fma_f16 v61, v136, v64, v61
	v_pk_fma_f16 v65, v136, v68, v65
	;; [unrolled: 1-line block ×10, first 2 shown]
	v_lshrrev_b32_e32 v60, 16, v147
	v_mul_u32_u24_e32 v68, 0x10001, v55
	v_mul_u32_u24_e32 v84, 0x10001, v56
	;; [unrolled: 1-line block ×3, first 2 shown]
	s_wait_dscnt 0x0
	s_barrier_signal -1
	s_barrier_wait -1
	global_inv scope:SCOPE_SE
	ds_load_b128 v[54:57], v44 offset:256
	v_pk_fma_f16 v58, v136, v72, v58
	v_pk_fma_f16 v59, v137, v72, v59
	v_mul_u32_u24_e32 v86, 0x10001, v60
	v_pk_fma_f16 v7, v139, v72, v7
	v_pk_fma_f16 v72, v148, v84, v61
	;; [unrolled: 1-line block ×6, first 2 shown]
	ds_load_2addr_b64 v[58:61], v32 offset1:32
	v_pk_fma_f16 v92, v149, v84, v66
	v_pk_fma_f16 v95, v150, v68, v63
	;; [unrolled: 1-line block ×4, first 2 shown]
	ds_load_b128 v[62:65], v44 offset:272
	v_pk_fma_f16 v71, v148, v68, v71
	v_pk_fma_f16 v93, v149, v85, v69
	;; [unrolled: 1-line block ×4, first 2 shown]
	s_wait_dscnt 0x2
	v_and_b32_e32 v66, 0xffff, v54
	v_lshrrev_b32_e32 v54, 16, v54
	v_and_b32_e32 v67, 0xffff, v55
	v_lshrrev_b32_e32 v55, 16, v55
	v_pk_fma_f16 v78, v151, v68, v78
	v_mul_u32_u24_e32 v98, 0x10001, v66
	v_mul_u32_u24_e32 v54, 0x10001, v54
	;; [unrolled: 1-line block ×4, first 2 shown]
	v_pk_fma_f16 v6, v151, v84, v6
	v_pk_fma_f16 v7, v151, v86, v7
	ds_load_b128 v[66:69], v44 offset:288
	ds_load_b128 v[84:87], v44 offset:304
	s_wait_dscnt 0x3
	v_pk_fma_f16 v71, v58, v98, v71
	v_pk_fma_f16 v72, v58, v54, v72
	;; [unrolled: 1-line block ×5, first 2 shown]
	ds_load_2addr_b64 v[88:91], v32 offset0:64 offset1:96
	v_pk_fma_f16 v92, v59, v54, v92
	v_pk_fma_f16 v93, v59, v99, v93
	;; [unrolled: 1-line block ×9, first 2 shown]
	v_and_b32_e32 v54, 0xffff, v56
	v_lshrrev_b32_e32 v56, 16, v56
	v_and_b32_e32 v78, 0xffff, v57
	v_lshrrev_b32_e32 v57, 16, v57
	v_pk_fma_f16 v96, v61, v99, v97
	v_mul_u32_u24_e32 v97, 0x10001, v54
	v_mul_u32_u24_e32 v98, 0x10001, v56
	v_pk_fma_f16 v7, v61, v55, v7
	v_mul_u32_u24_e32 v99, 0x10001, v57
	ds_load_2addr_b64 v[54:57], v32 offset0:128 offset1:160
	v_mul_u32_u24_e32 v78, 0x10001, v78
	s_wait_dscnt 0x1
	v_pk_fma_f16 v61, v88, v97, v71
	v_pk_fma_f16 v71, v88, v98, v72
	;; [unrolled: 1-line block ×12, first 2 shown]
	v_and_b32_e32 v59, 0xffff, v62
	v_lshrrev_b32_e32 v60, 16, v62
	v_and_b32_e32 v62, 0xffff, v63
	v_lshrrev_b32_e32 v63, 16, v63
	v_pk_fma_f16 v77, v91, v97, v77
	v_pk_fma_f16 v78, v91, v78, v96
	v_mul_u32_u24_e32 v96, 0x10001, v59
	v_mul_u32_u24_e32 v97, 0x10001, v60
	;; [unrolled: 1-line block ×4, first 2 shown]
	v_pk_fma_f16 v6, v91, v98, v6
	v_pk_fma_f16 v7, v91, v99, v7
	s_wait_dscnt 0x0
	v_pk_fma_f16 v91, v54, v96, v61
	v_pk_fma_f16 v71, v54, v97, v71
	;; [unrolled: 1-line block ×4, first 2 shown]
	ds_load_2addr_b64 v[58:61], v32 offset0:192 offset1:224
	v_pk_fma_f16 v88, v55, v96, v88
	v_pk_fma_f16 v92, v55, v97, v92
	v_pk_fma_f16 v93, v55, v62, v93
	v_pk_fma_f16 v89, v55, v63, v89
	v_pk_fma_f16 v94, v56, v96, v94
	v_pk_fma_f16 v95, v56, v97, v95
	v_pk_fma_f16 v70, v56, v62, v70
	v_pk_fma_f16 v90, v56, v63, v90
	v_and_b32_e32 v55, 0xffff, v64
	v_lshrrev_b32_e32 v56, 16, v64
	v_and_b32_e32 v64, 0xffff, v65
	v_lshrrev_b32_e32 v65, 16, v65
	v_pk_fma_f16 v77, v57, v96, v77
	v_pk_fma_f16 v62, v57, v62, v78
	v_mul_u32_u24_e32 v78, 0x10001, v55
	v_mul_u32_u24_e32 v96, 0x10001, v56
	;; [unrolled: 1-line block ×4, first 2 shown]
	v_pk_fma_f16 v6, v57, v97, v6
	v_pk_fma_f16 v7, v57, v63, v7
	s_wait_dscnt 0x0
	v_pk_fma_f16 v63, v58, v78, v91
	v_pk_fma_f16 v71, v58, v96, v71
	;; [unrolled: 1-line block ×4, first 2 shown]
	ds_load_2addr_b64 v[54:57], v53 offset1:32
	v_pk_fma_f16 v88, v59, v78, v88
	v_pk_fma_f16 v91, v59, v96, v92
	;; [unrolled: 1-line block ×8, first 2 shown]
	v_and_b32_e32 v59, 0xffff, v66
	v_lshrrev_b32_e32 v60, 16, v66
	v_and_b32_e32 v66, 0xffff, v67
	v_lshrrev_b32_e32 v67, 16, v67
	v_pk_fma_f16 v77, v61, v78, v77
	v_pk_fma_f16 v62, v61, v64, v62
	v_mul_u32_u24_e32 v64, 0x10001, v59
	v_mul_u32_u24_e32 v78, 0x10001, v60
	;; [unrolled: 1-line block ×4, first 2 shown]
	v_pk_fma_f16 v6, v61, v96, v6
	v_pk_fma_f16 v7, v61, v65, v7
	s_wait_dscnt 0x0
	v_pk_fma_f16 v63, v54, v64, v63
	v_pk_fma_f16 v65, v54, v78, v71
	;; [unrolled: 1-line block ×4, first 2 shown]
	ds_load_2addr_b64 v[58:61], v53 offset0:64 offset1:96
	v_pk_fma_f16 v72, v55, v64, v88
	v_pk_fma_f16 v88, v55, v78, v91
	;; [unrolled: 1-line block ×8, first 2 shown]
	v_and_b32_e32 v55, 0xffff, v68
	v_lshrrev_b32_e32 v56, 16, v68
	v_and_b32_e32 v68, 0xffff, v69
	v_lshrrev_b32_e32 v69, 16, v69
	v_pk_fma_f16 v64, v57, v64, v77
	v_pk_fma_f16 v62, v57, v66, v62
	v_mul_u32_u24_e32 v66, 0x10001, v55
	v_mul_u32_u24_e32 v77, 0x10001, v56
	;; [unrolled: 1-line block ×4, first 2 shown]
	v_pk_fma_f16 v6, v57, v78, v6
	v_pk_fma_f16 v7, v57, v67, v7
	s_wait_dscnt 0x0
	v_pk_fma_f16 v63, v58, v66, v63
	v_pk_fma_f16 v65, v58, v77, v65
	;; [unrolled: 1-line block ×4, first 2 shown]
	ds_load_2addr_b64 v[54:57], v53 offset0:128 offset1:160
	v_pk_fma_f16 v71, v59, v66, v72
	v_pk_fma_f16 v72, v59, v77, v88
	;; [unrolled: 1-line block ×5, first 2 shown]
	v_lshrrev_b32_e32 v77, 16, v85
	v_pk_fma_f16 v88, v59, v69, v89
	v_pk_fma_f16 v89, v60, v66, v92
	;; [unrolled: 1-line block ×5, first 2 shown]
	v_and_b32_e32 v59, 0xffff, v84
	v_lshrrev_b32_e32 v60, 16, v84
	v_and_b32_e32 v66, 0xffff, v85
	v_mul_u32_u24_e32 v77, 0x10001, v77
	v_pk_fma_f16 v62, v61, v68, v62
	v_mul_u32_u24_e32 v68, 0x10001, v59
	v_mul_u32_u24_e32 v84, 0x10001, v60
	;; [unrolled: 1-line block ×3, first 2 shown]
	v_pk_fma_f16 v7, v61, v69, v7
	s_wait_dscnt 0x0
	v_pk_fma_f16 v69, v54, v77, v58
	ds_load_2addr_b64 v[58:61], v53 offset0:192 offset1:224
	v_pk_fma_f16 v63, v54, v68, v63
	v_pk_fma_f16 v65, v54, v84, v65
	;; [unrolled: 1-line block ×3, first 2 shown]
	v_and_b32_e32 v53, 0xffff, v86
	v_lshrrev_b32_e32 v54, 16, v86
	v_pk_fma_f16 v71, v55, v68, v71
	v_pk_fma_f16 v72, v55, v84, v72
	;; [unrolled: 1-line block ×9, first 2 shown]
	v_mul_u32_u24_e32 v84, 0x10001, v53
	v_mul_u32_u24_e32 v86, 0x10001, v54
	ds_load_b128 v[53:56], v44 offset:320
	v_pk_fma_f16 v68, v57, v68, v64
	v_pk_fma_f16 v66, v57, v66, v62
	v_and_b32_e32 v62, 0xffff, v87
	v_lshrrev_b32_e32 v64, 16, v87
	v_pk_fma_f16 v7, v57, v77, v7
	s_wait_dscnt 0x1
	v_pk_fma_f16 v77, v58, v84, v63
	v_pk_fma_f16 v92, v58, v86, v65
	v_mul_u32_u24_e32 v87, 0x10001, v62
	v_mul_u32_u24_e32 v91, 0x10001, v64
	ds_load_2addr_b64 v[62:65], v50 offset1:32
	v_pk_fma_f16 v71, v59, v84, v71
	v_pk_fma_f16 v72, v59, v86, v72
	;; [unrolled: 1-line block ×12, first 2 shown]
	ds_load_b128 v[57:60], v44 offset:336
	s_wait_dscnt 0x2
	v_and_b32_e32 v68, 0xffff, v53
	v_lshrrev_b32_e32 v53, 16, v53
	v_and_b32_e32 v86, 0xffff, v54
	v_lshrrev_b32_e32 v54, 16, v54
	v_pk_fma_f16 v87, v61, v87, v66
	v_mul_u32_u24_e32 v93, 0x10001, v68
	v_mul_u32_u24_e32 v53, 0x10001, v53
	;; [unrolled: 1-line block ×4, first 2 shown]
	v_pk_fma_f16 v7, v61, v91, v7
	s_wait_dscnt 0x1
	v_pk_fma_f16 v61, v62, v93, v77
	v_pk_fma_f16 v77, v62, v53, v92
	v_pk_fma_f16 v91, v62, v86, v67
	v_pk_fma_f16 v62, v62, v54, v69
	ds_load_2addr_b64 v[66:69], v50 offset0:64 offset1:96
	v_pk_fma_f16 v71, v63, v93, v71
	v_pk_fma_f16 v72, v63, v53, v72
	;; [unrolled: 1-line block ×7, first 2 shown]
	v_and_b32_e32 v53, 0xffff, v55
	v_lshrrev_b32_e32 v55, 16, v55
	v_and_b32_e32 v89, 0xffff, v56
	v_lshrrev_b32_e32 v56, 16, v56
	v_pk_fma_f16 v70, v64, v86, v70
	v_pk_fma_f16 v64, v64, v54, v90
	;; [unrolled: 1-line block ×3, first 2 shown]
	v_mul_u32_u24_e32 v87, 0x10001, v53
	v_mul_u32_u24_e32 v90, 0x10001, v55
	;; [unrolled: 1-line block ×3, first 2 shown]
	v_pk_fma_f16 v7, v65, v54, v7
	ds_load_2addr_b64 v[53:56], v50 offset0:128 offset1:160
	v_mul_u32_u24_e32 v89, 0x10001, v89
	v_pk_fma_f16 v84, v65, v93, v84
	s_wait_dscnt 0x1
	v_pk_fma_f16 v61, v66, v87, v61
	v_pk_fma_f16 v65, v66, v90, v77
	;; [unrolled: 1-line block ×12, first 2 shown]
	v_and_b32_e32 v63, 0xffff, v57
	v_lshrrev_b32_e32 v57, 16, v57
	v_and_b32_e32 v64, 0xffff, v58
	v_lshrrev_b32_e32 v58, 16, v58
	v_pk_fma_f16 v84, v69, v87, v84
	v_pk_fma_f16 v86, v69, v89, v86
	v_mul_u32_u24_e32 v87, 0x10001, v63
	v_mul_u32_u24_e32 v57, 0x10001, v57
	;; [unrolled: 1-line block ×4, first 2 shown]
	v_pk_fma_f16 v6, v69, v90, v6
	v_pk_fma_f16 v7, v69, v92, v7
	s_wait_dscnt 0x0
	v_pk_fma_f16 v69, v53, v87, v61
	v_pk_fma_f16 v65, v53, v57, v65
	;; [unrolled: 1-line block ×4, first 2 shown]
	ds_load_2addr_b64 v[61:64], v50 offset0:192 offset1:224
	v_pk_fma_f16 v66, v54, v87, v66
	v_pk_fma_f16 v71, v54, v57, v71
	;; [unrolled: 1-line block ×10, first 2 shown]
	v_and_b32_e32 v54, 0xffff, v59
	v_lshrrev_b32_e32 v55, 16, v59
	v_pk_fma_f16 v85, v56, v88, v86
	v_and_b32_e32 v86, 0xffff, v60
	v_lshrrev_b32_e32 v87, 16, v60
	ds_load_b128 v[57:60], v44 offset:352
	v_mul_u32_u24_e32 v88, 0x10001, v54
	v_mul_u32_u24_e32 v90, 0x10001, v55
	v_mul_u32_u24_e32 v86, 0x10001, v86
	v_mul_u32_u24_e32 v87, 0x10001, v87
	v_pk_fma_f16 v7, v56, v89, v7
	s_wait_dscnt 0x1
	v_pk_fma_f16 v69, v61, v88, v69
	v_pk_fma_f16 v89, v61, v90, v65
	v_pk_fma_f16 v77, v61, v86, v77
	v_pk_fma_f16 v61, v61, v87, v53
	ds_load_2addr_b64 v[53:56], v51 offset1:32
	v_pk_fma_f16 v91, v62, v88, v66
	v_pk_fma_f16 v71, v62, v90, v71
	;; [unrolled: 1-line block ×8, first 2 shown]
	ds_load_b128 v[65:68], v44 offset:368
	s_wait_dscnt 0x2
	v_and_b32_e32 v62, 0xffff, v57
	v_lshrrev_b32_e32 v57, 16, v57
	v_and_b32_e32 v63, 0xffff, v58
	v_lshrrev_b32_e32 v58, 16, v58
	v_pk_fma_f16 v84, v64, v88, v84
	v_pk_fma_f16 v85, v64, v86, v85
	v_mul_u32_u24_e32 v86, 0x10001, v62
	v_mul_u32_u24_e32 v57, 0x10001, v57
	;; [unrolled: 1-line block ×4, first 2 shown]
	v_pk_fma_f16 v6, v64, v90, v6
	v_pk_fma_f16 v7, v64, v87, v7
	s_wait_dscnt 0x1
	v_pk_fma_f16 v69, v53, v86, v69
	v_pk_fma_f16 v87, v53, v57, v89
	;; [unrolled: 1-line block ×4, first 2 shown]
	ds_load_2addr_b64 v[61:64], v51 offset0:64 offset1:96
	v_pk_fma_f16 v89, v54, v86, v91
	v_pk_fma_f16 v71, v54, v57, v71
	;; [unrolled: 1-line block ×9, first 2 shown]
	v_and_b32_e32 v54, 0xffff, v59
	v_lshrrev_b32_e32 v55, 16, v59
	v_and_b32_e32 v57, 0xffff, v60
	v_lshrrev_b32_e32 v59, 16, v60
	v_pk_fma_f16 v84, v56, v86, v84
	v_pk_fma_f16 v60, v56, v88, v85
	v_mul_u32_u24_e32 v85, 0x10001, v54
	v_mul_u32_u24_e32 v86, 0x10001, v55
	;; [unrolled: 1-line block ×4, first 2 shown]
	v_pk_fma_f16 v7, v56, v58, v7
	s_wait_dscnt 0x0
	v_pk_fma_f16 v58, v61, v85, v69
	v_pk_fma_f16 v69, v61, v86, v87
	;; [unrolled: 1-line block ×4, first 2 shown]
	ds_load_2addr_b64 v[53:56], v51 offset0:128 offset1:160
	v_pk_fma_f16 v87, v62, v85, v89
	v_pk_fma_f16 v72, v63, v85, v72
	;; [unrolled: 1-line block ×3, first 2 shown]
	v_and_b32_e32 v85, 0xffff, v65
	v_pk_fma_f16 v71, v62, v86, v71
	v_pk_fma_f16 v50, v62, v57, v50
	;; [unrolled: 1-line block ×4, first 2 shown]
	v_mul_u32_u24_e32 v85, 0x10001, v85
	v_pk_fma_f16 v70, v63, v57, v70
	v_pk_fma_f16 v63, v63, v59, v91
	;; [unrolled: 1-line block ×3, first 2 shown]
	v_lshrrev_b32_e32 v65, 16, v65
	v_and_b32_e32 v86, 0xffff, v66
	v_lshrrev_b32_e32 v66, 16, v66
	v_pk_fma_f16 v88, v64, v57, v60
	v_pk_fma_f16 v7, v64, v59, v7
	v_mul_u32_u24_e32 v65, 0x10001, v65
	v_mul_u32_u24_e32 v86, 0x10001, v86
	s_wait_dscnt 0x0
	v_pk_fma_f16 v89, v53, v85, v58
	ds_load_2addr_b64 v[57:60], v51 offset0:192 offset1:224
	v_mul_u32_u24_e32 v66, 0x10001, v66
	v_pk_fma_f16 v69, v53, v65, v69
	v_pk_fma_f16 v77, v53, v86, v77
	;; [unrolled: 1-line block ×12, first 2 shown]
	v_and_b32_e32 v54, 0xffff, v67
	v_lshrrev_b32_e32 v55, 16, v67
	v_and_b32_e32 v65, 0xffff, v68
	v_lshrrev_b32_e32 v67, 16, v68
	ds_load_b128 v[61:64], v44 offset:384
	v_pk_fma_f16 v84, v56, v85, v84
	v_pk_fma_f16 v85, v56, v86, v88
	v_mul_u32_u24_e32 v68, 0x10001, v54
	v_mul_u32_u24_e32 v86, 0x10001, v55
	v_mul_u32_u24_e32 v88, 0x10001, v65
	v_mul_u32_u24_e32 v91, 0x10001, v67
	v_pk_fma_f16 v7, v56, v66, v7
	s_wait_dscnt 0x1
	v_pk_fma_f16 v89, v57, v68, v89
	v_pk_fma_f16 v69, v57, v86, v69
	;; [unrolled: 1-line block ×4, first 2 shown]
	ds_load_2addr_b64 v[53:56], v52 offset1:32
	v_pk_fma_f16 v87, v58, v68, v87
	v_pk_fma_f16 v71, v58, v86, v71
	;; [unrolled: 1-line block ×9, first 2 shown]
	ds_load_b128 v[65:68], v44 offset:400
	s_wait_dscnt 0x2
	v_and_b32_e32 v58, 0xffff, v61
	v_lshrrev_b32_e32 v59, 16, v61
	v_and_b32_e32 v61, 0xffff, v62
	v_lshrrev_b32_e32 v62, 16, v62
	v_pk_fma_f16 v6, v60, v86, v6
	v_pk_fma_f16 v85, v60, v88, v85
	v_mul_u32_u24_e32 v86, 0x10001, v58
	v_mul_u32_u24_e32 v88, 0x10001, v59
	;; [unrolled: 1-line block ×4, first 2 shown]
	v_pk_fma_f16 v7, v60, v91, v7
	s_wait_dscnt 0x1
	v_pk_fma_f16 v89, v53, v86, v89
	v_pk_fma_f16 v69, v53, v88, v69
	v_pk_fma_f16 v77, v53, v61, v77
	v_pk_fma_f16 v53, v53, v62, v57
	ds_load_2addr_b64 v[57:60], v52 offset0:64 offset1:96
	v_pk_fma_f16 v87, v54, v86, v87
	v_pk_fma_f16 v71, v54, v88, v71
	;; [unrolled: 1-line block ×8, first 2 shown]
	v_and_b32_e32 v54, 0xffff, v63
	v_lshrrev_b32_e32 v55, 16, v63
	v_and_b32_e32 v63, 0xffff, v64
	v_lshrrev_b32_e32 v64, 16, v64
	v_pk_fma_f16 v84, v56, v86, v84
	v_pk_fma_f16 v61, v56, v61, v85
	v_mul_u32_u24_e32 v85, 0x10001, v54
	v_mul_u32_u24_e32 v86, 0x10001, v55
	;; [unrolled: 1-line block ×4, first 2 shown]
	v_pk_fma_f16 v6, v56, v88, v6
	v_pk_fma_f16 v7, v56, v62, v7
	s_wait_dscnt 0x0
	v_pk_fma_f16 v62, v57, v85, v89
	v_pk_fma_f16 v69, v57, v86, v69
	;; [unrolled: 1-line block ×4, first 2 shown]
	ds_load_2addr_b64 v[53:56], v52 offset0:128 offset1:160
	v_pk_fma_f16 v87, v58, v85, v87
	v_pk_fma_f16 v71, v58, v86, v71
	v_pk_fma_f16 v88, v58, v63, v50
	v_pk_fma_f16 v58, v58, v64, v51
	v_and_b32_e32 v50, 0xffff, v65
	v_lshrrev_b32_e32 v51, 16, v65
	v_and_b32_e32 v65, 0xffff, v66
	v_lshrrev_b32_e32 v66, 16, v66
	v_pk_fma_f16 v72, v59, v85, v72
	v_pk_fma_f16 v70, v59, v63, v70
	;; [unrolled: 1-line block ×4, first 2 shown]
	v_mul_u32_u24_e32 v63, 0x10001, v50
	v_mul_u32_u24_e32 v85, 0x10001, v51
	v_mul_u32_u24_e32 v65, 0x10001, v65
	v_mul_u32_u24_e32 v66, 0x10001, v66
	v_pk_fma_f16 v78, v59, v86, v78
	v_pk_fma_f16 v59, v59, v64, v90
	;; [unrolled: 1-line block ×3, first 2 shown]
	s_wait_dscnt 0x0
	v_pk_fma_f16 v62, v53, v63, v62
	v_pk_fma_f16 v64, v53, v85, v69
	;; [unrolled: 1-line block ×4, first 2 shown]
	ds_load_2addr_b64 v[50:53], v52 offset0:192 offset1:224
	v_pk_fma_f16 v6, v60, v86, v6
	v_pk_fma_f16 v86, v54, v63, v87
	;; [unrolled: 1-line block ×5, first 2 shown]
	v_and_b32_e32 v57, 0xffff, v67
	v_lshrrev_b32_e32 v58, 16, v67
	v_pk_fma_f16 v72, v55, v63, v72
	v_pk_fma_f16 v78, v55, v85, v78
	v_pk_fma_f16 v70, v55, v65, v70
	v_pk_fma_f16 v55, v55, v66, v59
	v_pk_fma_f16 v6, v56, v85, v6
	v_pk_fma_f16 v85, v56, v65, v61
	v_mul_u32_u24_e32 v65, 0x10001, v57
	v_mul_u32_u24_e32 v67, 0x10001, v58
	ds_load_b128 v[57:60], v44 offset:416
	v_pk_fma_f16 v84, v56, v63, v84
	v_and_b32_e32 v61, 0xffff, v68
	v_lshrrev_b32_e32 v63, 16, v68
	v_pk_fma_f16 v7, v56, v66, v7
	s_wait_dscnt 0x1
	v_pk_fma_f16 v56, v50, v65, v62
	v_pk_fma_f16 v90, v50, v67, v64
	v_mul_u32_u24_e32 v88, 0x10001, v61
	v_mul_u32_u24_e32 v89, 0x10001, v63
	ds_load_2addr_b64 v[61:64], v49 offset1:32
	v_pk_fma_f16 v71, v51, v67, v71
	v_pk_fma_f16 v72, v52, v65, v72
	;; [unrolled: 1-line block ×12, first 2 shown]
	ds_load_b128 v[65:68], v44 offset:432
	s_wait_dscnt 0x2
	v_and_b32_e32 v51, 0xffff, v57
	v_lshrrev_b32_e32 v52, 16, v57
	v_and_b32_e32 v57, 0xffff, v58
	v_lshrrev_b32_e32 v58, 16, v58
	v_pk_fma_f16 v85, v53, v88, v85
	v_mul_u32_u24_e32 v87, 0x10001, v51
	v_mul_u32_u24_e32 v88, 0x10001, v52
	;; [unrolled: 1-line block ×4, first 2 shown]
	v_pk_fma_f16 v7, v53, v89, v7
	s_wait_dscnt 0x1
	v_pk_fma_f16 v56, v61, v87, v56
	v_pk_fma_f16 v89, v61, v88, v90
	;; [unrolled: 1-line block ×4, first 2 shown]
	ds_load_2addr_b64 v[50:53], v49 offset0:64 offset1:96
	v_pk_fma_f16 v77, v62, v87, v77
	v_pk_fma_f16 v71, v62, v88, v71
	;; [unrolled: 1-line block ×4, first 2 shown]
	v_and_b32_e32 v54, 0xffff, v59
	v_pk_fma_f16 v72, v63, v87, v72
	v_pk_fma_f16 v78, v63, v88, v78
	;; [unrolled: 1-line block ×5, first 2 shown]
	v_lshrrev_b32_e32 v55, 16, v59
	v_mul_u32_u24_e32 v87, 0x10001, v54
	v_pk_fma_f16 v6, v64, v88, v6
	v_and_b32_e32 v59, 0xffff, v60
	v_lshrrev_b32_e32 v60, 16, v60
	v_pk_fma_f16 v85, v64, v57, v85
	v_mul_u32_u24_e32 v88, 0x10001, v55
	v_pk_fma_f16 v7, v64, v58, v7
	v_mul_u32_u24_e32 v59, 0x10001, v59
	s_wait_dscnt 0x0
	v_pk_fma_f16 v58, v50, v87, v56
	ds_load_2addr_b64 v[54:57], v49 offset0:128 offset1:160
	v_mul_u32_u24_e32 v60, 0x10001, v60
	v_pk_fma_f16 v64, v50, v88, v89
	v_pk_fma_f16 v69, v50, v59, v69
	;; [unrolled: 1-line block ×11, first 2 shown]
	v_and_b32_e32 v51, 0xffff, v65
	v_lshrrev_b32_e32 v52, 16, v65
	v_and_b32_e32 v65, 0xffff, v66
	v_lshrrev_b32_e32 v66, 16, v66
	v_pk_fma_f16 v59, v53, v59, v85
	v_mul_u32_u24_e32 v85, 0x10001, v51
	v_mul_u32_u24_e32 v86, 0x10001, v52
	;; [unrolled: 1-line block ×4, first 2 shown]
	v_pk_fma_f16 v7, v53, v60, v7
	v_pk_fma_f16 v84, v53, v87, v84
	s_wait_dscnt 0x0
	v_pk_fma_f16 v60, v54, v86, v64
	v_pk_fma_f16 v64, v54, v65, v69
	;; [unrolled: 1-line block ×3, first 2 shown]
	ds_load_2addr_b64 v[49:52], v49 offset0:192 offset1:224
	v_pk_fma_f16 v6, v53, v88, v6
	v_pk_fma_f16 v58, v54, v85, v58
	v_and_b32_e32 v53, 0xffff, v67
	v_lshrrev_b32_e32 v54, 16, v67
	v_pk_fma_f16 v61, v55, v85, v61
	v_pk_fma_f16 v71, v55, v86, v71
	;; [unrolled: 1-line block ×10, first 2 shown]
	v_and_b32_e32 v59, 0xffff, v68
	v_lshrrev_b32_e32 v67, 16, v68
	v_mul_u32_u24_e32 v68, 0x10001, v53
	v_mul_u32_u24_e32 v85, 0x10001, v54
	ds_load_b128 v[53:56], v44 offset:448
	v_pk_fma_f16 v6, v57, v86, v6
	v_mul_u32_u24_e32 v86, 0x10001, v59
	v_pk_fma_f16 v7, v57, v66, v7
	s_wait_dscnt 0x1
	v_pk_fma_f16 v66, v49, v68, v58
	v_pk_fma_f16 v87, v49, v85, v60
	ds_load_2addr_b64 v[57:60], v5 offset1:32
	v_mul_u32_u24_e32 v67, 0x10001, v67
	v_pk_fma_f16 v88, v49, v86, v64
	v_pk_fma_f16 v71, v50, v85, v71
	;; [unrolled: 1-line block ×10, first 2 shown]
	ds_load_b128 v[61:64], v44 offset:464
	v_pk_fma_f16 v68, v52, v68, v84
	s_wait_dscnt 0x2
	v_and_b32_e32 v50, 0xffff, v53
	v_lshrrev_b32_e32 v51, 16, v53
	v_and_b32_e32 v53, 0xffff, v54
	v_lshrrev_b32_e32 v54, 16, v54
	v_pk_fma_f16 v6, v52, v85, v6
	v_mul_u32_u24_e32 v84, 0x10001, v50
	v_mul_u32_u24_e32 v85, 0x10001, v51
	;; [unrolled: 1-line block ×4, first 2 shown]
	v_pk_fma_f16 v65, v52, v86, v65
	v_pk_fma_f16 v7, v52, v67, v7
	s_wait_dscnt 0x1
	v_pk_fma_f16 v66, v57, v84, v66
	v_pk_fma_f16 v67, v57, v85, v87
	;; [unrolled: 1-line block ×4, first 2 shown]
	ds_load_2addr_b64 v[49:52], v5 offset0:64 offset1:96
	v_pk_fma_f16 v69, v58, v84, v69
	v_pk_fma_f16 v71, v58, v85, v71
	v_pk_fma_f16 v72, v59, v84, v72
	v_pk_fma_f16 v78, v59, v85, v78
	v_pk_fma_f16 v68, v60, v84, v68
	v_pk_fma_f16 v6, v60, v85, v6
	v_and_b32_e32 v84, 0xffff, v55
	v_lshrrev_b32_e32 v55, 16, v55
	v_and_b32_e32 v85, 0xffff, v56
	v_lshrrev_b32_e32 v56, 16, v56
	v_pk_fma_f16 v77, v58, v53, v77
	v_pk_fma_f16 v58, v58, v54, v89
	;; [unrolled: 1-line block ×5, first 2 shown]
	v_mul_u32_u24_e32 v87, 0x10001, v55
	v_mul_u32_u24_e32 v88, 0x10001, v56
	v_pk_fma_f16 v7, v60, v54, v7
	ds_load_2addr_b64 v[53:56], v5 offset0:128 offset1:160
	v_mul_u32_u24_e32 v84, 0x10001, v84
	v_mul_u32_u24_e32 v85, 0x10001, v85
	s_wait_dscnt 0x1
	v_pk_fma_f16 v58, v50, v88, v58
	v_pk_fma_f16 v59, v51, v88, v59
	;; [unrolled: 1-line block ×13, first 2 shown]
	v_and_b32_e32 v50, 0xffff, v61
	v_lshrrev_b32_e32 v51, 16, v61
	v_and_b32_e32 v61, 0xffff, v62
	v_lshrrev_b32_e32 v62, 16, v62
	v_pk_fma_f16 v68, v52, v84, v68
	v_mul_u32_u24_e32 v78, 0x10001, v50
	v_mul_u32_u24_e32 v84, 0x10001, v51
	;; [unrolled: 1-line block ×4, first 2 shown]
	v_pk_fma_f16 v65, v52, v85, v65
	v_pk_fma_f16 v7, v52, v88, v7
	s_wait_dscnt 0x0
	v_pk_fma_f16 v85, v53, v78, v60
	v_pk_fma_f16 v66, v53, v84, v66
	;; [unrolled: 1-line block ×4, first 2 shown]
	ds_load_2addr_b64 v[49:52], v5 offset0:192 offset1:224
	v_pk_fma_f16 v86, v54, v78, v57
	v_pk_fma_f16 v69, v54, v84, v69
	;; [unrolled: 1-line block ×8, first 2 shown]
	v_and_b32_e32 v54, 0xffff, v63
	v_lshrrev_b32_e32 v55, 16, v63
	v_pk_fma_f16 v65, v56, v61, v65
	v_and_b32_e32 v61, 0xffff, v64
	v_lshrrev_b32_e32 v63, 16, v64
	ds_load_b128 v[57:60], v44 offset:480
	v_pk_fma_f16 v68, v56, v78, v68
	v_pk_fma_f16 v6, v56, v84, v6
	v_mul_u32_u24_e32 v64, 0x10001, v54
	v_mul_u32_u24_e32 v78, 0x10001, v55
	;; [unrolled: 1-line block ×4, first 2 shown]
	v_pk_fma_f16 v7, v56, v62, v7
	s_wait_dscnt 0x1
	v_pk_fma_f16 v85, v49, v64, v85
	v_pk_fma_f16 v66, v49, v78, v66
	;; [unrolled: 1-line block ×4, first 2 shown]
	ds_load_2addr_b64 v[53:56], v4 offset1:32
	v_pk_fma_f16 v86, v50, v64, v86
	v_pk_fma_f16 v69, v50, v78, v69
	;; [unrolled: 1-line block ×9, first 2 shown]
	ds_load_b128 v[61:64], v44 offset:496
	s_wait_dscnt 0x2
	v_and_b32_e32 v50, 0xffff, v57
	v_lshrrev_b32_e32 v51, 16, v57
	v_and_b32_e32 v57, 0xffff, v58
	v_lshrrev_b32_e32 v58, 16, v58
	v_pk_fma_f16 v6, v52, v78, v6
	v_pk_fma_f16 v65, v52, v84, v65
	v_mul_u32_u24_e32 v78, 0x10001, v50
	v_mul_u32_u24_e32 v84, 0x10001, v51
	;; [unrolled: 1-line block ×4, first 2 shown]
	v_pk_fma_f16 v7, v52, v88, v7
	s_wait_dscnt 0x1
	v_pk_fma_f16 v85, v53, v78, v85
	v_pk_fma_f16 v66, v53, v84, v66
	;; [unrolled: 1-line block ×4, first 2 shown]
	ds_load_2addr_b64 v[49:52], v4 offset0:64 offset1:96
	v_pk_fma_f16 v86, v54, v78, v86
	v_pk_fma_f16 v69, v54, v84, v69
	;; [unrolled: 1-line block ×8, first 2 shown]
	v_and_b32_e32 v54, 0xffff, v59
	v_lshrrev_b32_e32 v55, 16, v59
	v_and_b32_e32 v59, 0xffff, v60
	v_lshrrev_b32_e32 v60, 16, v60
	v_pk_fma_f16 v68, v56, v78, v68
	v_pk_fma_f16 v57, v56, v57, v65
	v_mul_u32_u24_e32 v65, 0x10001, v54
	v_mul_u32_u24_e32 v78, 0x10001, v55
	;; [unrolled: 1-line block ×4, first 2 shown]
	v_pk_fma_f16 v6, v56, v84, v6
	v_pk_fma_f16 v7, v56, v58, v7
	s_wait_dscnt 0x0
	v_pk_fma_f16 v58, v49, v65, v85
	v_pk_fma_f16 v66, v49, v78, v66
	;; [unrolled: 1-line block ×4, first 2 shown]
	ds_load_2addr_b64 v[53:56], v4 offset0:128 offset1:160
	v_pk_fma_f16 v84, v50, v65, v86
	v_pk_fma_f16 v69, v50, v78, v69
	;; [unrolled: 1-line block ×8, first 2 shown]
	v_and_b32_e32 v6, 0xffff, v61
	v_lshrrev_b32_e32 v61, 16, v61
	v_and_b32_e32 v77, 0xffff, v62
	v_lshrrev_b32_e32 v62, 16, v62
	v_pk_fma_f16 v70, v51, v59, v70
	v_pk_fma_f16 v51, v51, v60, v87
	v_mul_u32_u24_e32 v61, 0x10001, v61
	v_mul_u32_u24_e32 v77, 0x10001, v77
	v_pk_fma_f16 v57, v52, v59, v57
	v_mul_u32_u24_e32 v59, 0x10001, v6
	v_pk_fma_f16 v52, v52, v60, v7
	s_wait_dscnt 0x0
	v_pk_fma_f16 v60, v53, v61, v66
	v_pk_fma_f16 v66, v53, v77, v67
	;; [unrolled: 1-line block ×4, first 2 shown]
	ds_load_2addr_b64 v[4:7], v4 offset0:192 offset1:224
	s_wait_loadcnt_dscnt 0x0
	s_barrier_signal -1
	s_barrier_wait -1
	global_inv scope:SCOPE_SE
	s_load_b32 s11, s[20:21], 0x4
	v_mul_u32_u24_e32 v62, 0x10001, v62
	v_pk_fma_f16 v58, v53, v59, v58
	v_pk_fma_f16 v71, v55, v59, v71
	;; [unrolled: 1-line block ×5, first 2 shown]
	v_and_b32_e32 v50, 0xffff, v63
	v_pk_fma_f16 v49, v53, v62, v49
	v_pk_fma_f16 v53, v54, v59, v84
	;; [unrolled: 1-line block ×3, first 2 shown]
	v_lshrrev_b32_e32 v54, 16, v63
	v_lshrrev_b32_e32 v55, 16, v64
	v_mul_u32_u24_e32 v63, 0x10001, v50
	v_and_b32_e32 v50, 0xffff, v64
	v_pk_fma_f16 v65, v56, v59, v65
	v_pk_fma_f16 v68, v56, v61, v68
	;; [unrolled: 1-line block ×3, first 2 shown]
	v_mul_u32_u24_e32 v84, 0x10001, v54
	v_mul_u32_u24_e32 v85, 0x10001, v50
	;; [unrolled: 1-line block ×3, first 2 shown]
	v_pk_fma_f16 v87, v56, v62, v52
	s_wait_kmcnt 0x0
	s_lshl_b32 s11, s11, 6
	v_pk_fma_f16 v58, v4, v63, v58
	v_pk_fma_f16 v54, v4, v84, v60
	;; [unrolled: 1-line block ×16, first 2 shown]
	s_wait_alu 0xfffe
	s_add_co_i32 s10, s11, s10
	s_wait_alu 0xfffe
	s_cmp_ge_i32 s10, s30
	s_cbranch_scc1 .LBB65_43
; %bb.42:                               ;   in Loop: Header=BB65_9 Depth=1
	v_dual_mov_b32 v70, v0 :: v_dual_mov_b32 v71, v2
	v_dual_mov_b32 v72, v1 :: v_dual_mov_b32 v69, v3
	;; [unrolled: 1-line block ×4, first 2 shown]
	s_branch .LBB65_9
.LBB65_43:
	v_mov_b32_e32 v4, v33
.LBB65_44:
	v_cmp_lt_i32_e32 vcc_lo, v83, v34
	s_cmp_lg_u64 s[12:13], 0
	s_cselect_b32 s3, -1, 0
	s_cmp_eq_u32 s4, 0
	s_wait_alu 0xfffd
	v_cndmask_b32_e32 v5, v4, v83, vcc_lo
	v_cmp_lt_i32_e32 vcc_lo, v82, v34
	s_cselect_b32 s5, -1, 0
	s_wait_alu 0xfffe
	s_and_b32 s3, s5, s3
	v_lshlrev_b32_e32 v5, 2, v5
	s_wait_alu 0xfffd
	v_cndmask_b32_e32 v9, v4, v82, vcc_lo
	v_cmp_lt_i32_e32 vcc_lo, v81, v34
	ds_bpermute_b32 v8, v5, v75
	s_wait_alu 0xfffd
	v_cndmask_b32_e32 v13, v4, v81, vcc_lo
	v_cmp_lt_i32_e32 vcc_lo, v80, v34
	s_wait_dscnt 0x0
	v_add_f32_e32 v8, v75, v8
	ds_bpermute_b32 v6, v5, v73
	ds_bpermute_b32 v7, v5, v74
	;; [unrolled: 1-line block ×3, first 2 shown]
	s_wait_dscnt 0x2
	v_dual_add_f32 v6, v73, v6 :: v_dual_lshlrev_b32 v9, 2, v9
	s_wait_dscnt 0x0
	v_add_f32_e32 v5, v76, v5
	ds_bpermute_b32 v10, v9, v6
	s_wait_dscnt 0x0
	v_add_f32_e32 v6, v6, v10
	ds_bpermute_b32 v12, v9, v8
	s_wait_dscnt 0x0
	v_dual_add_f32 v7, v74, v7 :: v_dual_add_f32 v8, v8, v12
	ds_bpermute_b32 v11, v9, v7
	v_lshlrev_b32_e32 v13, 2, v13
	ds_bpermute_b32 v9, v9, v5
	s_wait_dscnt 0x1
	v_add_f32_e32 v7, v7, v11
	ds_bpermute_b32 v11, v13, v8
	s_wait_dscnt 0x0
	v_dual_add_f32 v5, v5, v9 :: v_dual_add_f32 v8, v8, v11
	ds_bpermute_b32 v9, v13, v6
	ds_bpermute_b32 v12, v13, v5
	s_wait_dscnt 0x1
	v_add_f32_e32 v6, v6, v9
	ds_bpermute_b32 v10, v13, v7
	s_wait_alu 0xfffd
	v_cndmask_b32_e32 v13, v4, v80, vcc_lo
	v_cmp_lt_i32_e32 vcc_lo, v79, v34
	s_wait_alu 0xfffd
	s_delay_alu instid0(VALU_DEP_2)
	v_dual_cndmask_b32 v4, v4, v79 :: v_dual_lshlrev_b32 v13, 2, v13
	s_wait_alu 0xfffe
	s_and_b32 vcc_lo, exec_lo, s3
	ds_bpermute_b32 v11, v13, v8
	v_lshlrev_b32_e32 v4, 2, v4
	s_wait_dscnt 0x0
	v_add_f32_e32 v8, v8, v11
	ds_bpermute_b32 v9, v13, v6
	ds_bpermute_b32 v11, v4, v8
	v_add_f32_e32 v5, v5, v12
	ds_bpermute_b32 v12, v13, v5
	s_wait_dscnt 0x0
	v_dual_add_f32 v6, v6, v9 :: v_dual_add_f32 v9, v5, v12
	ds_bpermute_b32 v5, v4, v6
	v_add_f32_e32 v7, v7, v10
	ds_bpermute_b32 v12, v4, v9
	ds_bpermute_b32 v10, v13, v7
	s_wait_dscnt 0x0
	v_add_f32_e32 v7, v7, v10
	ds_bpermute_b32 v10, v4, v7
	v_add_f32_e32 v4, v6, v5
	s_wait_dscnt 0x0
	v_dual_add_f32 v6, v8, v11 :: v_dual_add_f32 v5, v7, v10
	v_add_f32_e32 v7, v9, v12
	s_wait_alu 0xfffe
	s_cbranch_vccz .LBB65_47
; %bb.45:
	s_ashr_i32 s3, s2, 31
	v_dual_mov_b32 v8, 0 :: v_dual_max_num_f32 v9, v1, v1
	s_wait_alu 0xfffe
	s_lshl_b64 s[6:7], s[2:3], 2
	v_max_num_f32_e32 v15, v3, v3
	s_add_nc_u64 s[6:7], s[12:13], s[6:7]
	global_load_b64 v[12:13], v8, s[6:7]
	s_wait_loadcnt 0x0
	v_dual_max_num_f32 v8, v0, v0 :: v_dual_max_num_f32 v11, v13, v13
	v_max_num_f32_e32 v10, v12, v12
	s_delay_alu instid0(VALU_DEP_2) | instskip(NEXT) | instid1(VALU_DEP_2)
	v_dual_max_num_f32 v14, v2, v2 :: v_dual_max_num_f32 v9, v9, v11
	v_dual_max_num_f32 v8, v8, v10 :: v_dual_max_num_f32 v11, v15, v11
	s_delay_alu instid0(VALU_DEP_2) | instskip(NEXT) | instid1(VALU_DEP_3)
	v_max_num_f32_e32 v10, v14, v10
	v_sub_f32_e32 v16, v1, v9
	s_delay_alu instid0(VALU_DEP_3) | instskip(NEXT) | instid1(VALU_DEP_3)
	v_dual_sub_f32 v14, v0, v8 :: v_dual_sub_f32 v17, v13, v9
	v_dual_sub_f32 v15, v12, v8 :: v_dual_sub_f32 v18, v2, v10
	;; [unrolled: 1-line block ×3, first 2 shown]
	v_dual_sub_f32 v19, v3, v11 :: v_dual_mov_b32 v0, v8
	v_mov_b32_e32 v3, v11
	v_dual_mov_b32 v1, v9 :: v_dual_mov_b32 v2, v10
	v_dual_mul_f32 v9, 0x3fb8aa3b, v15 :: v_dual_mul_f32 v8, 0x3fb8aa3b, v14
	v_dual_mul_f32 v11, 0x3fb8aa3b, v17 :: v_dual_mul_f32 v10, 0x3fb8aa3b, v16
	;; [unrolled: 1-line block ×3, first 2 shown]
	v_mul_f32_e32 v21, 0x3fb8aa3b, v12
	s_delay_alu instid0(VALU_DEP_4)
	v_fma_f32 v32, 0x3fb8aa3b, v14, -v8
	v_rndne_f32_e32 v33, v8
	v_fma_f32 v36, 0x3fb8aa3b, v16, -v10
	v_fma_f32 v34, 0x3fb8aa3b, v15, -v9
	;; [unrolled: 1-line block ×3, first 2 shown]
	v_rndne_f32_e32 v43, v21
	v_rndne_f32_e32 v35, v9
	v_fma_f32 v38, 0x3fb8aa3b, v17, -v11
	v_rndne_f32_e32 v39, v11
	v_fmac_f32_e32 v32, 0x32a5705f, v14
	v_sub_f32_e32 v8, v8, v33
	v_dual_fmac_f32 v36, 0x32a5705f, v16 :: v_dual_sub_f32 v21, v21, v43
	v_dual_fmac_f32 v42, 0x32a5705f, v12 :: v_dual_sub_f32 v9, v9, v35
	;; [unrolled: 1-line block ×3, first 2 shown]
	s_delay_alu instid0(VALU_DEP_2) | instskip(SKIP_2) | instid1(VALU_DEP_4)
	v_dual_add_f32 v8, v8, v32 :: v_dual_add_f32 v21, v21, v42
	v_fmac_f32_e32 v34, 0x32a5705f, v15
	v_rndne_f32_e32 v37, v10
	v_dual_add_f32 v11, v11, v38 :: v_dual_mul_f32 v22, 0x3fb8aa3b, v19
	s_delay_alu instid0(VALU_DEP_4) | instskip(NEXT) | instid1(VALU_DEP_3)
	v_exp_f32_e32 v8, v8
	v_add_f32_e32 v9, v9, v34
	v_rndne_f32_e32 v47, v23
	v_cvt_i32_f32_e32 v33, v33
	v_sub_f32_e32 v10, v10, v37
	v_fma_f32 v40, 0x3fb8aa3b, v18, -v20
	v_exp_f32_e32 v9, v9
	v_rndne_f32_e32 v41, v20
	v_fma_f32 v46, 0x3fb8aa3b, v13, -v23
	v_cvt_i32_f32_e32 v35, v35
	v_dual_sub_f32 v23, v23, v47 :: v_dual_add_f32 v10, v10, v36
	v_ldexp_f32 v8, v8, v33
	v_cmp_ngt_f32_e32 vcc_lo, 0xc2ce8ed0, v14
	v_fmac_f32_e32 v46, 0x32a5705f, v13
	v_sub_f32_e32 v20, v20, v41
	v_exp_f32_e32 v10, v10
	v_ldexp_f32 v9, v9, v35
	s_wait_alu 0xfffd
	v_cndmask_b32_e32 v8, 0, v8, vcc_lo
	v_cmp_ngt_f32_e32 vcc_lo, 0xc2ce8ed0, v15
	v_fmac_f32_e32 v40, 0x32a5705f, v18
	v_cvt_i32_f32_e32 v37, v37
	v_add_f32_e32 v23, v23, v46
	v_exp_f32_e32 v11, v11
	s_wait_alu 0xfffd
	v_dual_cndmask_b32 v9, 0, v9 :: v_dual_add_f32 v20, v20, v40
	v_cvt_i32_f32_e32 v39, v39
	v_ldexp_f32 v10, v10, v37
	v_cmp_ngt_f32_e32 vcc_lo, 0xc2ce8ed0, v16
	v_cvt_i32_f32_e32 v41, v41
	v_exp_f32_e32 v20, v20
	v_exp_f32_e32 v21, v21
	;; [unrolled: 1-line block ×3, first 2 shown]
	v_ldexp_f32 v11, v11, v39
	s_wait_alu 0xfffd
	v_cndmask_b32_e32 v10, 0, v10, vcc_lo
	v_cmp_ngt_f32_e32 vcc_lo, 0xc2ce8ed0, v17
	v_fma_f32 v44, 0x3fb8aa3b, v19, -v22
	v_rndne_f32_e32 v45, v22
	v_cvt_i32_f32_e32 v43, v43
	v_cvt_i32_f32_e32 v34, v47
	v_ldexp_f32 v20, v20, v41
	s_wait_alu 0xfffd
	v_cndmask_b32_e32 v11, 0, v11, vcc_lo
	v_cmp_ngt_f32_e32 vcc_lo, 0xc2ce8ed0, v18
	v_ldexp_f32 v21, v21, v43
	v_ldexp_f32 v23, v23, v34
	v_sub_f32_e32 v22, v22, v45
	v_cvt_i32_f32_e32 v32, v45
	s_wait_alu 0xfffd
	v_cndmask_b32_e32 v20, 0, v20, vcc_lo
	v_cmp_ngt_f32_e32 vcc_lo, 0xc2ce8ed0, v12
	s_wait_alu 0xfffd
	v_dual_fmac_f32 v44, 0x32a5705f, v19 :: v_dual_cndmask_b32 v21, 0, v21
	s_delay_alu instid0(VALU_DEP_1) | instskip(SKIP_1) | instid1(VALU_DEP_2)
	v_add_f32_e32 v22, v22, v44
	v_cmp_ngt_f32_e32 vcc_lo, 0xc2ce8ed0, v19
	v_exp_f32_e32 v22, v22
	s_delay_alu instid0(TRANS32_DEP_1) | instskip(SKIP_1) | instid1(VALU_DEP_1)
	v_ldexp_f32 v22, v22, v32
	s_wait_alu 0xfffd
	v_cndmask_b32_e32 v22, 0, v22, vcc_lo
	v_cmp_ngt_f32_e32 vcc_lo, 0xc2ce8ed0, v13
	s_wait_alu 0xfffd
	v_cndmask_b32_e32 v23, 0, v23, vcc_lo
	v_cmp_nlt_f32_e32 vcc_lo, 0x42b17218, v14
	s_wait_alu 0xfffd
	v_cndmask_b32_e32 v14, 0x7f800000, v8, vcc_lo
	v_cmp_nlt_f32_e32 vcc_lo, 0x42b17218, v15
	;; [unrolled: 3-line block ×3, first 2 shown]
	s_delay_alu instid0(VALU_DEP_2)
	v_fmac_f32_e32 v8, v4, v14
	s_wait_alu 0xfffd
	v_cndmask_b32_e32 v15, 0x7f800000, v10, vcc_lo
	v_cmp_nlt_f32_e32 vcc_lo, 0x42b17218, v17
	v_cvt_f16_f32_e32 v4, v14
	s_wait_alu 0xfffd
	v_cndmask_b32_e32 v9, 0x7f800000, v11, vcc_lo
	v_cmp_nlt_f32_e32 vcc_lo, 0x42b17218, v18
	s_wait_alu 0xfffd
	s_delay_alu instid0(VALU_DEP_2)
	v_dual_fmac_f32 v9, v5, v15 :: v_dual_cndmask_b32 v16, 0x7f800000, v20
	v_cmp_nlt_f32_e32 vcc_lo, 0x42b17218, v12
	v_cvt_f16_f32_e32 v5, v15
	s_wait_alu 0xfffd
	v_cndmask_b32_e32 v10, 0x7f800000, v21, vcc_lo
	v_cmp_nlt_f32_e32 vcc_lo, 0x42b17218, v19
	s_delay_alu instid0(VALU_DEP_2) | instskip(SKIP_4) | instid1(VALU_DEP_3)
	v_fmac_f32_e32 v10, v6, v16
	s_wait_alu 0xfffd
	v_cndmask_b32_e32 v12, 0x7f800000, v22, vcc_lo
	v_cmp_nlt_f32_e32 vcc_lo, 0x42b17218, v13
	v_cvt_f16_f32_e32 v6, v16
	v_cvt_f16_f32_e32 v13, v12
	s_wait_alu 0xfffd
	v_cndmask_b32_e32 v11, 0x7f800000, v23, vcc_lo
	s_delay_alu instid0(VALU_DEP_3) | instskip(NEXT) | instid1(VALU_DEP_3)
	v_and_b32_e32 v14, 0xffff, v6
	v_dual_mov_b32 v6, v10 :: v_dual_and_b32 v13, 0xffff, v13
	s_delay_alu instid0(VALU_DEP_3)
	v_fmac_f32_e32 v11, v7, v12
	v_and_b32_e32 v7, 0xffff, v4
	v_and_b32_e32 v12, 0xffff, v5
	v_mul_u32_u24_e32 v14, 0x10001, v14
	v_mul_u32_u24_e32 v13, 0x10001, v13
	v_mov_b32_e32 v4, v8
	v_mul_u32_u24_e32 v7, 0x10001, v7
	v_mul_u32_u24_e32 v12, 0x10001, v12
	v_mov_b32_e32 v5, v9
	v_pk_mul_f16 v50, v50, v14
	v_pk_mul_f16 v57, v57, v14
	;; [unrolled: 1-line block ×16, first 2 shown]
	v_mov_b32_e32 v7, v11
	s_mov_b32 s3, exec_lo
	v_cmpx_gt_i32_e64 s22, v30
	s_cbranch_execnz .LBB65_48
.LBB65_46:
	s_nop 0
	s_sendmsg sendmsg(MSG_DEALLOC_VGPRS)
	s_endpgm
.LBB65_47:
	s_delay_alu instid0(VALU_DEP_1)
	v_dual_mov_b32 v11, v7 :: v_dual_mov_b32 v10, v6
	v_dual_mov_b32 v9, v5 :: v_dual_mov_b32 v8, v4
	s_mov_b32 s3, exec_lo
	v_cmpx_gt_i32_e64 s22, v30
	s_cbranch_execz .LBB65_46
.LBB65_48:
	s_load_b32 s1, s[0:1], 0xd4
	v_mov_b32_e32 v14, 1.0
	s_wait_kmcnt 0x0
	s_cmp_lg_u32 s1, 1
	s_cselect_b32 s5, -1, 0
	s_cmp_eq_u32 s1, 1
	s_cselect_b32 s6, -1, 0
	s_wait_alu 0xfffe
	s_and_b32 vcc_lo, exec_lo, s5
	s_wait_alu 0xfffe
	s_cbranch_vccnz .LBB65_50
; %bb.49:
	v_div_scale_f32 v12, null, v4, v4, 1.0
	s_delay_alu instid0(VALU_DEP_1) | instskip(NEXT) | instid1(TRANS32_DEP_1)
	v_rcp_f32_e32 v13, v12
	v_fma_f32 v14, -v12, v13, 1.0
	s_delay_alu instid0(VALU_DEP_1) | instskip(SKIP_1) | instid1(VALU_DEP_1)
	v_fmac_f32_e32 v13, v14, v13
	v_div_scale_f32 v14, vcc_lo, 1.0, v4, 1.0
	v_mul_f32_e32 v15, v14, v13
	s_delay_alu instid0(VALU_DEP_1) | instskip(NEXT) | instid1(VALU_DEP_1)
	v_fma_f32 v16, -v12, v15, v14
	v_fmac_f32_e32 v15, v16, v13
	s_delay_alu instid0(VALU_DEP_1) | instskip(SKIP_1) | instid1(VALU_DEP_1)
	v_fma_f32 v12, -v12, v15, v14
	s_wait_alu 0xfffd
	v_div_fmas_f32 v12, v12, v13, v15
	s_delay_alu instid0(VALU_DEP_1)
	v_div_fixup_f32 v14, v12, v4, 1.0
.LBB65_50:
	s_mul_i32 s3, s28, s22
	v_cvt_f32_f16_e32 v16, v64
	s_wait_alu 0xfffe
	s_add_co_i32 s3, s3, s31
	v_lshrrev_b32_e32 v15, 16, v64
	s_wait_alu 0xfffe
	v_add_nc_u32_e32 v4, s3, v29
	v_cvt_f32_f16_e32 v19, v58
	v_mul_f32_e32 v17, v14, v16
	v_lshrrev_b32_e32 v18, 16, v58
	v_cvt_f32_f16_e32 v33, v15
	v_mul_lo_u32 v4, v4, s23
	v_lshrrev_b32_e32 v20, 16, v63
	v_lshrrev_b32_e32 v22, 16, v62
	v_cmp_eq_u32_e32 vcc_lo, 0, v31
	v_cvt_f32_f16_e32 v23, v62
	v_cvt_f32_f16_e32 v16, v18
	;; [unrolled: 1-line block ×3, first 2 shown]
	v_mul_f32_e32 v18, v14, v33
	v_dual_mul_f32 v15, v14, v19 :: v_dual_add_nc_u32 v12, s2, v4
	v_mul_f32_e32 v19, v14, v23
	v_mul_f32_e32 v16, v14, v16
	s_delay_alu instid0(VALU_DEP_3) | instskip(SKIP_3) | instid1(VALU_DEP_2)
	v_mad_co_u64_u32 v[12:13], null, s1, v12, s[4:5]
	v_cvt_f32_f16_e32 v13, v63
	v_mov_b32_e32 v30, 0
	s_and_b32 s5, vcc_lo, s5
	v_mul_f32_e32 v21, v14, v13
	s_delay_alu instid0(VALU_DEP_4) | instskip(SKIP_2) | instid1(VALU_DEP_3)
	v_lshl_add_u32 v29, v12, 8, v28
	v_cvt_f32_f16_e32 v13, v22
	v_mul_f32_e32 v22, v14, v20
	v_lshlrev_b64_e32 v[31:32], 2, v[29:30]
	v_add_nc_u32_e32 v29, 0x80, v29
	s_delay_alu instid0(VALU_DEP_4) | instskip(NEXT) | instid1(VALU_DEP_2)
	v_mul_f32_e32 v20, v14, v13
	v_lshlrev_b64_e32 v[13:14], 2, v[29:30]
	s_delay_alu instid0(VALU_DEP_4) | instskip(SKIP_2) | instid1(VALU_DEP_3)
	v_add_co_u32 v29, s0, s16, v31
	s_wait_alu 0xf1ff
	v_add_co_ci_u32_e64 v30, null, s17, v32, s0
	v_add_co_u32 v13, s0, s16, v13
	s_wait_alu 0xf1ff
	v_add_co_ci_u32_e64 v14, null, s17, v14, s0
	s_clause 0x1
	global_store_b128 v[29:30], v[15:18], off
	global_store_b128 v[13:14], v[19:22], off
	s_wait_alu 0xfffe
	s_and_saveexec_b32 s0, s5
	s_cbranch_execz .LBB65_52
; %bb.51:
	v_ashrrev_i32_e32 v13, 31, v12
	v_dual_mov_b32 v14, v0 :: v_dual_mov_b32 v15, v8
	s_delay_alu instid0(VALU_DEP_2) | instskip(NEXT) | instid1(VALU_DEP_1)
	v_lshlrev_b64_e32 v[12:13], 3, v[12:13]
	v_add_co_u32 v12, vcc_lo, s18, v12
	s_wait_alu 0xfffd
	s_delay_alu instid0(VALU_DEP_2)
	v_add_co_ci_u32_e64 v13, null, s19, v13, vcc_lo
	global_store_b64 v[12:13], v[14:15], off
.LBB65_52:
	s_wait_alu 0xfffe
	s_or_b32 exec_lo, exec_lo, s0
	v_cndmask_b32_e64 v12, 0, 1, s6
	v_mov_b32_e32 v0, 1.0
	s_and_not1_b32 vcc_lo, exec_lo, s6
	s_wait_alu 0xfffe
	s_cbranch_vccnz .LBB65_54
; %bb.53:
	v_div_scale_f32 v0, null, v5, v5, 1.0
	s_delay_alu instid0(VALU_DEP_1) | instskip(NEXT) | instid1(TRANS32_DEP_1)
	v_rcp_f32_e32 v8, v0
	v_fma_f32 v13, -v0, v8, 1.0
	s_delay_alu instid0(VALU_DEP_1) | instskip(SKIP_1) | instid1(VALU_DEP_1)
	v_fmac_f32_e32 v8, v13, v8
	v_div_scale_f32 v13, vcc_lo, 1.0, v5, 1.0
	v_mul_f32_e32 v14, v13, v8
	s_delay_alu instid0(VALU_DEP_1) | instskip(NEXT) | instid1(VALU_DEP_1)
	v_fma_f32 v15, -v0, v14, v13
	v_fmac_f32_e32 v14, v15, v8
	s_delay_alu instid0(VALU_DEP_1) | instskip(SKIP_1) | instid1(VALU_DEP_1)
	v_fma_f32 v0, -v0, v14, v13
	s_wait_alu 0xfffd
	v_div_fmas_f32 v0, v0, v8, v14
	s_delay_alu instid0(VALU_DEP_1)
	v_div_fixup_f32 v0, v0, v5, 1.0
.LBB65_54:
	s_add_co_i32 s0, s2, 1
	v_cvt_f32_f16_e32 v13, v61
	s_wait_alu 0xfffe
	v_add_nc_u32_e32 v4, s0, v4
	v_lshrrev_b32_e32 v8, 16, v61
	v_cvt_f32_f16_e32 v14, v54
	v_dual_mov_b32 v18, 0 :: v_dual_mul_f32 v15, v0, v13
	s_delay_alu instid0(VALU_DEP_4)
	v_mad_co_u64_u32 v[4:5], null, s1, v4, s[4:5]
	v_lshrrev_b32_e32 v16, 16, v60
	v_cvt_f32_f16_e32 v8, v8
	v_lshrrev_b32_e32 v5, 16, v54
	v_mul_f32_e32 v13, v0, v14
	v_lshrrev_b32_e32 v21, 16, v59
	v_cvt_f32_f16_e32 v31, v16
	v_lshl_add_u32 v17, v4, 8, v28
	v_mul_f32_e32 v16, v0, v8
	v_cvt_f32_f16_e32 v5, v5
	v_cvt_f32_f16_e32 v23, v60
	;; [unrolled: 1-line block ×3, first 2 shown]
	v_lshlrev_b64_e32 v[19:20], 2, v[17:18]
	v_add_nc_u32_e32 v17, 0x80, v17
	v_mul_f32_e32 v14, v0, v5
	v_cvt_f32_f16_e32 v5, v59
	s_delay_alu instid0(VALU_DEP_3) | instskip(SKIP_4) | instid1(VALU_DEP_4)
	v_lshlrev_b64_e32 v[29:30], 2, v[17:18]
	v_add_co_u32 v21, vcc_lo, s16, v19
	s_wait_alu 0xfffd
	v_add_co_ci_u32_e64 v22, null, s17, v20, vcc_lo
	v_mul_f32_e32 v20, v0, v31
	v_add_co_u32 v29, vcc_lo, s16, v29
	v_mul_f32_e32 v19, v0, v23
	v_mul_f32_e32 v18, v0, v32
	;; [unrolled: 1-line block ×3, first 2 shown]
	s_wait_alu 0xfffd
	v_add_co_ci_u32_e64 v30, null, s17, v30, vcc_lo
	s_clause 0x1
	global_store_b128 v[21:22], v[13:16], off
	global_store_b128 v[29:30], v[17:20], off
	s_and_saveexec_b32 s6, s5
	s_cbranch_execz .LBB65_56
; %bb.55:
	v_ashrrev_i32_e32 v5, 31, v4
	v_mov_b32_e32 v8, v1
	s_delay_alu instid0(VALU_DEP_2) | instskip(NEXT) | instid1(VALU_DEP_1)
	v_lshlrev_b64_e32 v[4:5], 3, v[4:5]
	v_add_co_u32 v4, vcc_lo, s18, v4
	s_wait_alu 0xfffd
	s_delay_alu instid0(VALU_DEP_2)
	v_add_co_ci_u32_e64 v5, null, s19, v5, vcc_lo
	global_store_b64 v[4:5], v[8:9], off
.LBB65_56:
	s_wait_alu 0xfffe
	s_or_b32 exec_lo, exec_lo, s6
	v_cmp_gt_i32_e32 vcc_lo, s22, v27
	s_and_b32 exec_lo, exec_lo, vcc_lo
	s_cbranch_execz .LBB65_46
; %bb.57:
	v_cmp_ne_u32_e32 vcc_lo, 1, v12
	v_mov_b32_e32 v4, 1.0
	s_cbranch_vccnz .LBB65_59
; %bb.58:
	v_div_scale_f32 v0, null, v6, v6, 1.0
	s_delay_alu instid0(VALU_DEP_1) | instskip(NEXT) | instid1(TRANS32_DEP_1)
	v_rcp_f32_e32 v1, v0
	v_fma_f32 v4, -v0, v1, 1.0
	s_delay_alu instid0(VALU_DEP_1) | instskip(SKIP_1) | instid1(VALU_DEP_1)
	v_fmac_f32_e32 v1, v4, v1
	v_div_scale_f32 v4, vcc_lo, 1.0, v6, 1.0
	v_mul_f32_e32 v5, v4, v1
	s_delay_alu instid0(VALU_DEP_1) | instskip(NEXT) | instid1(VALU_DEP_1)
	v_fma_f32 v8, -v0, v5, v4
	v_fmac_f32_e32 v5, v8, v1
	s_delay_alu instid0(VALU_DEP_1) | instskip(SKIP_1) | instid1(VALU_DEP_1)
	v_fma_f32 v0, -v0, v5, v4
	s_wait_alu 0xfffd
	v_div_fmas_f32 v0, v0, v1, v5
	s_delay_alu instid0(VALU_DEP_1)
	v_div_fixup_f32 v4, v0, v6, 1.0
.LBB65_59:
	v_cvt_f32_f16_e32 v8, v57
	v_add_nc_u32_e32 v0, s3, v26
	v_lshrrev_b32_e32 v5, 16, v57
	v_lshrrev_b32_e32 v9, 16, v50
	v_cvt_f32_f16_e32 v13, v50
	v_mul_f32_e32 v15, v4, v8
	v_mad_co_u64_u32 v[0:1], null, v0, s23, s[2:3]
	s_delay_alu instid0(VALU_DEP_3)
	v_dual_mov_b32 v6, 0 :: v_dual_mul_f32 v13, v4, v13
	v_lshrrev_b32_e32 v14, 16, v56
	v_lshrrev_b32_e32 v16, 16, v55
	v_cvt_f32_f16_e32 v18, v5
	v_cvt_f32_f16_e32 v17, v55
	v_mad_co_u64_u32 v[0:1], null, s1, v0, s[4:5]
	v_cvt_f32_f16_e32 v1, v56
	v_cvt_f32_f16_e32 v20, v9
	;; [unrolled: 1-line block ×3, first 2 shown]
	v_mul_f32_e32 v17, v4, v17
	s_delay_alu instid0(VALU_DEP_4)
	v_mul_f32_e32 v19, v4, v1
	v_lshl_add_u32 v5, v0, 8, v28
	v_cvt_f32_f16_e32 v1, v16
	v_mul_f32_e32 v14, v4, v20
	v_mul_f32_e32 v20, v4, v21
	;; [unrolled: 1-line block ×3, first 2 shown]
	v_lshlrev_b64_e32 v[8:9], 2, v[5:6]
	v_add_nc_u32_e32 v5, 0x80, v5
	v_mul_f32_e32 v18, v4, v1
	s_delay_alu instid0(VALU_DEP_2) | instskip(NEXT) | instid1(VALU_DEP_4)
	v_lshlrev_b64_e32 v[4:5], 2, v[5:6]
	v_add_co_u32 v8, vcc_lo, s16, v8
	s_wait_alu 0xfffd
	v_add_co_ci_u32_e64 v9, null, s17, v9, vcc_lo
	s_delay_alu instid0(VALU_DEP_3)
	v_add_co_u32 v4, vcc_lo, s16, v4
	s_wait_alu 0xfffd
	v_add_co_ci_u32_e64 v5, null, s17, v5, vcc_lo
	s_clause 0x1
	global_store_b128 v[8:9], v[13:16], off
	global_store_b128 v[4:5], v[17:20], off
	s_and_saveexec_b32 s2, s5
	s_cbranch_execz .LBB65_61
; %bb.60:
	v_ashrrev_i32_e32 v1, 31, v0
	v_mov_b32_e32 v9, v2
	s_delay_alu instid0(VALU_DEP_2) | instskip(NEXT) | instid1(VALU_DEP_1)
	v_lshlrev_b64_e32 v[0:1], 3, v[0:1]
	v_add_co_u32 v0, vcc_lo, s18, v0
	s_wait_alu 0xfffd
	s_delay_alu instid0(VALU_DEP_2)
	v_add_co_ci_u32_e64 v1, null, s19, v1, vcc_lo
	global_store_b64 v[0:1], v[9:10], off
.LBB65_61:
	s_wait_alu 0xfffe
	s_or_b32 exec_lo, exec_lo, s2
	v_cmp_gt_i32_e32 vcc_lo, s22, v25
	s_and_b32 exec_lo, exec_lo, vcc_lo
	s_cbranch_execz .LBB65_46
; %bb.62:
	v_cmp_ne_u32_e32 vcc_lo, 1, v12
	v_mov_b32_e32 v2, 1.0
	s_cbranch_vccnz .LBB65_64
; %bb.63:
	v_div_scale_f32 v0, null, v7, v7, 1.0
	s_delay_alu instid0(VALU_DEP_1) | instskip(NEXT) | instid1(TRANS32_DEP_1)
	v_rcp_f32_e32 v1, v0
	v_fma_f32 v2, -v0, v1, 1.0
	s_delay_alu instid0(VALU_DEP_1) | instskip(SKIP_1) | instid1(VALU_DEP_1)
	v_fmac_f32_e32 v1, v2, v1
	v_div_scale_f32 v2, vcc_lo, 1.0, v7, 1.0
	v_mul_f32_e32 v4, v2, v1
	s_delay_alu instid0(VALU_DEP_1) | instskip(NEXT) | instid1(VALU_DEP_1)
	v_fma_f32 v5, -v0, v4, v2
	v_fmac_f32_e32 v4, v5, v1
	s_delay_alu instid0(VALU_DEP_1) | instskip(SKIP_1) | instid1(VALU_DEP_1)
	v_fma_f32 v0, -v0, v4, v2
	s_wait_alu 0xfffd
	v_div_fmas_f32 v0, v0, v1, v4
	s_delay_alu instid0(VALU_DEP_1)
	v_div_fixup_f32 v2, v0, v7, 1.0
.LBB65_64:
	v_dual_mov_b32 v9, 0 :: v_dual_add_nc_u32 v0, s3, v24
	v_lshrrev_b32_e32 v4, 16, v53
	v_cvt_f32_f16_e32 v8, v52
	v_cvt_f32_f16_e32 v5, v53
	s_delay_alu instid0(VALU_DEP_4)
	v_mad_co_u64_u32 v[0:1], null, v0, s23, s[0:1]
	v_lshrrev_b32_e32 v7, 16, v52
	v_lshrrev_b32_e32 v10, 16, v49
	;; [unrolled: 1-line block ×3, first 2 shown]
	v_cvt_f32_f16_e32 v15, v4
	v_mul_f32_e32 v4, v2, v8
	v_cvt_f32_f16_e32 v13, v51
	v_mad_co_u64_u32 v[0:1], null, s1, v0, s[4:5]
	v_cvt_f32_f16_e32 v1, v49
	v_mul_f32_e32 v6, v2, v5
	v_cvt_f32_f16_e32 v5, v7
	v_cvt_f32_f16_e32 v10, v10
	v_mul_f32_e32 v7, v2, v15
	v_mul_f32_e32 v14, v2, v1
	v_lshl_add_u32 v8, v0, 8, v28
	v_cvt_f32_f16_e32 v1, v12
	v_mul_f32_e32 v12, v2, v13
	v_mul_f32_e32 v5, v2, v5
	;; [unrolled: 1-line block ×3, first 2 shown]
	v_lshlrev_b64_e32 v[16:17], 2, v[8:9]
	v_dual_mul_f32 v13, v2, v1 :: v_dual_add_nc_u32 v8, 0x80, v8
	s_delay_alu instid0(VALU_DEP_1) | instskip(NEXT) | instid1(VALU_DEP_3)
	v_lshlrev_b64_e32 v[1:2], 2, v[8:9]
	v_add_co_u32 v8, vcc_lo, s16, v16
	s_wait_alu 0xfffd
	s_delay_alu instid0(VALU_DEP_4) | instskip(NEXT) | instid1(VALU_DEP_3)
	v_add_co_ci_u32_e64 v9, null, s17, v17, vcc_lo
	v_add_co_u32 v1, vcc_lo, s16, v1
	s_wait_alu 0xfffd
	v_add_co_ci_u32_e64 v2, null, s17, v2, vcc_lo
	s_clause 0x1
	global_store_b128 v[8:9], v[4:7], off
	global_store_b128 v[1:2], v[12:15], off
	s_and_b32 exec_lo, exec_lo, s5
	s_cbranch_execz .LBB65_46
; %bb.65:
	v_ashrrev_i32_e32 v1, 31, v0
	v_mov_b32_e32 v10, v3
	s_delay_alu instid0(VALU_DEP_2) | instskip(NEXT) | instid1(VALU_DEP_1)
	v_lshlrev_b64_e32 v[0:1], 3, v[0:1]
	v_add_co_u32 v0, vcc_lo, s18, v0
	s_wait_alu 0xfffd
	s_delay_alu instid0(VALU_DEP_2)
	v_add_co_ci_u32_e64 v1, null, s19, v1, vcc_lo
	global_store_b64 v[0:1], v[10:11], off
	s_nop 0
	s_sendmsg sendmsg(MSG_DEALLOC_VGPRS)
	s_endpgm
	.section	.rodata,"a",@progbits
	.p2align	6, 0x0
	.amdhsa_kernel _ZL15flash_attn_tileILi256ELi256ELi16ELi2ELb1EEvPKcS1_S1_S1_S1_PKiPfP15HIP_vector_typeIfLj2EEffffjfiS5_IjLj3EEiiiiiiiiiiiliiliiiiil
		.amdhsa_group_segment_fixed_size 37888
		.amdhsa_private_segment_fixed_size 0
		.amdhsa_kernarg_size 464
		.amdhsa_user_sgpr_count 2
		.amdhsa_user_sgpr_dispatch_ptr 0
		.amdhsa_user_sgpr_queue_ptr 0
		.amdhsa_user_sgpr_kernarg_segment_ptr 1
		.amdhsa_user_sgpr_dispatch_id 0
		.amdhsa_user_sgpr_private_segment_size 0
		.amdhsa_wavefront_size32 1
		.amdhsa_uses_dynamic_stack 0
		.amdhsa_enable_private_segment 0
		.amdhsa_system_sgpr_workgroup_id_x 1
		.amdhsa_system_sgpr_workgroup_id_y 1
		.amdhsa_system_sgpr_workgroup_id_z 1
		.amdhsa_system_sgpr_workgroup_info 0
		.amdhsa_system_vgpr_workitem_id 1
		.amdhsa_next_free_vgpr 217
		.amdhsa_next_free_sgpr 44
		.amdhsa_reserve_vcc 1
		.amdhsa_float_round_mode_32 0
		.amdhsa_float_round_mode_16_64 0
		.amdhsa_float_denorm_mode_32 3
		.amdhsa_float_denorm_mode_16_64 3
		.amdhsa_fp16_overflow 0
		.amdhsa_workgroup_processor_mode 1
		.amdhsa_memory_ordered 1
		.amdhsa_forward_progress 1
		.amdhsa_inst_pref_size 211
		.amdhsa_round_robin_scheduling 0
		.amdhsa_exception_fp_ieee_invalid_op 0
		.amdhsa_exception_fp_denorm_src 0
		.amdhsa_exception_fp_ieee_div_zero 0
		.amdhsa_exception_fp_ieee_overflow 0
		.amdhsa_exception_fp_ieee_underflow 0
		.amdhsa_exception_fp_ieee_inexact 0
		.amdhsa_exception_int_div_zero 0
	.end_amdhsa_kernel
	.section	.text._ZL15flash_attn_tileILi256ELi256ELi16ELi2ELb1EEvPKcS1_S1_S1_S1_PKiPfP15HIP_vector_typeIfLj2EEffffjfiS5_IjLj3EEiiiiiiiiiiiliiliiiiil,"axG",@progbits,_ZL15flash_attn_tileILi256ELi256ELi16ELi2ELb1EEvPKcS1_S1_S1_S1_PKiPfP15HIP_vector_typeIfLj2EEffffjfiS5_IjLj3EEiiiiiiiiiiiliiliiiiil,comdat
.Lfunc_end65:
	.size	_ZL15flash_attn_tileILi256ELi256ELi16ELi2ELb1EEvPKcS1_S1_S1_S1_PKiPfP15HIP_vector_typeIfLj2EEffffjfiS5_IjLj3EEiiiiiiiiiiiliiliiiiil, .Lfunc_end65-_ZL15flash_attn_tileILi256ELi256ELi16ELi2ELb1EEvPKcS1_S1_S1_S1_PKiPfP15HIP_vector_typeIfLj2EEffffjfiS5_IjLj3EEiiiiiiiiiiiliiliiiiil
                                        ; -- End function
	.set _ZL15flash_attn_tileILi256ELi256ELi16ELi2ELb1EEvPKcS1_S1_S1_S1_PKiPfP15HIP_vector_typeIfLj2EEffffjfiS5_IjLj3EEiiiiiiiiiiiliiliiiiil.num_vgpr, 188
	.set _ZL15flash_attn_tileILi256ELi256ELi16ELi2ELb1EEvPKcS1_S1_S1_S1_PKiPfP15HIP_vector_typeIfLj2EEffffjfiS5_IjLj3EEiiiiiiiiiiiliiliiiiil.num_agpr, 0
	.set _ZL15flash_attn_tileILi256ELi256ELi16ELi2ELb1EEvPKcS1_S1_S1_S1_PKiPfP15HIP_vector_typeIfLj2EEffffjfiS5_IjLj3EEiiiiiiiiiiiliiliiiiil.numbered_sgpr, 44
	.set _ZL15flash_attn_tileILi256ELi256ELi16ELi2ELb1EEvPKcS1_S1_S1_S1_PKiPfP15HIP_vector_typeIfLj2EEffffjfiS5_IjLj3EEiiiiiiiiiiiliiliiiiil.num_named_barrier, 0
	.set _ZL15flash_attn_tileILi256ELi256ELi16ELi2ELb1EEvPKcS1_S1_S1_S1_PKiPfP15HIP_vector_typeIfLj2EEffffjfiS5_IjLj3EEiiiiiiiiiiiliiliiiiil.private_seg_size, 0
	.set _ZL15flash_attn_tileILi256ELi256ELi16ELi2ELb1EEvPKcS1_S1_S1_S1_PKiPfP15HIP_vector_typeIfLj2EEffffjfiS5_IjLj3EEiiiiiiiiiiiliiliiiiil.uses_vcc, 1
	.set _ZL15flash_attn_tileILi256ELi256ELi16ELi2ELb1EEvPKcS1_S1_S1_S1_PKiPfP15HIP_vector_typeIfLj2EEffffjfiS5_IjLj3EEiiiiiiiiiiiliiliiiiil.uses_flat_scratch, 0
	.set _ZL15flash_attn_tileILi256ELi256ELi16ELi2ELb1EEvPKcS1_S1_S1_S1_PKiPfP15HIP_vector_typeIfLj2EEffffjfiS5_IjLj3EEiiiiiiiiiiiliiliiiiil.has_dyn_sized_stack, 0
	.set _ZL15flash_attn_tileILi256ELi256ELi16ELi2ELb1EEvPKcS1_S1_S1_S1_PKiPfP15HIP_vector_typeIfLj2EEffffjfiS5_IjLj3EEiiiiiiiiiiiliiliiiiil.has_recursion, 0
	.set _ZL15flash_attn_tileILi256ELi256ELi16ELi2ELb1EEvPKcS1_S1_S1_S1_PKiPfP15HIP_vector_typeIfLj2EEffffjfiS5_IjLj3EEiiiiiiiiiiiliiliiiiil.has_indirect_call, 0
	.section	.AMDGPU.csdata,"",@progbits
; Kernel info:
; codeLenInByte = 26928
; TotalNumSgprs: 46
; NumVgprs: 188
; ScratchSize: 0
; MemoryBound: 0
; FloatMode: 240
; IeeeMode: 1
; LDSByteSize: 37888 bytes/workgroup (compile time only)
; SGPRBlocks: 0
; VGPRBlocks: 27
; NumSGPRsForWavesPerEU: 46
; NumVGPRsForWavesPerEU: 217
; Occupancy: 6
; WaveLimiterHint : 1
; COMPUTE_PGM_RSRC2:SCRATCH_EN: 0
; COMPUTE_PGM_RSRC2:USER_SGPR: 2
; COMPUTE_PGM_RSRC2:TRAP_HANDLER: 0
; COMPUTE_PGM_RSRC2:TGID_X_EN: 1
; COMPUTE_PGM_RSRC2:TGID_Y_EN: 1
; COMPUTE_PGM_RSRC2:TGID_Z_EN: 1
; COMPUTE_PGM_RSRC2:TIDIG_COMP_CNT: 1
	.section	.text._ZL15flash_attn_tileILi256ELi256ELi8ELi2ELb1EEvPKcS1_S1_S1_S1_PKiPfP15HIP_vector_typeIfLj2EEffffjfiS5_IjLj3EEiiiiiiiiiiiliiliiiiil,"axG",@progbits,_ZL15flash_attn_tileILi256ELi256ELi8ELi2ELb1EEvPKcS1_S1_S1_S1_PKiPfP15HIP_vector_typeIfLj2EEffffjfiS5_IjLj3EEiiiiiiiiiiiliiliiiiil,comdat
	.globl	_ZL15flash_attn_tileILi256ELi256ELi8ELi2ELb1EEvPKcS1_S1_S1_S1_PKiPfP15HIP_vector_typeIfLj2EEffffjfiS5_IjLj3EEiiiiiiiiiiiliiliiiiil ; -- Begin function _ZL15flash_attn_tileILi256ELi256ELi8ELi2ELb1EEvPKcS1_S1_S1_S1_PKiPfP15HIP_vector_typeIfLj2EEffffjfiS5_IjLj3EEiiiiiiiiiiiliiliiiiil
	.p2align	8
	.type	_ZL15flash_attn_tileILi256ELi256ELi8ELi2ELb1EEvPKcS1_S1_S1_S1_PKiPfP15HIP_vector_typeIfLj2EEffffjfiS5_IjLj3EEiiiiiiiiiiiliiliiiiil,@function
_ZL15flash_attn_tileILi256ELi256ELi8ELi2ELb1EEvPKcS1_S1_S1_S1_PKiPfP15HIP_vector_typeIfLj2EEffffjfiS5_IjLj3EEiiiiiiiiiiiliiliiiiil: ; @_ZL15flash_attn_tileILi256ELi256ELi8ELi2ELb1EEvPKcS1_S1_S1_S1_PKiPfP15HIP_vector_typeIfLj2EEffffjfiS5_IjLj3EEiiiiiiiiiiiliiliiiiil
; %bb.0:
	s_clause 0x1
	s_load_b128 s[20:23], s[0:1], 0x5c
	s_load_b64 s[30:31], s[0:1], 0x80
	s_lshr_b32 s5, ttmp7, 16
	s_load_b64 s[38:39], s[0:1], 0xb8
	s_mov_b32 s37, 0
	s_mov_b64 s[34:35], 0
	s_wait_kmcnt 0x0
	s_lshr_b32 s2, s23, 31
	s_delay_alu instid0(SALU_CYCLE_1) | instskip(NEXT) | instid1(SALU_CYCLE_1)
	s_add_co_i32 s2, s23, s2
	s_ashr_i32 s2, s2, 1
	s_delay_alu instid0(SALU_CYCLE_1) | instskip(SKIP_1) | instid1(SALU_CYCLE_2)
	s_cvt_f32_u32 s3, s2
	s_sub_co_i32 s4, 0, s2
	v_rcp_iflag_f32_e32 v1, s3
	s_delay_alu instid0(TRANS32_DEP_1) | instskip(SKIP_2) | instid1(SALU_CYCLE_2)
	v_readfirstlane_b32 s3, v1
	s_mul_f32 s3, s3, 0x4f7ffffe
	s_wait_alu 0xfffe
	s_cvt_u32_f32 s3, s3
	s_wait_alu 0xfffe
	s_delay_alu instid0(SALU_CYCLE_2) | instskip(NEXT) | instid1(SALU_CYCLE_1)
	s_mul_i32 s4, s4, s3
	s_mul_hi_u32 s4, s3, s4
	s_delay_alu instid0(SALU_CYCLE_1)
	s_add_co_i32 s3, s3, s4
	s_wait_alu 0xfffe
	s_mul_hi_u32 s3, s5, s3
	s_wait_alu 0xfffe
	s_mul_i32 s4, s3, s2
	s_add_co_i32 s6, s3, 1
	s_sub_co_i32 s4, s5, s4
	s_delay_alu instid0(SALU_CYCLE_1)
	s_sub_co_i32 s7, s4, s2
	s_cmp_ge_u32 s4, s2
	s_cselect_b32 s3, s6, s3
	s_cselect_b32 s4, s7, s4
	s_wait_alu 0xfffe
	s_add_co_i32 s6, s3, 1
	s_cmp_ge_u32 s4, s2
	s_cselect_b32 s2, s6, s3
	s_abs_i32 s3, s31
	s_abs_i32 s8, s23
	s_wait_alu 0xfffe
	s_cvt_f32_u32 s4, s3
	s_sub_co_i32 s6, 0, s3
	s_lshl_b32 s5, s5, 1
	s_mul_i32 s7, s2, s23
	v_rcp_iflag_f32_e32 v1, s4
	s_sub_co_i32 s28, s5, s7
	s_xor_b32 s5, s23, s31
	s_wait_alu 0xfffe
	s_ashr_i32 s24, s5, 31
	s_delay_alu instid0(TRANS32_DEP_1) | instskip(SKIP_2) | instid1(SALU_CYCLE_2)
	v_readfirstlane_b32 s4, v1
	s_mul_f32 s4, s4, 0x4f7ffffe
	s_wait_alu 0xfffe
	s_cvt_u32_f32 s4, s4
	s_wait_alu 0xfffe
	s_delay_alu instid0(SALU_CYCLE_2) | instskip(NEXT) | instid1(SALU_CYCLE_1)
	s_mul_i32 s6, s6, s4
	s_mul_hi_u32 s6, s4, s6
	s_delay_alu instid0(SALU_CYCLE_1) | instskip(SKIP_4) | instid1(SALU_CYCLE_1)
	s_add_co_i32 s4, s4, s6
	s_wait_alu 0xfffe
	s_mul_hi_u32 s4, s8, s4
	s_wait_alu 0xfffe
	s_mul_i32 s6, s4, s3
	s_sub_co_i32 s5, s8, s6
	s_add_co_i32 s6, s4, 1
	s_wait_alu 0xfffe
	s_sub_co_i32 s7, s5, s3
	s_cmp_ge_u32 s5, s3
	s_cselect_b32 s4, s6, s4
	s_cselect_b32 s5, s7, s5
	s_wait_alu 0xfffe
	s_add_co_i32 s6, s4, 1
	s_cmp_ge_u32 s5, s3
	s_cselect_b32 s3, s6, s4
	s_load_b512 s[4:19], s[0:1], 0x0
	s_xor_b32 s3, s3, s24
	s_wait_alu 0xfffe
	s_sub_co_i32 s31, s3, s24
	s_delay_alu instid0(SALU_CYCLE_1) | instskip(NEXT) | instid1(SALU_CYCLE_1)
	s_abs_i32 s29, s31
	s_cvt_f32_u32 s3, s29
	s_wait_alu 0xfffe
	s_delay_alu instid0(SALU_CYCLE_2) | instskip(SKIP_2) | instid1(TRANS32_DEP_1)
	v_rcp_iflag_f32_e32 v1, s3
	s_wait_kmcnt 0x0
	s_cmp_eq_u64 s[10:11], 0
	v_readfirstlane_b32 s27, v1
	s_cbranch_scc1 .LBB66_2
; %bb.1:
	s_abs_i32 s3, s38
	s_wait_alu 0xfffe
	s_cvt_f32_u32 s24, s3
	s_delay_alu instid0(SALU_CYCLE_3) | instskip(NEXT) | instid1(TRANS32_DEP_1)
	v_rcp_iflag_f32_e32 v1, s24
	v_readfirstlane_b32 s24, v1
	s_mul_f32 s24, s24, 0x4f7ffffe
	s_wait_alu 0xfffe
	s_delay_alu instid0(SALU_CYCLE_2) | instskip(SKIP_2) | instid1(SALU_CYCLE_1)
	s_cvt_u32_f32 s26, s24
	s_sub_co_i32 s24, 0, s3
	s_wait_alu 0xfffe
	s_mul_i32 s24, s24, s26
	s_wait_alu 0xfffe
	s_mul_hi_u32 s33, s26, s24
	s_load_b64 s[24:25], s[0:1], 0xc8
	s_add_co_i32 s26, s26, s33
	s_delay_alu instid0(SALU_CYCLE_1) | instskip(NEXT) | instid1(SALU_CYCLE_1)
	s_mul_hi_u32 s26, s2, s26
	s_mul_i32 s26, s26, s3
	s_delay_alu instid0(SALU_CYCLE_1) | instskip(NEXT) | instid1(SALU_CYCLE_1)
	s_sub_co_i32 s26, s2, s26
	s_sub_co_i32 s33, s26, s3
	s_cmp_ge_u32 s26, s3
	s_cselect_b32 s26, s33, s26
	s_delay_alu instid0(SALU_CYCLE_1) | instskip(SKIP_2) | instid1(SALU_CYCLE_1)
	s_sub_co_i32 s33, s26, s3
	s_cmp_ge_u32 s26, s3
	s_cselect_b32 s34, s33, s26
	s_ashr_i32 s35, s34, 31
	s_wait_kmcnt 0x0
	s_mul_u64 s[24:25], s[24:25], s[34:35]
	s_wait_alu 0xfffe
	s_add_nc_u64 s[34:35], s[10:11], s[24:25]
.LBB66_2:
	v_bfe_u32 v1, v0, 10, 10
	s_load_b96 s[24:26], s[0:1], 0x70
	v_and_b32_e32 v77, 0x3ff, v0
	s_delay_alu instid0(VALU_DEP_2) | instskip(SKIP_1) | instid1(VALU_DEP_3)
	v_lshl_add_u32 v76, ttmp9, 3, v1
	v_lshl_add_u32 v98, v1, 10, 0x4200
	v_lshlrev_b32_e32 v0, 4, v77
	v_lshlrev_b32_e32 v99, 3, v77
	s_delay_alu instid0(VALU_DEP_4) | instskip(NEXT) | instid1(VALU_DEP_1)
	v_mul_hi_u32 v2, s20, v76
	v_add_nc_u32_e32 v2, v76, v2
	s_wait_kmcnt 0x0
	s_ashr_i32 s11, s24, 31
	s_mov_b32 s10, s24
	s_delay_alu instid0(VALU_DEP_1) | instskip(SKIP_3) | instid1(SALU_CYCLE_1)
	v_lshrrev_b32_e32 v2, s21, v2
	s_lshr_b64 s[20:21], s[10:11], 2
	s_lshr_b32 s3, s11, 2
	s_mul_i32 s10, s2, s26
	s_ashr_i32 s11, s10, 31
	v_mul_lo_u32 v2, v2, s22
	s_add_nc_u64 s[4:5], s[4:5], s[10:11]
	s_delay_alu instid0(VALU_DEP_1) | instskip(SKIP_1) | instid1(VALU_DEP_1)
	v_sub_nc_u32_e32 v2, v76, v2
	s_wait_alu 0xfffe
	v_mad_co_u64_u32 v[3:4], null, s20, v2, 0
	s_mul_i32 s20, s28, s25
	s_wait_alu 0xfffe
	s_ashr_i32 s21, s20, 31
	s_wait_alu 0xfffe
	s_add_nc_u64 s[4:5], s[4:5], s[20:21]
	v_mad_co_u64_u32 v[4:5], null, s3, v2, v[4:5]
	s_ashr_i32 s3, s25, 31
	v_lshlrev_b64_e32 v[3:4], 2, v[3:4]
	s_wait_alu 0xfffe
	s_delay_alu instid0(VALU_DEP_1) | instskip(NEXT) | instid1(VALU_DEP_1)
	v_add_co_u32 v3, vcc_lo, s4, v3
	v_add_co_ci_u32_e64 v4, null, s5, v4, vcc_lo
	s_and_b32 s4, s25, -4
	v_add_co_u32 v11, vcc_lo, v3, v0
	s_wait_alu 0xfffd
	v_add_co_ci_u32_e64 v12, null, 0, v4, vcc_lo
	v_add_nc_u32_e32 v0, v98, v99
	s_wait_alu 0xfffe
	v_add_co_u32 v15, vcc_lo, v11, s4
	s_clause 0x1
	global_load_b128 v[3:6], v[11:12], off
	global_load_b128 v[7:10], v[11:12], off offset:512
	s_wait_alu 0xfffd
	v_add_co_ci_u32_e64 v16, null, s3, v12, vcc_lo
	s_load_b32 s3, s[0:1], 0x40
	s_clause 0x1
	global_load_b128 v[11:14], v[15:16], off
	global_load_b128 v[15:18], v[15:16], off offset:512
	s_cmp_eq_u64 s[14:15], 0
	s_wait_loadcnt 0x3
	s_wait_kmcnt 0x0
	v_fma_mixlo_f16 v3, s3, v3, 0
	v_fma_mixlo_f16 v4, s3, v4, 0
	;; [unrolled: 1-line block ×4, first 2 shown]
	s_wait_loadcnt 0x2
	v_fma_mixlo_f16 v7, s3, v7, 0
	v_fma_mixlo_f16 v8, s3, v8, 0
	;; [unrolled: 1-line block ×4, first 2 shown]
	v_lshlrev_b32_e32 v4, 16, v4
	v_and_b32_e32 v3, 0xffff, v3
	v_lshlrev_b32_e32 v6, 16, v6
	v_and_b32_e32 v5, 0xffff, v5
	v_lshlrev_b32_e32 v8, 16, v8
	v_and_b32_e32 v7, 0xffff, v7
	s_wait_loadcnt 0x1
	v_fma_mixlo_f16 v11, s3, v11, 0
	v_fma_mixlo_f16 v12, s3, v12, 0
	s_wait_loadcnt 0x0
	v_fma_mixlo_f16 v15, s3, v15, 0
	v_fma_mixlo_f16 v16, s3, v16, 0
	v_lshlrev_b32_e32 v10, 16, v10
	v_and_b32_e32 v9, 0xffff, v9
	v_fma_mixlo_f16 v13, s3, v13, 0
	v_fma_mixlo_f16 v14, s3, v14, 0
	;; [unrolled: 1-line block ×4, first 2 shown]
	v_or_b32_e32 v3, v4, v3
	v_or3_b32 v4, v6, v5, 0
	v_or_b32_e32 v5, v8, v7
	v_lshlrev_b32_e32 v7, 16, v12
	v_and_b32_e32 v8, 0xffff, v11
	v_lshlrev_b32_e32 v11, 16, v16
	v_and_b32_e32 v12, 0xffff, v15
	v_or3_b32 v6, v10, v9, 0
	v_lshlrev_b32_e32 v9, 16, v14
	v_and_b32_e32 v10, 0xffff, v13
	v_lshlrev_b32_e32 v13, 16, v18
	v_and_b32_e32 v14, 0xffff, v17
	v_or_b32_e32 v7, v7, v8
	v_or_b32_e32 v11, v11, v12
	v_or3_b32 v3, 0, 0, v3
	v_or3_b32 v5, 0, 0, v5
	;; [unrolled: 1-line block ×6, first 2 shown]
	ds_store_2addr_b64 v0, v[3:4], v[5:6] offset1:32
	ds_store_2addr_b64 v0, v[7:8], v[9:10] offset0:64 offset1:96
	s_wait_dscnt 0x0
	s_barrier_signal -1
	s_barrier_wait -1
	global_inv scope:SCOPE_SE
	s_cbranch_scc1 .LBB66_4
; %bb.3:
	s_load_b32 s3, s[0:1], 0xd0
	s_mov_b32 s5, 0
	s_wait_kmcnt 0x0
	s_mul_i32 s3, s3, s2
	s_wait_alu 0xfffe
	s_add_co_i32 s4, s3, ttmp9
	s_wait_alu 0xfffe
	s_lshl_b64 s[4:5], s[4:5], 2
	s_wait_alu 0xfffe
	s_add_nc_u64 s[4:5], s[14:15], s[4:5]
	s_load_b32 s30, s[4:5], 0x0
.LBB66_4:
	s_and_b32 s4, ttmp7, 0xffff
	v_lshlrev_b32_e32 v97, 2, v77
	v_mbcnt_lo_u32_b32 v100, -1, 0
	s_wait_alu 0xfffe
	s_lshl_b32 s10, s4, 5
	s_wait_kmcnt 0x0
	s_cmp_lt_i32 s10, s30
	s_cbranch_scc1 .LBB66_7
; %bb.5:
	v_mbcnt_lo_u32_b32 v0, -1, 0
	v_mov_b32_e32 v101, 32
	s_delay_alu instid0(VALU_DEP_2)
	v_xor_b32_e32 v117, 16, v0
	v_xor_b32_e32 v113, 8, v0
	;; [unrolled: 1-line block ×5, first 2 shown]
	s_mov_b32 s3, 0
	s_cbranch_execz .LBB66_8
; %bb.6:
	v_dual_mov_b32 v69, 0 :: v_dual_mov_b32 v118, 0
	v_dual_mov_b32 v96, 0xfeffffff :: v_dual_mov_b32 v95, 0xfeffffff
	;; [unrolled: 1-line block ×6, first 2 shown]
	s_branch .LBB66_20
.LBB66_7:
                                        ; implicit-def: $vgpr0
                                        ; implicit-def: $vgpr101
                                        ; implicit-def: $vgpr117
                                        ; implicit-def: $vgpr113
                                        ; implicit-def: $vgpr114
                                        ; implicit-def: $vgpr115
                                        ; implicit-def: $vgpr116
	s_mov_b32 s3, 0
.LBB66_8:
	s_mul_f32 s5, s27, 0x4f7ffffe
	s_clause 0x1
	s_load_b128 s[24:27], s[0:1], 0x98
	s_load_b64 s[20:21], s[0:1], 0x8c
	s_sub_co_i32 s14, 0, s29
	s_abs_i32 s36, s28
	s_cvt_u32_f32 s11, s5
	s_clause 0x1
	s_load_b32 s5, s[0:1], 0x54
	s_load_b64 s[40:41], s[0:1], 0xa8
	s_mov_b32 s15, s37
	s_mul_i32 s14, s14, s11
	v_dual_mov_b32 v25, 0xfeffffff :: v_dual_lshlrev_b32 v102, 2, v97
	s_mul_hi_u32 s14, s11, s14
	v_lshl_add_u32 v109, v1, 7, 0x6200
	s_add_co_i32 s14, s11, s14
	s_ashr_i32 s11, s28, 31
	s_mul_u64 s[14:15], s[36:37], s[14:15]
	s_ashr_i32 s14, s31, 31
	s_mul_i32 s33, s15, s29
	s_xor_b32 s11, s11, s14
	s_ashr_i32 s31, s39, 1
	s_wait_kmcnt 0x0
	s_ashr_i32 s14, s26, 2
	s_sub_co_i32 s26, s36, s33
	s_add_co_i32 s37, s15, 1
	s_ashr_i32 s20, s20, 2
	s_sub_co_i32 s33, s26, s29
	s_cmp_ge_u32 s26, s29
	s_mul_u64 s[24:25], s[24:25], s[2:3]
	s_cselect_b32 s15, s37, s15
	s_cselect_b32 s26, s33, s26
	s_add_co_i32 s33, s15, 1
	s_cmp_ge_u32 s26, s29
	s_mul_u64 s[36:37], s[40:41], s[2:3]
	s_cselect_b32 s3, s33, s15
	s_wait_alu 0xfffe
	v_mul_lo_u32 v3, s20, v1
	s_xor_b32 s3, s3, s11
	s_add_nc_u64 s[6:7], s[6:7], s[24:25]
	s_wait_alu 0xfffe
	s_sub_co_i32 s3, s3, s11
	v_mul_lo_u32 v0, s14, v1
	s_wait_alu 0xfffe
	s_mul_i32 s24, s3, s21
	s_mul_i32 s26, s3, s27
	s_lshl_b32 s3, s20, 3
	s_wait_alu 0xfffe
	v_dual_mov_b32 v22, 0 :: v_dual_add_nc_u32 v5, s3, v3
	v_mov_b32_e32 v16, 0
	v_mad_u32_u24 v103, 0x210, v1, v102
	v_ashrrev_i32_e32 v4, 31, v3
	v_lshl_add_u32 v108, v1, 9, v102
	v_add_nc_u32_e32 v7, s3, v5
	v_ashrrev_i32_e32 v6, 31, v5
	v_mov_b32_e32 v20, 0
	v_ashrrev_i32_e32 v1, 31, v0
	s_delay_alu instid0(VALU_DEP_4)
	v_dual_mov_b32 v68, 0 :: v_dual_add_nc_u32 v9, s3, v7
	s_lshl_b32 s3, s14, 3
	s_wait_alu 0xfffe
	v_dual_mov_b32 v24, 0xfeffffff :: v_dual_add_nc_u32 v11, s3, v0
	v_ashrrev_i32_e32 v8, 31, v7
	v_ashrrev_i32_e32 v10, 31, v9
	v_mad_co_u64_u32 v[78:79], null, v2, s31, v[77:78]
	s_delay_alu instid0(VALU_DEP_4)
	v_add_nc_u32_e32 v13, s3, v11
	v_ashrrev_i32_e32 v12, 31, v11
	v_lshlrev_b64_e32 v[79:80], 2, v[3:4]
	v_lshlrev_b64_e32 v[81:82], 2, v[5:6]
	;; [unrolled: 1-line block ×3, first 2 shown]
	v_add_nc_u32_e32 v17, s3, v13
	v_ashrrev_i32_e32 v14, 31, v13
	v_lshlrev_b64_e32 v[85:86], 2, v[9:10]
	v_lshlrev_b64_e32 v[87:88], 2, v[0:1]
	;; [unrolled: 1-line block ×3, first 2 shown]
	v_ashrrev_i32_e32 v18, 31, v17
	v_lshlrev_b64_e32 v[91:92], 2, v[13:14]
	v_dual_mov_b32 v101, 32 :: v_dual_add_nc_u32 v104, 0x1080, v103
	v_add_nc_u32_e32 v105, 0x2100, v103
	s_delay_alu instid0(VALU_DEP_4)
	v_lshlrev_b64_e32 v[93:94], 2, v[17:18]
	v_dual_mov_b32 v17, 0 :: v_dual_add_nc_u32 v106, 0x3180, v103
	v_mul_u32_u24_e32 v107, 0x210, v77
	v_dual_mov_b32 v19, 0 :: v_dual_add_nc_u32 v110, 0x1000, v108
	v_add_nc_u32_e32 v111, 0x2000, v108
	v_dual_mov_b32 v21, 0 :: v_dual_add_nc_u32 v112, 0x3000, v108
	v_dual_mov_b32 v18, 0 :: v_dual_mov_b32 v69, 0
	v_mov_b32_e32 v23, 0
	s_add_nc_u64 s[8:9], s[8:9], s[36:37]
	s_ashr_i32 s25, s24, 31
	s_ashr_i32 s27, s26, 31
	s_wait_alu 0xfffe
	s_add_nc_u64 s[6:7], s[6:7], s[24:25]
	s_add_nc_u64 s[8:9], s[8:9], s[26:27]
	s_ashr_i32 s21, s20, 31
	s_ashr_i32 s15, s14, 31
	s_add_nc_u64 s[24:25], s[0:1], 0xd0
	s_mov_b32 s3, 0xbbbac73d
.LBB66_9:                               ; =>This Inner Loop Header: Depth=1
	s_ashr_i32 s11, s10, 31
	v_mov_b32_e32 v26, 0
	s_wait_alu 0xfffe
	s_mul_u64 s[26:27], s[10:11], s[20:21]
	s_wait_alu 0xfffe
	s_lshl_b64 s[26:27], s[26:27], 2
	s_wait_alu 0xfffe
	s_add_nc_u64 s[26:27], s[6:7], s[26:27]
	s_wait_alu 0xfffe
	v_add_co_u32 v0, vcc_lo, s26, v79
	s_wait_alu 0xfffd
	v_add_co_ci_u32_e64 v1, null, s27, v80, vcc_lo
	v_add_co_u32 v2, vcc_lo, s26, v81
	s_wait_alu 0xfffd
	v_add_co_ci_u32_e64 v3, null, s27, v82, vcc_lo
	;; [unrolled: 3-line block ×8, first 2 shown]
	s_clause 0x3
	global_load_b128 v[0:3], v[0:1], off
	global_load_b128 v[4:7], v[4:5], off
	;; [unrolled: 1-line block ×4, first 2 shown]
	s_wait_loadcnt 0x3
	ds_store_b128 v103, v[0:3]
	s_wait_loadcnt 0x2
	ds_store_b128 v104, v[4:7]
	;; [unrolled: 2-line block ×4, first 2 shown]
	s_wait_dscnt 0x0
	s_barrier_signal -1
	s_barrier_wait -1
	global_inv scope:SCOPE_SE
	ds_load_b128 v[1:4], v107
	ds_load_b128 v[5:8], v98
	ds_load_b128 v[9:12], v98 offset:512
	v_dual_mov_b32 v0, 0 :: v_dual_add_nc_u32 v13, s10, v78
	s_wait_dscnt 0x1
	;;#ASMSTART
	v_dot2_f32_f16 v0, v1, v5, v0
	;;#ASMEND
	;;#ASMSTART
	v_dot2_f32_f16 v0, v2, v6, v0
	;;#ASMEND
	;;#ASMSTART
	v_dot2_f32_f16 v0, v3, v7, v0
	;;#ASMEND
	;;#ASMSTART
	v_dot2_f32_f16 v0, v4, v8, v0
	;;#ASMEND
	s_wait_dscnt 0x0
	;;#ASMSTART
	v_dot2_f32_f16 v26, v1, v9, v26
	;;#ASMEND
	;;#ASMSTART
	v_dot2_f32_f16 v26, v2, v10, v26
	;;#ASMEND
	;;#ASMSTART
	v_dot2_f32_f16 v26, v3, v11, v26
	;;#ASMEND
	;;#ASMSTART
	v_dot2_f32_f16 v26, v4, v12, v26
	;;#ASMEND
	ds_load_b128 v[1:4], v107 offset:16
	ds_load_b128 v[5:8], v98 offset:16
	ds_load_b128 v[9:12], v98 offset:528
	s_wait_dscnt 0x1
	;;#ASMSTART
	v_dot2_f32_f16 v0, v1, v5, v0
	;;#ASMEND
	;;#ASMSTART
	v_dot2_f32_f16 v0, v2, v6, v0
	;;#ASMEND
	;;#ASMSTART
	v_dot2_f32_f16 v0, v3, v7, v0
	;;#ASMEND
	;;#ASMSTART
	v_dot2_f32_f16 v0, v4, v8, v0
	;;#ASMEND
	s_wait_dscnt 0x0
	;;#ASMSTART
	v_dot2_f32_f16 v26, v1, v9, v26
	;;#ASMEND
	;;#ASMSTART
	v_dot2_f32_f16 v26, v2, v10, v26
	;;#ASMEND
	;;#ASMSTART
	v_dot2_f32_f16 v26, v3, v11, v26
	;;#ASMEND
	;;#ASMSTART
	v_dot2_f32_f16 v26, v4, v12, v26
	;;#ASMEND
	ds_load_b128 v[1:4], v107 offset:32
	ds_load_b128 v[5:8], v98 offset:32
	ds_load_b128 v[9:12], v98 offset:544
	;; [unrolled: 29-line block ×30, first 2 shown]
	s_wait_dscnt 0x1
	;;#ASMSTART
	v_dot2_f32_f16 v0, v1, v5, v0
	;;#ASMEND
	;;#ASMSTART
	v_dot2_f32_f16 v0, v2, v6, v0
	;;#ASMEND
	;; [unrolled: 3-line block ×4, first 2 shown]
	s_wait_dscnt 0x0
	;;#ASMSTART
	v_dot2_f32_f16 v26, v1, v9, v26
	;;#ASMEND
	;;#ASMSTART
	v_dot2_f32_f16 v26, v2, v10, v26
	;;#ASMEND
	;; [unrolled: 3-line block ×4, first 2 shown]
	ds_load_b128 v[1:4], v107 offset:496
	ds_load_b128 v[5:8], v98 offset:496
	v_ashrrev_i32_e32 v14, 31, v13
	ds_load_b128 v[9:12], v98 offset:1008
	s_wait_dscnt 0x1
	;;#ASMSTART
	v_dot2_f32_f16 v0, v1, v5, v0
	;;#ASMEND
	v_lshlrev_b64_e32 v[13:14], 1, v[13:14]
	;;#ASMSTART
	v_dot2_f32_f16 v0, v2, v6, v0
	;;#ASMEND
	;;#ASMSTART
	v_dot2_f32_f16 v0, v3, v7, v0
	;;#ASMEND
	;; [unrolled: 3-line block ×3, first 2 shown]
	s_wait_dscnt 0x0
	;;#ASMSTART
	v_dot2_f32_f16 v26, v1, v9, v26
	;;#ASMEND
	;;#ASMSTART
	v_dot2_f32_f16 v26, v2, v10, v26
	;;#ASMEND
	v_add_co_u32 v13, vcc_lo, s34, v13
	s_wait_alu 0xfffd
	v_add_co_ci_u32_e64 v14, null, s35, v14, vcc_lo
	;;#ASMSTART
	v_dot2_f32_f16 v26, v3, v11, v26
	;;#ASMEND
	;;#ASMSTART
	v_dot2_f32_f16 v26, v4, v12, v26
	;;#ASMEND
	v_cmp_ngt_f32_e64 s26, 0x3f200000, |v0|
	global_load_u16 v28, v[13:14], off
                                        ; implicit-def: $vgpr1
	s_and_saveexec_b32 s27, s26
	s_wait_alu 0xfffe
	s_xor_b32 s26, exec_lo, s27
	s_cbranch_execz .LBB66_11
; %bb.10:                               ;   in Loop: Header=BB66_9 Depth=1
	v_add_f32_e64 v1, |v0|, |v0|
	s_delay_alu instid0(VALU_DEP_1) | instskip(SKIP_1) | instid1(VALU_DEP_2)
	v_mul_f32_e32 v2, 0x3fb8aa3b, v1
	v_cmp_ngt_f32_e32 vcc_lo, 0xc2ce8ed0, v1
	v_rndne_f32_e32 v3, v2
	v_fma_f32 v4, 0x3fb8aa3b, v1, -v2
	s_delay_alu instid0(VALU_DEP_2) | instskip(NEXT) | instid1(VALU_DEP_2)
	v_sub_f32_e32 v2, v2, v3
	v_fmac_f32_e32 v4, 0x32a5705f, v1
	v_cvt_i32_f32_e32 v3, v3
	s_delay_alu instid0(VALU_DEP_2) | instskip(NEXT) | instid1(VALU_DEP_1)
	v_add_f32_e32 v2, v2, v4
	v_exp_f32_e32 v2, v2
	s_delay_alu instid0(TRANS32_DEP_1) | instskip(SKIP_1) | instid1(VALU_DEP_1)
	v_ldexp_f32 v2, v2, v3
	s_wait_alu 0xfffd
	v_cndmask_b32_e32 v2, 0, v2, vcc_lo
	v_cmp_nlt_f32_e32 vcc_lo, 0x42b17218, v1
	s_wait_alu 0xfffd
	s_delay_alu instid0(VALU_DEP_2) | instskip(NEXT) | instid1(VALU_DEP_1)
	v_cndmask_b32_e32 v1, 0x7f800000, v2, vcc_lo
	v_add_f32_e32 v1, 1.0, v1
	s_delay_alu instid0(VALU_DEP_1) | instskip(NEXT) | instid1(TRANS32_DEP_1)
	v_rcp_f32_e32 v1, v1
	v_fma_f32 v1, v1, -2.0, 1.0
.LBB66_11:                              ;   in Loop: Header=BB66_9 Depth=1
	s_wait_alu 0xfffe
	s_and_not1_saveexec_b32 s26, s26
	s_cbranch_execz .LBB66_13
; %bb.12:                               ;   in Loop: Header=BB66_9 Depth=1
	v_mul_f32_e32 v1, v0, v0
	s_delay_alu instid0(VALU_DEP_1) | instskip(NEXT) | instid1(VALU_DEP_1)
	v_fmaak_f32 v2, s3, v1, 0x3ca908c9
	v_fmaak_f32 v2, v1, v2, 0xbd5c1c4e
	s_delay_alu instid0(VALU_DEP_1) | instskip(NEXT) | instid1(VALU_DEP_1)
	v_fmaak_f32 v2, v1, v2, 0x3e088382
	v_fmaak_f32 v2, v1, v2, 0xbeaaaa99
	s_delay_alu instid0(VALU_DEP_1) | instskip(NEXT) | instid1(VALU_DEP_1)
	v_mul_f32_e64 v2, |v0|, v2
	v_fma_f32 v1, v1, v2, |v0|
.LBB66_13:                              ;   in Loop: Header=BB66_9 Depth=1
	s_wait_alu 0xfffe
	s_or_b32 exec_lo, exec_lo, s26
	s_delay_alu instid0(VALU_DEP_1)
	v_bfi_b32 v0, 0x7fffffff, v1, v0
	v_xor_b32_e32 v117, 16, v100
	v_xor_b32_e32 v113, 8, v100
	;; [unrolled: 1-line block ×4, first 2 shown]
	s_wait_loadcnt 0x0
	v_fma_mix_f32 v27, s5, v0, v28 op_sel_hi:[0,0,1]
	v_cmp_gt_i32_e32 vcc_lo, 32, v117
	v_xor_b32_e32 v116, 1, v100
	v_cmp_ngt_f32_e64 s26, 0x3f200000, |v26|
                                        ; implicit-def: $vgpr36
	s_wait_alu 0xfffd
	v_dual_add_f32 v1, 0x40051340, v27 :: v_dual_cndmask_b32 v0, v100, v117
	v_max_num_f32_e32 v2, v25, v25
	v_cmp_gt_i32_e32 vcc_lo, 32, v113
	s_delay_alu instid0(VALU_DEP_2) | instskip(SKIP_3) | instid1(VALU_DEP_2)
	v_dual_max_num_f32 v0, v2, v1 :: v_dual_lshlrev_b32 v29, 2, v0
	s_wait_alu 0xfffd
	v_cndmask_b32_e32 v2, v100, v113, vcc_lo
	v_cmp_gt_i32_e32 vcc_lo, 32, v114
	v_lshlrev_b32_e32 v30, 2, v2
	s_wait_alu 0xfffd
	v_cndmask_b32_e32 v2, v100, v114, vcc_lo
	v_cmp_gt_i32_e32 vcc_lo, 32, v115
	s_delay_alu instid0(VALU_DEP_2) | instskip(SKIP_4) | instid1(VALU_DEP_2)
	v_lshlrev_b32_e32 v31, 2, v2
	ds_bpermute_b32 v1, v29, v0
	s_wait_alu 0xfffd
	v_cndmask_b32_e32 v2, v100, v115, vcc_lo
	v_cmp_gt_i32_e32 vcc_lo, 32, v116
	v_lshlrev_b32_e32 v32, 2, v2
	s_wait_dscnt 0x0
	s_wait_alu 0xfffd
	v_dual_cndmask_b32 v2, v100, v116 :: v_dual_max_num_f32 v1, v1, v1
	s_delay_alu instid0(VALU_DEP_1) | instskip(SKIP_3) | instid1(VALU_DEP_1)
	v_max_num_f32_e32 v0, v0, v1
	ds_bpermute_b32 v1, v30, v0
	s_wait_dscnt 0x0
	v_max_num_f32_e32 v1, v1, v1
	v_max_num_f32_e32 v0, v0, v1
	ds_bpermute_b32 v1, v31, v0
	s_wait_dscnt 0x0
	v_max_num_f32_e32 v1, v1, v1
	s_delay_alu instid0(VALU_DEP_1) | instskip(SKIP_3) | instid1(VALU_DEP_1)
	v_max_num_f32_e32 v0, v0, v1
	ds_bpermute_b32 v1, v32, v0
	s_wait_dscnt 0x0
	v_dual_max_num_f32 v1, v1, v1 :: v_dual_lshlrev_b32 v34, 2, v2
	v_max_num_f32_e32 v33, v0, v1
	ds_bpermute_b32 v35, v34, v33
	s_and_saveexec_b32 s27, s26
	s_wait_alu 0xfffe
	s_xor_b32 s26, exec_lo, s27
	s_cbranch_execz .LBB66_15
; %bb.14:                               ;   in Loop: Header=BB66_9 Depth=1
	v_add_f32_e64 v0, |v26|, |v26|
	s_delay_alu instid0(VALU_DEP_1) | instskip(SKIP_1) | instid1(VALU_DEP_2)
	v_mul_f32_e32 v1, 0x3fb8aa3b, v0
	v_cmp_ngt_f32_e32 vcc_lo, 0xc2ce8ed0, v0
	v_rndne_f32_e32 v2, v1
	v_fma_f32 v3, 0x3fb8aa3b, v0, -v1
	s_delay_alu instid0(VALU_DEP_2) | instskip(NEXT) | instid1(VALU_DEP_2)
	v_sub_f32_e32 v1, v1, v2
	v_fmac_f32_e32 v3, 0x32a5705f, v0
	v_cvt_i32_f32_e32 v2, v2
	s_delay_alu instid0(VALU_DEP_2) | instskip(NEXT) | instid1(VALU_DEP_1)
	v_add_f32_e32 v1, v1, v3
	v_exp_f32_e32 v1, v1
	s_delay_alu instid0(TRANS32_DEP_1) | instskip(SKIP_1) | instid1(VALU_DEP_1)
	v_ldexp_f32 v1, v1, v2
	s_wait_alu 0xfffd
	v_cndmask_b32_e32 v1, 0, v1, vcc_lo
	v_cmp_nlt_f32_e32 vcc_lo, 0x42b17218, v0
	s_wait_alu 0xfffd
	s_delay_alu instid0(VALU_DEP_2) | instskip(NEXT) | instid1(VALU_DEP_1)
	v_cndmask_b32_e32 v0, 0x7f800000, v1, vcc_lo
	v_add_f32_e32 v0, 1.0, v0
	s_delay_alu instid0(VALU_DEP_1) | instskip(NEXT) | instid1(TRANS32_DEP_1)
	v_rcp_f32_e32 v0, v0
	v_fma_f32 v36, v0, -2.0, 1.0
.LBB66_15:                              ;   in Loop: Header=BB66_9 Depth=1
	s_wait_alu 0xfffe
	s_and_not1_saveexec_b32 s26, s26
	s_cbranch_execz .LBB66_17
; %bb.16:                               ;   in Loop: Header=BB66_9 Depth=1
	v_mul_f32_e32 v0, v26, v26
	s_delay_alu instid0(VALU_DEP_1) | instskip(NEXT) | instid1(VALU_DEP_1)
	v_fmaak_f32 v1, s3, v0, 0x3ca908c9
	v_fmaak_f32 v1, v0, v1, 0xbd5c1c4e
	s_delay_alu instid0(VALU_DEP_1) | instskip(NEXT) | instid1(VALU_DEP_1)
	v_fmaak_f32 v1, v0, v1, 0x3e088382
	v_fmaak_f32 v1, v0, v1, 0xbeaaaa99
	s_delay_alu instid0(VALU_DEP_1) | instskip(NEXT) | instid1(VALU_DEP_1)
	v_mul_f32_e64 v1, |v26|, v1
	v_fma_f32 v36, v0, v1, |v26|
.LBB66_17:                              ;   in Loop: Header=BB66_9 Depth=1
	s_wait_alu 0xfffe
	s_or_b32 exec_lo, exec_lo, s26
	s_mul_u64 s[26:27], s[10:11], s[14:15]
	s_wait_dscnt 0x0
	s_wait_alu 0xfffe
	s_lshl_b64 s[26:27], s[26:27], 2
	s_barrier_signal -1
	s_wait_alu 0xfffe
	s_add_nc_u64 s[26:27], s[8:9], s[26:27]
	s_barrier_wait -1
	s_wait_alu 0xfffe
	v_add_co_u32 v0, vcc_lo, s26, v87
	s_wait_alu 0xfffd
	v_add_co_ci_u32_e64 v1, null, s27, v88, vcc_lo
	v_add_co_u32 v2, vcc_lo, s26, v89
	s_wait_alu 0xfffd
	v_add_co_ci_u32_e64 v3, null, s27, v90, vcc_lo
	;; [unrolled: 3-line block ×8, first 2 shown]
	global_inv scope:SCOPE_SE
	s_clause 0x3
	global_load_b128 v[0:3], v[0:1], off
	global_load_b128 v[4:7], v[4:5], off
	global_load_b128 v[8:11], v[8:9], off
	global_load_b128 v[12:15], v[12:13], off
	v_cvt_f32_f16_e32 v28, v28
	v_bfi_b32 v26, 0x7fffffff, v36, v26
	v_add_nc_u32_e32 v52, 0x1800, v99
	v_add_nc_u32_e32 v74, 0x2800, v99
	v_add_nc_u32_e32 v120, 0x3000, v99
	s_delay_alu instid0(VALU_DEP_4) | instskip(SKIP_1) | instid1(VALU_DEP_2)
	v_dual_fmac_f32 v28, s5, v26 :: v_dual_add_nc_u32 v53, 0x2000, v99
	v_dual_max_num_f32 v26, v24, v24 :: v_dual_add_nc_u32 v37, 0x1000, v99
	v_add_f32_e32 v36, 0x40051340, v28
	s_delay_alu instid0(VALU_DEP_1) | instskip(SKIP_3) | instid1(VALU_DEP_1)
	v_max_num_f32_e32 v26, v26, v36
	ds_bpermute_b32 v29, v29, v26
	s_wait_dscnt 0x0
	v_max_num_f32_e32 v29, v29, v29
	v_max_num_f32_e32 v26, v26, v29
	ds_bpermute_b32 v29, v30, v26
	s_wait_dscnt 0x0
	v_dual_max_num_f32 v30, v35, v35 :: v_dual_max_num_f32 v29, v29, v29
	s_delay_alu instid0(VALU_DEP_1) | instskip(SKIP_3) | instid1(VALU_DEP_2)
	v_max_num_f32_e32 v26, v26, v29
	ds_bpermute_b32 v29, v31, v26
	v_max_num_f32_e32 v31, v33, v33
	v_add_nc_u32_e32 v33, 0x800, v99
	v_max_num_f32_e32 v95, v31, v30
	s_delay_alu instid0(VALU_DEP_1) | instskip(NEXT) | instid1(VALU_DEP_1)
	v_sub_f32_e32 v25, v25, v95
	v_dual_sub_f32 v27, v27, v95 :: v_dual_mul_f32 v30, 0x3fb8aa3b, v25
	v_cmp_ngt_f32_e32 vcc_lo, 0xc2ce8ed0, v25
	s_wait_dscnt 0x0
	v_max_num_f32_e32 v29, v29, v29
	s_delay_alu instid0(VALU_DEP_1) | instskip(SKIP_2) | instid1(VALU_DEP_1)
	v_max_num_f32_e32 v26, v26, v29
	ds_bpermute_b32 v29, v32, v26
	v_mul_f32_e32 v32, 0x3fb8aa3b, v27
	v_rndne_f32_e32 v35, v32
	s_wait_dscnt 0x0
	v_max_num_f32_e32 v29, v29, v29
	s_delay_alu instid0(VALU_DEP_1) | instskip(SKIP_4) | instid1(VALU_DEP_1)
	v_max_num_f32_e32 v26, v26, v29
	ds_bpermute_b32 v29, v34, v26
	v_fma_f32 v34, 0x3fb8aa3b, v25, -v30
	s_wait_dscnt 0x0
	v_max_num_f32_e32 v29, v29, v29
	v_max_num_f32_e32 v96, v26, v29
	v_fma_f32 v29, 0x3fb8aa3b, v27, -v32
	v_rndne_f32_e32 v26, v30
	s_delay_alu instid0(VALU_DEP_2) | instskip(NEXT) | instid1(VALU_DEP_2)
	v_dual_fmac_f32 v29, 0x32a5705f, v27 :: v_dual_sub_f32 v28, v28, v96
	v_sub_f32_e32 v30, v30, v26
	v_cvt_i32_f32_e32 v26, v26
	v_dual_sub_f32 v24, v24, v96 :: v_dual_add_nc_u32 v31, v109, v97
	s_delay_alu instid0(VALU_DEP_4) | instskip(NEXT) | instid1(VALU_DEP_1)
	v_mul_f32_e32 v38, 0x3fb8aa3b, v28
	v_fma_f32 v39, 0x3fb8aa3b, v28, -v38
	s_delay_alu instid0(VALU_DEP_1) | instskip(NEXT) | instid1(VALU_DEP_1)
	v_dual_fmac_f32 v34, 0x32a5705f, v25 :: v_dual_fmac_f32 v39, 0x32a5705f, v28
	v_add_f32_e32 v30, v30, v34
	s_delay_alu instid0(VALU_DEP_1) | instskip(NEXT) | instid1(TRANS32_DEP_1)
	v_exp_f32_e32 v30, v30
	v_ldexp_f32 v26, v30, v26
	s_wait_alu 0xfffd
	s_delay_alu instid0(VALU_DEP_1) | instskip(SKIP_2) | instid1(VALU_DEP_2)
	v_cndmask_b32_e32 v26, 0, v26, vcc_lo
	v_cmp_nlt_f32_e32 vcc_lo, 0x42b17218, v25
	s_wait_alu 0xfffd
	v_dual_sub_f32 v32, v32, v35 :: v_dual_cndmask_b32 v25, 0x7f800000, v26
	s_delay_alu instid0(VALU_DEP_1) | instskip(SKIP_1) | instid1(VALU_DEP_2)
	v_dual_mul_f32 v36, 0x3fb8aa3b, v24 :: v_dual_add_f32 v29, v32, v29
	v_cmp_ngt_f32_e32 vcc_lo, 0xc2ce8ed0, v27
	v_fma_f32 v32, 0x3fb8aa3b, v24, -v36
	v_rndne_f32_e32 v34, v36
	s_delay_alu instid0(VALU_DEP_4) | instskip(NEXT) | instid1(VALU_DEP_2)
	v_exp_f32_e32 v29, v29
	v_fmac_f32_e32 v32, 0x32a5705f, v24
	s_delay_alu instid0(VALU_DEP_2) | instskip(SKIP_1) | instid1(VALU_DEP_2)
	v_sub_f32_e32 v36, v36, v34
	v_cvt_i32_f32_e32 v34, v34
	v_add_f32_e32 v32, v36, v32
	s_delay_alu instid0(VALU_DEP_1)
	v_exp_f32_e32 v30, v32
	v_cvt_i32_f32_e32 v32, v35
	s_delay_alu instid0(TRANS32_DEP_2) | instid1(VALU_DEP_1)
	v_ldexp_f32 v29, v29, v32
	s_delay_alu instid0(TRANS32_DEP_1) | instskip(SKIP_1) | instid1(VALU_DEP_2)
	v_ldexp_f32 v26, v30, v34
	s_wait_alu 0xfffd
	v_cndmask_b32_e32 v29, 0, v29, vcc_lo
	v_rndne_f32_e32 v40, v38
	v_cmp_ngt_f32_e32 vcc_lo, 0xc2ce8ed0, v24
	s_delay_alu instid0(VALU_DEP_2)
	v_sub_f32_e32 v38, v38, v40
	v_cvt_i32_f32_e32 v32, v40
	s_wait_alu 0xfffd
	v_cndmask_b32_e32 v26, 0, v26, vcc_lo
	v_cmp_ngt_f32_e32 vcc_lo, 0xc2ce8ed0, v28
	v_add_f32_e32 v36, v38, v39
	s_delay_alu instid0(VALU_DEP_1) | instskip(NEXT) | instid1(TRANS32_DEP_1)
	v_exp_f32_e32 v35, v36
	v_ldexp_f32 v30, v35, v32
	v_cvt_f16_f32_e32 v32, v25
	s_wait_alu 0xfffd
	s_delay_alu instid0(VALU_DEP_2)
	v_cndmask_b32_e32 v30, 0, v30, vcc_lo
	v_cmp_nlt_f32_e32 vcc_lo, 0x42b17218, v24
	s_wait_alu 0xfffd
	v_cndmask_b32_e32 v24, 0x7f800000, v26, vcc_lo
	v_cmp_nlt_f32_e32 vcc_lo, 0x42b17218, v27
	v_and_b32_e32 v26, 0xffff, v32
	s_delay_alu instid0(VALU_DEP_3)
	v_cvt_f16_f32_e32 v27, v24
	s_wait_alu 0xfffd
	v_cndmask_b32_e32 v119, 0x7f800000, v29, vcc_lo
	v_cmp_nlt_f32_e32 vcc_lo, 0x42b17218, v28
	v_mul_u32_u24_e32 v165, 0x10001, v26
	v_and_b32_e32 v27, 0xffff, v27
	s_delay_alu instid0(VALU_DEP_4)
	v_cvt_f16_f32_e32 v28, v119
	s_wait_alu 0xfffd
	v_cndmask_b32_e32 v118, 0x7f800000, v30, vcc_lo
	v_pk_mul_f16 v75, v21, v165
	v_fmac_f32_e32 v119, v22, v25
	v_mul_u32_u24_e32 v166, 0x10001, v27
	v_pk_mul_f16 v167, v19, v165
	v_cvt_f16_f32_e32 v26, v118
	v_pk_mul_f16 v168, v20, v165
	v_fmac_f32_e32 v118, v23, v24
	v_pk_mul_f16 v169, v18, v166
	v_pk_mul_f16 v170, v17, v166
	v_pack_b32_f16 v21, v28, v26
	v_pk_mul_f16 v171, v16, v166
	ds_store_b32 v31, v21
	s_wait_loadcnt 0x3
	ds_store_b128 v108, v[0:3]
	s_wait_loadcnt 0x2
	ds_store_b128 v110, v[4:7]
	;; [unrolled: 2-line block ×4, first 2 shown]
	s_wait_dscnt 0x0
	s_barrier_signal -1
	s_barrier_wait -1
	global_inv scope:SCOPE_SE
	ds_load_2addr_b64 v[70:73], v99 offset1:32
	ds_load_b128 v[121:124], v109
	ds_load_b128 v[125:128], v109 offset:16
	ds_load_b128 v[129:132], v109 offset:32
	;; [unrolled: 1-line block ×3, first 2 shown]
	ds_load_2addr_b64 v[137:140], v99 offset0:64 offset1:96
	ds_load_2addr_b64 v[141:144], v99 offset0:128 offset1:160
	ds_load_2addr_b64 v[145:148], v99 offset0:192 offset1:224
	ds_load_2addr_b64 v[149:152], v33 offset1:32
	ds_load_2addr_b64 v[153:156], v33 offset0:64 offset1:96
	ds_load_2addr_b64 v[60:63], v33 offset0:128 offset1:160
	ds_load_2addr_b64 v[56:59], v33 offset0:192 offset1:224
	ds_load_2addr_b64 v[48:51], v37 offset1:32
	;; [unrolled: 4-line block ×5, first 2 shown]
	ds_load_b128 v[157:160], v109 offset:64
	ds_load_b128 v[161:164], v109 offset:80
	ds_load_2addr_b64 v[52:55], v74 offset0:64 offset1:96
	ds_load_2addr_b64 v[64:67], v74 offset0:128 offset1:160
	s_wait_dscnt 0x1b
	v_lshrrev_b32_e32 v172, 16, v121
	v_and_b32_e32 v121, 0xffff, v121
	v_lshrrev_b32_e32 v175, 16, v124
	v_and_b32_e32 v176, 0xffff, v124
	v_lshrrev_b32_e32 v173, 16, v122
	v_mul_u32_u24_e32 v124, 0x10001, v172
	v_mul_u32_u24_e32 v121, 0x10001, v121
	v_and_b32_e32 v122, 0xffff, v122
	s_wait_dscnt 0x1a
	v_lshrrev_b32_e32 v177, 16, v125
	v_and_b32_e32 v178, 0xffff, v125
	v_lshrrev_b32_e32 v179, 16, v126
	v_and_b32_e32 v180, 0xffff, v126
	;; [unrolled: 2-line block ×3, first 2 shown]
	v_pk_fma_f16 v125, v71, v121, v75
	v_pk_fma_f16 v126, v72, v121, v167
	;; [unrolled: 1-line block ×3, first 2 shown]
	v_pk_mul_f16 v121, v70, v121
	v_pk_mul_f16 v70, v70, v124
	v_lshrrev_b32_e32 v174, 16, v123
	v_and_b32_e32 v123, 0xffff, v123
	v_lshrrev_b32_e32 v183, 16, v128
	v_and_b32_e32 v184, 0xffff, v128
	s_wait_dscnt 0x19
	v_lshrrev_b32_e32 v185, 16, v129
	v_and_b32_e32 v186, 0xffff, v129
	v_lshrrev_b32_e32 v187, 16, v130
	v_and_b32_e32 v188, 0xffff, v130
	;; [unrolled: 2-line block ×3, first 2 shown]
	v_pk_fma_f16 v128, v71, v124, v169
	v_pk_fma_f16 v129, v72, v124, v170
	;; [unrolled: 1-line block ×3, first 2 shown]
	v_mul_u32_u24_e32 v122, 0x10001, v122
	v_pk_fma_f16 v121, v69, v165, v121
	v_pk_fma_f16 v124, v68, v166, v70
	v_mul_u32_u24_e32 v131, 0x10001, v173
	v_lshrrev_b32_e32 v191, 16, v132
	v_and_b32_e32 v192, 0xffff, v132
	s_wait_dscnt 0x17
	v_pk_fma_f16 v125, v138, v122, v125
	v_pk_fma_f16 v126, v139, v122, v126
	;; [unrolled: 1-line block ×8, first 2 shown]
	v_mul_u32_u24_e32 v122, 0x10001, v123
	v_mul_u32_u24_e32 v132, 0x10001, v174
	v_lshrrev_b32_e32 v193, 16, v133
	v_and_b32_e32 v194, 0xffff, v133
	v_lshrrev_b32_e32 v195, 16, v134
	v_and_b32_e32 v196, 0xffff, v134
	;; [unrolled: 2-line block ×4, first 2 shown]
	s_wait_dscnt 0x3
	v_lshrrev_b32_e32 v137, 16, v158
	v_and_b32_e32 v138, 0xffff, v158
	v_lshrrev_b32_e32 v139, 16, v159
	v_and_b32_e32 v140, 0xffff, v159
	;; [unrolled: 2-line block ×3, first 2 shown]
	v_pk_fma_f16 v133, v142, v122, v125
	v_pk_fma_f16 v134, v143, v122, v126
	;; [unrolled: 1-line block ×4, first 2 shown]
	v_mul_u32_u24_e32 v160, 0x10001, v176
	v_pk_fma_f16 v142, v142, v132, v128
	v_pk_fma_f16 v129, v143, v132, v129
	;; [unrolled: 1-line block ×4, first 2 shown]
	v_mul_u32_u24_e32 v132, 0x10001, v175
	s_wait_dscnt 0x2
	v_lshrrev_b32_e32 v141, 16, v161
	v_pk_fma_f16 v133, v146, v160, v133
	v_pk_fma_f16 v134, v147, v160, v134
	;; [unrolled: 1-line block ×4, first 2 shown]
	v_and_b32_e32 v143, 0xffff, v161
	v_pk_fma_f16 v142, v146, v132, v142
	v_pk_fma_f16 v144, v147, v132, v129
	;; [unrolled: 1-line block ×4, first 2 shown]
	v_lshrrev_b32_e32 v147, 16, v162
	v_and_b32_e32 v148, 0xffff, v162
	v_lshrrev_b32_e32 v160, 16, v163
	v_mul_u32_u24_e32 v129, 0x10001, v178
	v_and_b32_e32 v161, 0xffff, v163
	v_lshrrev_b32_e32 v162, 16, v164
	v_and_b32_e32 v163, 0xffff, v164
	v_mul_u32_u24_e32 v164, 0x10001, v177
	v_pk_fma_f16 v166, v150, v129, v133
	v_pk_fma_f16 v171, v151, v129, v134
	v_pk_fma_f16 v172, v152, v129, v135
	v_pk_fma_f16 v173, v149, v129, v136
	v_mul_u32_u24_e32 v174, 0x10001, v180
	v_pk_fma_f16 v142, v150, v164, v142
	v_pk_fma_f16 v144, v151, v164, v144
	v_pk_fma_f16 v146, v152, v164, v146
	v_pk_fma_f16 v145, v149, v164, v145
	;; [unrolled: 5-line block ×3, first 2 shown]
	v_pk_fma_f16 v142, v154, v150, v142
	v_pk_fma_f16 v144, v155, v150, v144
	;; [unrolled: 1-line block ×4, first 2 shown]
	v_mul_u32_u24_e32 v154, 0x10001, v182
	v_mul_u32_u24_e32 v155, 0x10001, v181
	;; [unrolled: 1-line block ×5, first 2 shown]
	v_pk_fma_f16 v151, v61, v154, v151
	v_pk_fma_f16 v152, v62, v154, v152
	;; [unrolled: 1-line block ×8, first 2 shown]
	v_mul_u32_u24_e32 v173, 0x10001, v185
	v_pk_fma_f16 v144, v57, v156, v151
	v_pk_fma_f16 v145, v58, v156, v152
	v_pk_fma_f16 v146, v59, v156, v164
	v_pk_fma_f16 v57, v57, v171, v61
	v_pk_fma_f16 v58, v58, v171, v62
	v_pk_fma_f16 v59, v59, v171, v63
	v_pk_fma_f16 v61, v56, v156, v142
	v_pk_fma_f16 v56, v56, v171, v60
	v_mul_u32_u24_e32 v174, 0x10001, v188
	v_mul_u32_u24_e32 v175, 0x10001, v187
	v_pk_fma_f16 v60, v49, v172, v144
	v_pk_fma_f16 v62, v50, v172, v145
	v_pk_fma_f16 v63, v51, v172, v146
	v_pk_fma_f16 v49, v49, v173, v57
	v_pk_fma_f16 v50, v50, v173, v58
	v_pk_fma_f16 v51, v51, v173, v59
	v_pk_fma_f16 v57, v48, v172, v61
	v_pk_fma_f16 v48, v48, v173, v56
	v_mul_u32_u24_e32 v176, 0x10001, v190
	;; [unrolled: 10-line block ×6, first 2 shown]
	v_mul_u32_u24_e32 v167, 0x10001, v167
	v_pk_fma_f16 v36, v29, v182, v40
	v_pk_fma_f16 v29, v29, v183, v33
	;; [unrolled: 1-line block ×8, first 2 shown]
	v_lshrrev_b32_e32 v165, 16, v157
	v_and_b32_e32 v157, 0xffff, v157
	v_mul_u32_u24_e32 v170, 0x10001, v170
	v_mul_u32_u24_e32 v169, 0x10001, v169
	v_pk_fma_f16 v32, v25, v168, v36
	v_pk_fma_f16 v25, v25, v167, v29
	v_pk_fma_f16 v29, v26, v168, v33
	v_pk_fma_f16 v26, v26, v167, v30
	v_pk_fma_f16 v30, v27, v168, v34
	v_pk_fma_f16 v27, v27, v167, v31
	v_pk_fma_f16 v31, v24, v168, v35
	v_pk_fma_f16 v24, v24, v167, v28
	v_mul_u32_u24_e32 v157, 0x10001, v157
	v_mul_u32_u24_e32 v165, 0x10001, v165
	v_pk_fma_f16 v28, v17, v170, v32
	v_pk_fma_f16 v17, v17, v169, v25
	v_pk_fma_f16 v25, v18, v170, v29
	v_pk_fma_f16 v18, v18, v169, v26
	v_pk_fma_f16 v26, v19, v170, v30
	v_pk_fma_f16 v19, v19, v169, v27
	v_pk_fma_f16 v27, v16, v170, v31
	v_pk_fma_f16 v16, v16, v169, v24
	;; [unrolled: 10-line block ×4, first 2 shown]
	ds_load_b128 v[121:124], v109 offset:96
	ds_load_b128 v[133:136], v109 offset:112
	v_mul_u32_u24_e32 v159, 0x10001, v159
	v_mul_u32_u24_e32 v158, 0x10001, v158
	v_pk_fma_f16 v8, v1, v140, v16
	v_pk_fma_f16 v1, v1, v139, v5
	;; [unrolled: 1-line block ×8, first 2 shown]
	ds_load_2addr_b64 v[72:75], v74 offset0:192 offset1:224
	v_mul_u32_u24_e32 v143, 0x10001, v143
	v_mul_u32_u24_e32 v141, 0x10001, v141
	v_pk_fma_f16 v1, v13, v158, v1
	v_pk_fma_f16 v2, v14, v158, v2
	;; [unrolled: 1-line block ×4, first 2 shown]
	ds_load_2addr_b64 v[68:71], v120 offset1:32
	v_mul_u32_u24_e32 v148, 0x10001, v148
	v_mul_u32_u24_e32 v147, 0x10001, v147
	v_pk_fma_f16 v4, v13, v159, v8
	v_pk_fma_f16 v3, v15, v158, v3
	;; [unrolled: 1-line block ×6, first 2 shown]
	ds_load_2addr_b64 v[125:128], v120 offset0:64 offset1:96
	v_mul_u32_u24_e32 v161, 0x10001, v161
	v_mul_u32_u24_e32 v160, 0x10001, v160
	v_pk_fma_f16 v5, v14, v159, v5
	v_pk_fma_f16 v6, v15, v159, v6
	;; [unrolled: 1-line block ×4, first 2 shown]
	s_wait_dscnt 0x6
	v_pk_fma_f16 v1, v53, v147, v1
	v_pk_fma_f16 v2, v54, v147, v2
	;; [unrolled: 1-line block ×4, first 2 shown]
	s_wait_dscnt 0x4
	v_lshrrev_b32_e32 v149, 16, v121
	v_and_b32_e32 v121, 0xffff, v121
	v_mul_u32_u24_e32 v163, 0x10001, v163
	v_mul_u32_u24_e32 v162, 0x10001, v162
	v_pk_fma_f16 v5, v22, v143, v5
	v_pk_fma_f16 v6, v23, v143, v6
	v_pk_fma_f16 v4, v53, v148, v4
	v_pk_fma_f16 v3, v55, v147, v3
	v_pk_fma_f16 v1, v65, v160, v1
	v_pk_fma_f16 v2, v66, v160, v2
	v_pk_fma_f16 v7, v64, v161, v7
	v_pk_fma_f16 v0, v64, v160, v0
	ds_load_2addr_b64 v[129:132], v120 offset0:128 offset1:160
	v_lshrrev_b32_e32 v150, 16, v122
	v_and_b32_e32 v122, 0xffff, v122
	v_mul_u32_u24_e32 v121, 0x10001, v121
	v_mul_u32_u24_e32 v149, 0x10001, v149
	v_pk_fma_f16 v5, v54, v148, v5
	v_pk_fma_f16 v6, v55, v148, v6
	;; [unrolled: 1-line block ×4, first 2 shown]
	s_wait_dscnt 0x3
	v_pk_fma_f16 v1, v73, v162, v1
	v_pk_fma_f16 v2, v74, v162, v2
	;; [unrolled: 1-line block ×4, first 2 shown]
	v_mul_u32_u24_e32 v122, 0x10001, v122
	v_mul_u32_u24_e32 v150, 0x10001, v150
	v_pk_fma_f16 v5, v66, v161, v5
	v_pk_fma_f16 v6, v67, v161, v6
	;; [unrolled: 1-line block ×4, first 2 shown]
	s_wait_dscnt 0x2
	v_pk_fma_f16 v1, v69, v149, v1
	v_pk_fma_f16 v8, v70, v149, v2
	;; [unrolled: 1-line block ×4, first 2 shown]
	v_and_b32_e32 v153, 0xffff, v123
	v_pk_fma_f16 v5, v74, v163, v5
	v_pk_fma_f16 v6, v75, v163, v6
	;; [unrolled: 1-line block ×4, first 2 shown]
	s_wait_dscnt 0x1
	v_pk_fma_f16 v9, v125, v122, v2
	v_pk_fma_f16 v10, v125, v150, v0
	;; [unrolled: 1-line block ×3, first 2 shown]
	ds_load_2addr_b64 v[0:3], v120 offset0:192 offset1:224
	v_pk_fma_f16 v5, v70, v121, v5
	v_pk_fma_f16 v6, v71, v121, v6
	;; [unrolled: 1-line block ×3, first 2 shown]
	v_mul_u32_u24_e32 v13, 0x10001, v153
	v_add_nc_u32_e32 v17, 0x3800, v99
	v_lshrrev_b32_e32 v123, 16, v123
	v_pk_fma_f16 v12, v127, v122, v5
	v_pk_fma_f16 v15, v128, v122, v6
	;; [unrolled: 1-line block ×3, first 2 shown]
	s_wait_dscnt 0x1
	v_pk_fma_f16 v18, v130, v13, v4
	v_and_b32_e32 v19, 0xffff, v124
	ds_load_2addr_b64 v[4:7], v17 offset1:32
	v_mul_u32_u24_e32 v14, 0x10001, v123
	v_lshrrev_b32_e32 v20, 16, v124
	v_pk_fma_f16 v8, v127, v150, v8
	v_mul_u32_u24_e32 v19, 0x10001, v19
	v_pk_fma_f16 v9, v129, v13, v9
	v_pk_fma_f16 v10, v129, v14, v10
	;; [unrolled: 1-line block ×3, first 2 shown]
	v_mul_u32_u24_e32 v20, 0x10001, v20
	v_pk_fma_f16 v21, v131, v14, v8
	v_pk_fma_f16 v14, v132, v14, v16
	s_wait_dscnt 0x1
	v_pk_fma_f16 v16, v1, v19, v18
	v_and_b32_e32 v18, 0xffff, v133
	v_lshrrev_b32_e32 v22, 16, v133
	v_pk_fma_f16 v12, v131, v13, v12
	v_pk_fma_f16 v13, v132, v13, v15
	;; [unrolled: 1-line block ×5, first 2 shown]
	ds_load_2addr_b64 v[8:11], v17 offset0:64 offset1:96
	v_mul_u32_u24_e32 v18, 0x10001, v18
	v_mul_u32_u24_e32 v22, 0x10001, v22
	v_pk_fma_f16 v12, v2, v19, v12
	v_pk_fma_f16 v2, v2, v20, v21
	;; [unrolled: 1-line block ×4, first 2 shown]
	s_wait_dscnt 0x1
	v_pk_fma_f16 v15, v4, v18, v15
	v_pk_fma_f16 v4, v4, v22, v0
	v_and_b32_e32 v0, 0xffff, v134
	v_lshrrev_b32_e32 v3, 16, v134
	v_pk_fma_f16 v16, v5, v18, v16
	v_pk_fma_f16 v5, v5, v22, v1
	;; [unrolled: 1-line block ×4, first 2 shown]
	v_mul_u32_u24_e32 v19, 0x10001, v0
	v_mul_u32_u24_e32 v20, 0x10001, v3
	ds_load_2addr_b64 v[0:3], v17 offset0:128 offset1:160
	v_pk_fma_f16 v13, v7, v18, v13
	v_pk_fma_f16 v7, v7, v22, v14
	s_wait_dscnt 0x1
	v_pk_fma_f16 v14, v8, v19, v15
	v_pk_fma_f16 v8, v8, v20, v4
	;; [unrolled: 1-line block ×8, first 2 shown]
	ds_load_2addr_b64 v[4:7], v17 offset0:192 offset1:224
	s_wait_loadcnt_dscnt 0x0
	s_barrier_signal -1
	s_barrier_wait -1
	global_inv scope:SCOPE_SE
	s_load_b32 s11, s[24:25], 0x4
	v_and_b32_e32 v16, 0xffff, v135
	v_lshrrev_b32_e32 v18, 16, v135
	s_delay_alu instid0(VALU_DEP_2) | instskip(NEXT) | instid1(VALU_DEP_2)
	v_mul_u32_u24_e32 v16, 0x10001, v16
	v_mul_u32_u24_e32 v17, 0x10001, v18
	v_lshrrev_b32_e32 v18, 16, v136
	s_delay_alu instid0(VALU_DEP_3) | instskip(NEXT) | instid1(VALU_DEP_3)
	v_pk_fma_f16 v14, v0, v16, v14
	v_pk_fma_f16 v0, v0, v17, v8
	v_and_b32_e32 v8, 0xffff, v136
	v_pk_fma_f16 v15, v1, v16, v15
	v_pk_fma_f16 v1, v1, v17, v9
	;; [unrolled: 1-line block ×3, first 2 shown]
	v_mul_u32_u24_e32 v12, 0x10001, v18
	v_mul_u32_u24_e32 v8, 0x10001, v8
	v_pk_fma_f16 v2, v2, v17, v10
	v_pk_fma_f16 v10, v3, v16, v13
	;; [unrolled: 1-line block ×3, first 2 shown]
	s_wait_kmcnt 0x0
	s_lshl_b32 s11, s11, 5
	v_pk_fma_f16 v69, v4, v8, v14
	v_pk_fma_f16 v68, v4, v12, v0
	;; [unrolled: 1-line block ×8, first 2 shown]
	s_wait_alu 0xfffe
	s_add_co_i32 s10, s11, s10
	s_wait_alu 0xfffe
	s_cmp_ge_i32 s10, s30
	s_cbranch_scc1 .LBB66_19
; %bb.18:                               ;   in Loop: Header=BB66_9 Depth=1
	v_dual_mov_b32 v25, v95 :: v_dual_mov_b32 v24, v96
	v_dual_mov_b32 v22, v119 :: v_dual_mov_b32 v23, v118
	s_branch .LBB66_9
.LBB66_19:
	v_mov_b32_e32 v0, v100
.LBB66_20:
	v_cmp_lt_i32_e32 vcc_lo, v117, v101
	s_cmp_lg_u64 s[12:13], 0
	s_cselect_b32 s3, -1, 0
	s_cmp_eq_u32 s4, 0
	s_wait_alu 0xfffd
	v_cndmask_b32_e32 v1, v0, v117, vcc_lo
	v_cmp_lt_i32_e32 vcc_lo, v113, v101
	s_cselect_b32 s5, -1, 0
	s_wait_alu 0xfffe
	s_and_b32 s3, s5, s3
	v_lshlrev_b32_e32 v1, 2, v1
	s_wait_alu 0xfffd
	v_cndmask_b32_e32 v3, v0, v113, vcc_lo
	v_cmp_lt_i32_e32 vcc_lo, v114, v101
	ds_bpermute_b32 v2, v1, v119
	s_wait_dscnt 0x0
	v_dual_add_f32 v2, v119, v2 :: v_dual_lshlrev_b32 v3, 2, v3
	ds_bpermute_b32 v4, v3, v2
	s_wait_dscnt 0x0
	v_add_f32_e32 v2, v2, v4
	ds_bpermute_b32 v1, v1, v118
	s_wait_alu 0xfffd
	v_cndmask_b32_e32 v5, v0, v114, vcc_lo
	v_cmp_lt_i32_e32 vcc_lo, v115, v101
	s_delay_alu instid0(VALU_DEP_2)
	v_lshlrev_b32_e32 v5, 2, v5
	s_wait_dscnt 0x0
	v_add_f32_e32 v1, v118, v1
	ds_bpermute_b32 v3, v3, v1
	s_wait_dscnt 0x0
	v_add_f32_e32 v1, v1, v3
	ds_bpermute_b32 v3, v5, v2
	ds_bpermute_b32 v4, v5, v1
	s_wait_alu 0xfffd
	v_cndmask_b32_e32 v5, v0, v115, vcc_lo
	v_cmp_lt_i32_e32 vcc_lo, v116, v101
	s_wait_alu 0xfffd
	s_delay_alu instid0(VALU_DEP_2) | instskip(SKIP_2) | instid1(VALU_DEP_1)
	v_dual_cndmask_b32 v0, v0, v116 :: v_dual_lshlrev_b32 v5, 2, v5
	s_wait_alu 0xfffe
	s_and_b32 vcc_lo, exec_lo, s3
	v_lshlrev_b32_e32 v0, 2, v0
	s_wait_dscnt 0x0
	v_dual_add_f32 v2, v2, v3 :: v_dual_add_f32 v1, v1, v4
	ds_bpermute_b32 v3, v5, v2
	ds_bpermute_b32 v4, v5, v1
	s_wait_dscnt 0x0
	v_dual_add_f32 v2, v2, v3 :: v_dual_add_f32 v1, v1, v4
	ds_bpermute_b32 v3, v0, v2
	ds_bpermute_b32 v4, v0, v1
	s_wait_dscnt 0x0
	v_dual_add_f32 v0, v2, v3 :: v_dual_add_f32 v1, v1, v4
	s_wait_alu 0xfffe
	s_cbranch_vccz .LBB66_23
; %bb.21:
	s_ashr_i32 s29, s28, 31
	v_mov_b32_e32 v2, 0
	s_lshl_b64 s[6:7], s[28:29], 2
	s_delay_alu instid0(SALU_CYCLE_1) | instskip(SKIP_4) | instid1(VALU_DEP_1)
	s_add_nc_u64 s[6:7], s[12:13], s[6:7]
	global_load_b64 v[2:3], v2, s[6:7]
	v_max_num_f32_e32 v4, v95, v95
	s_wait_loadcnt 0x0
	v_dual_max_num_f32 v6, v96, v96 :: v_dual_max_num_f32 v5, v2, v2
	v_dual_max_num_f32 v7, v3, v3 :: v_dual_max_num_f32 v4, v4, v5
	s_delay_alu instid0(VALU_DEP_1) | instskip(NEXT) | instid1(VALU_DEP_1)
	v_dual_max_num_f32 v5, v6, v7 :: v_dual_sub_f32 v6, v95, v4
	v_sub_f32_e32 v7, v96, v5
	v_dual_sub_f32 v3, v3, v5 :: v_dual_sub_f32 v2, v2, v4
	v_mov_b32_e32 v96, v5
	s_delay_alu instid0(VALU_DEP_4) | instskip(NEXT) | instid1(VALU_DEP_4)
	v_cmp_ngt_f32_e32 vcc_lo, 0xc2ce8ed0, v6
	v_mul_f32_e32 v10, 0x3fb8aa3b, v7
	s_delay_alu instid0(VALU_DEP_4) | instskip(SKIP_2) | instid1(VALU_DEP_4)
	v_mul_f32_e32 v11, 0x3fb8aa3b, v3
	v_mul_f32_e32 v9, 0x3fb8aa3b, v2
	v_mov_b32_e32 v95, v4
	v_fma_f32 v22, 0x3fb8aa3b, v7, -v10
	s_delay_alu instid0(VALU_DEP_4) | instskip(NEXT) | instid1(VALU_DEP_4)
	v_fma_f32 v24, 0x3fb8aa3b, v3, -v11
	v_rndne_f32_e32 v15, v9
	v_mul_f32_e32 v8, 0x3fb8aa3b, v6
	v_fma_f32 v14, 0x3fb8aa3b, v2, -v9
	v_rndne_f32_e32 v25, v11
	v_fmac_f32_e32 v24, 0x32a5705f, v3
	v_sub_f32_e32 v9, v9, v15
	v_fma_f32 v12, 0x3fb8aa3b, v6, -v8
	v_rndne_f32_e32 v13, v8
	v_sub_f32_e32 v11, v11, v25
	v_rndne_f32_e32 v23, v10
	v_fmac_f32_e32 v14, 0x32a5705f, v2
	v_fmac_f32_e32 v12, 0x32a5705f, v6
	s_delay_alu instid0(VALU_DEP_4) | instskip(NEXT) | instid1(VALU_DEP_3)
	v_dual_fmac_f32 v22, 0x32a5705f, v7 :: v_dual_add_f32 v11, v11, v24
	v_dual_sub_f32 v8, v8, v13 :: v_dual_add_f32 v9, v9, v14
	v_sub_f32_e32 v10, v10, v23
	v_cvt_i32_f32_e32 v14, v23
	s_delay_alu instid0(VALU_DEP_4) | instskip(NEXT) | instid1(VALU_DEP_3)
	v_exp_f32_e32 v11, v11
	v_add_f32_e32 v8, v8, v12
	v_cvt_i32_f32_e32 v12, v13
	v_add_f32_e32 v10, v10, v22
	v_exp_f32_e32 v9, v9
	v_cvt_i32_f32_e32 v13, v15
	v_exp_f32_e32 v8, v8
	s_delay_alu instid0(VALU_DEP_2)
	v_exp_f32_e32 v10, v10
	s_delay_alu instid0(TRANS32_DEP_3) | instid1(VALU_DEP_1)
	v_ldexp_f32 v9, v9, v13
	s_delay_alu instid0(TRANS32_DEP_2) | instskip(SKIP_1) | instid1(TRANS32_DEP_1)
	v_ldexp_f32 v8, v8, v12
	v_cvt_i32_f32_e32 v12, v25
	v_ldexp_f32 v10, v10, v14
	s_wait_alu 0xfffd
	s_delay_alu instid0(VALU_DEP_3)
	v_cndmask_b32_e32 v8, 0, v8, vcc_lo
	v_cmp_ngt_f32_e32 vcc_lo, 0xc2ce8ed0, v7
	v_ldexp_f32 v11, v11, v12
	s_wait_alu 0xfffd
	v_cndmask_b32_e32 v10, 0, v10, vcc_lo
	v_cmp_nlt_f32_e32 vcc_lo, 0x42b17218, v6
	s_wait_alu 0xfffd
	v_cndmask_b32_e32 v6, 0x7f800000, v8, vcc_lo
	v_cmp_ngt_f32_e32 vcc_lo, 0xc2ce8ed0, v2
	s_wait_alu 0xfffd
	v_cndmask_b32_e32 v8, 0, v9, vcc_lo
	v_cmp_nlt_f32_e32 vcc_lo, 0x42b17218, v7
	v_cvt_f16_f32_e32 v9, v6
	s_wait_alu 0xfffd
	v_cndmask_b32_e32 v7, 0x7f800000, v10, vcc_lo
	v_cmp_ngt_f32_e32 vcc_lo, 0xc2ce8ed0, v3
	s_wait_alu 0xfffd
	v_dual_cndmask_b32 v10, 0, v11 :: v_dual_and_b32 v9, 0xffff, v9
	v_cmp_nlt_f32_e32 vcc_lo, 0x42b17218, v2
	s_wait_alu 0xfffd
	v_cndmask_b32_e32 v2, 0x7f800000, v8, vcc_lo
	v_cvt_f16_f32_e32 v8, v7
	v_cmp_nlt_f32_e32 vcc_lo, 0x42b17218, v3
	s_delay_alu instid0(VALU_DEP_3) | instskip(NEXT) | instid1(VALU_DEP_3)
	v_fmac_f32_e32 v2, v0, v6
	v_and_b32_e32 v6, 0xffff, v8
	s_wait_alu 0xfffd
	v_cndmask_b32_e32 v3, 0x7f800000, v10, vcc_lo
	v_mul_u32_u24_e32 v8, 0x10001, v9
	s_delay_alu instid0(VALU_DEP_2) | instskip(SKIP_1) | instid1(VALU_DEP_3)
	v_dual_mov_b32 v0, v2 :: v_dual_fmac_f32 v3, v1, v7
	v_mul_u32_u24_e32 v1, 0x10001, v6
	v_pk_mul_f16 v69, v69, v8
	v_pk_mul_f16 v21, v21, v8
	;; [unrolled: 1-line block ×8, first 2 shown]
	v_mov_b32_e32 v1, v3
	s_mov_b32 s3, exec_lo
	v_cmpx_gt_i32_e64 s22, v76
	s_cbranch_execnz .LBB66_24
.LBB66_22:
	s_nop 0
	s_sendmsg sendmsg(MSG_DEALLOC_VGPRS)
	s_endpgm
.LBB66_23:
	s_delay_alu instid0(VALU_DEP_1)
	v_dual_mov_b32 v3, v1 :: v_dual_mov_b32 v2, v0
	s_mov_b32 s3, exec_lo
	v_cmpx_gt_i32_e64 s22, v76
	s_cbranch_execz .LBB66_22
.LBB66_24:
	s_load_b32 s1, s[0:1], 0xd4
	v_mov_b32_e32 v6, 1.0
	s_wait_kmcnt 0x0
	s_cmp_lg_u32 s1, 1
	s_cselect_b32 s5, -1, 0
	s_cmp_eq_u32 s1, 1
	s_cselect_b32 s3, -1, 0
	s_wait_alu 0xfffe
	s_and_b32 vcc_lo, exec_lo, s5
	s_wait_alu 0xfffe
	s_cbranch_vccnz .LBB66_26
; %bb.25:
	v_div_scale_f32 v4, null, v0, v0, 1.0
	s_delay_alu instid0(VALU_DEP_1) | instskip(NEXT) | instid1(TRANS32_DEP_1)
	v_rcp_f32_e32 v5, v4
	v_fma_f32 v6, -v4, v5, 1.0
	s_delay_alu instid0(VALU_DEP_1) | instskip(SKIP_1) | instid1(VALU_DEP_1)
	v_fmac_f32_e32 v5, v6, v5
	v_div_scale_f32 v6, vcc_lo, 1.0, v0, 1.0
	v_mul_f32_e32 v7, v6, v5
	s_delay_alu instid0(VALU_DEP_1) | instskip(NEXT) | instid1(VALU_DEP_1)
	v_fma_f32 v8, -v4, v7, v6
	v_fmac_f32_e32 v7, v8, v5
	s_delay_alu instid0(VALU_DEP_1) | instskip(SKIP_1) | instid1(VALU_DEP_1)
	v_fma_f32 v4, -v4, v7, v6
	s_wait_alu 0xfffd
	v_div_fmas_f32 v4, v4, v5, v7
	s_delay_alu instid0(VALU_DEP_1)
	v_div_fixup_f32 v6, v4, v0, 1.0
.LBB66_26:
	v_mad_co_u64_u32 v[4:5], null, s2, s22, v[76:77]
	v_lshrrev_b32_e32 v0, 16, v21
	v_cvt_f32_f16_e32 v7, v21
	v_lshrrev_b32_e32 v8, 16, v69
	v_lshrrev_b32_e32 v11, 16, v20
	;; [unrolled: 1-line block ×3, first 2 shown]
	v_cvt_f32_f16_e32 v10, v69
	v_mad_co_u64_u32 v[4:5], null, v4, s23, s[28:29]
	v_cvt_f32_f16_e32 v14, v19
	v_cvt_f32_f16_e32 v0, v0
	;; [unrolled: 1-line block ×4, first 2 shown]
	v_mul_f32_e32 v9, v6, v7
	v_mul_f32_e32 v7, v6, v10
	v_mad_co_u64_u32 v[4:5], null, s1, v4, s[4:5]
	v_cvt_f32_f16_e32 v5, v20
	v_mul_f32_e32 v11, v6, v14
	v_mul_f32_e32 v10, v6, v0
	;; [unrolled: 1-line block ×5, first 2 shown]
	v_lshl_add_u32 v20, v4, 8, v97
	v_mov_b32_e32 v21, 0
	v_cvt_f32_f16_e32 v5, v12
	v_cmp_eq_u32_e32 vcc_lo, 0, v77
	s_delay_alu instid0(VALU_DEP_3) | instskip(SKIP_1) | instid1(VALU_DEP_4)
	v_lshlrev_b64_e32 v[22:23], 2, v[20:21]
	v_add_nc_u32_e32 v20, 0x80, v20
	v_mul_f32_e32 v12, v6, v5
	s_delay_alu instid0(VALU_DEP_2) | instskip(NEXT) | instid1(VALU_DEP_4)
	v_lshlrev_b64_e32 v[5:6], 2, v[20:21]
	v_add_co_u32 v19, s0, s16, v22
	s_wait_alu 0xf1ff
	v_add_co_ci_u32_e64 v20, null, s17, v23, s0
	s_delay_alu instid0(VALU_DEP_3)
	v_add_co_u32 v5, s0, s16, v5
	s_wait_alu 0xf1ff
	v_add_co_ci_u32_e64 v6, null, s17, v6, s0
	s_and_b32 s0, vcc_lo, s5
	s_clause 0x1
	global_store_b128 v[19:20], v[7:10], off
	global_store_b128 v[5:6], v[11:14], off
	s_wait_alu 0xfffe
	s_and_saveexec_b32 s2, s0
	s_cbranch_execz .LBB66_28
; %bb.27:
	v_ashrrev_i32_e32 v5, 31, v4
	v_dual_mov_b32 v7, v95 :: v_dual_mov_b32 v8, v2
	s_delay_alu instid0(VALU_DEP_2) | instskip(NEXT) | instid1(VALU_DEP_1)
	v_lshlrev_b64_e32 v[5:6], 3, v[4:5]
	v_add_co_u32 v5, vcc_lo, s18, v5
	s_wait_alu 0xfffd
	s_delay_alu instid0(VALU_DEP_2)
	v_add_co_ci_u32_e64 v6, null, s19, v6, vcc_lo
	global_store_b64 v[5:6], v[7:8], off
.LBB66_28:
	s_wait_alu 0xfffe
	s_or_b32 exec_lo, exec_lo, s2
	v_mov_b32_e32 v2, 1.0
	s_and_not1_b32 vcc_lo, exec_lo, s3
	s_wait_alu 0xfffe
	s_cbranch_vccnz .LBB66_30
; %bb.29:
	v_div_scale_f32 v0, null, v1, v1, 1.0
	s_delay_alu instid0(VALU_DEP_1) | instskip(NEXT) | instid1(TRANS32_DEP_1)
	v_rcp_f32_e32 v2, v0
	v_fma_f32 v5, -v0, v2, 1.0
	s_delay_alu instid0(VALU_DEP_1) | instskip(SKIP_1) | instid1(VALU_DEP_1)
	v_fmac_f32_e32 v2, v5, v2
	v_div_scale_f32 v5, vcc_lo, 1.0, v1, 1.0
	v_mul_f32_e32 v6, v5, v2
	s_delay_alu instid0(VALU_DEP_1) | instskip(NEXT) | instid1(VALU_DEP_1)
	v_fma_f32 v7, -v0, v6, v5
	v_fmac_f32_e32 v6, v7, v2
	s_delay_alu instid0(VALU_DEP_1) | instskip(SKIP_1) | instid1(VALU_DEP_1)
	v_fma_f32 v0, -v0, v6, v5
	s_wait_alu 0xfffd
	v_div_fmas_f32 v0, v0, v2, v6
	s_delay_alu instid0(VALU_DEP_1)
	v_div_fixup_f32 v2, v0, v1, 1.0
.LBB66_30:
	v_dual_mov_b32 v9, 0 :: v_dual_add_nc_u32 v0, s1, v4
	v_lshrrev_b32_e32 v1, 16, v18
	v_lshrrev_b32_e32 v4, 16, v68
	v_cvt_f32_f16_e32 v5, v18
	s_delay_alu instid0(VALU_DEP_4)
	v_lshl_add_u32 v8, v0, 8, v97
	v_cvt_f32_f16_e32 v12, v68
	v_cvt_f32_f16_e32 v1, v1
	v_cvt_f32_f16_e32 v4, v4
	v_lshrrev_b32_e32 v14, 16, v17
	v_lshlrev_b64_e32 v[10:11], 2, v[8:9]
	s_delay_alu instid0(VALU_DEP_4)
	v_dual_mul_f32 v7, v2, v1 :: v_dual_add_nc_u32 v8, 0x80, v8
	v_lshrrev_b32_e32 v1, 16, v16
	v_mul_f32_e32 v6, v2, v5
	v_mul_f32_e32 v5, v2, v4
	;; [unrolled: 1-line block ×3, first 2 shown]
	v_add_co_u32 v12, vcc_lo, s16, v10
	v_cvt_f32_f16_e32 v10, v16
	v_cvt_f32_f16_e32 v16, v14
	v_lshlrev_b64_e32 v[14:15], 2, v[8:9]
	v_cvt_f32_f16_e32 v1, v1
	v_cvt_f32_f16_e32 v17, v17
	s_wait_alu 0xfffd
	v_add_co_ci_u32_e64 v13, null, s17, v11, vcc_lo
	v_mul_f32_e32 v10, v2, v10
	v_mul_f32_e32 v11, v2, v1
	v_add_co_u32 v1, vcc_lo, s16, v14
	v_mul_f32_e32 v9, v2, v16
	v_mul_f32_e32 v8, v2, v17
	s_wait_alu 0xfffd
	v_add_co_ci_u32_e64 v2, null, s17, v15, vcc_lo
	s_clause 0x1
	global_store_b128 v[12:13], v[4:7], off
	global_store_b128 v[1:2], v[8:11], off
	s_and_b32 exec_lo, exec_lo, s0
	s_cbranch_execz .LBB66_22
; %bb.31:
	v_ashrrev_i32_e32 v1, 31, v0
	v_mov_b32_e32 v2, v96
	s_delay_alu instid0(VALU_DEP_2) | instskip(NEXT) | instid1(VALU_DEP_1)
	v_lshlrev_b64_e32 v[0:1], 3, v[0:1]
	v_add_co_u32 v0, vcc_lo, s18, v0
	s_wait_alu 0xfffd
	s_delay_alu instid0(VALU_DEP_2)
	v_add_co_ci_u32_e64 v1, null, s19, v1, vcc_lo
	global_store_b64 v[0:1], v[2:3], off
	s_nop 0
	s_sendmsg sendmsg(MSG_DEALLOC_VGPRS)
	s_endpgm
	.section	.rodata,"a",@progbits
	.p2align	6, 0x0
	.amdhsa_kernel _ZL15flash_attn_tileILi256ELi256ELi8ELi2ELb1EEvPKcS1_S1_S1_S1_PKiPfP15HIP_vector_typeIfLj2EEffffjfiS5_IjLj3EEiiiiiiiiiiiliiliiiiil
		.amdhsa_group_segment_fixed_size 26112
		.amdhsa_private_segment_fixed_size 0
		.amdhsa_kernarg_size 464
		.amdhsa_user_sgpr_count 2
		.amdhsa_user_sgpr_dispatch_ptr 0
		.amdhsa_user_sgpr_queue_ptr 0
		.amdhsa_user_sgpr_kernarg_segment_ptr 1
		.amdhsa_user_sgpr_dispatch_id 0
		.amdhsa_user_sgpr_private_segment_size 0
		.amdhsa_wavefront_size32 1
		.amdhsa_uses_dynamic_stack 0
		.amdhsa_enable_private_segment 0
		.amdhsa_system_sgpr_workgroup_id_x 1
		.amdhsa_system_sgpr_workgroup_id_y 1
		.amdhsa_system_sgpr_workgroup_id_z 1
		.amdhsa_system_sgpr_workgroup_info 0
		.amdhsa_system_vgpr_workitem_id 1
		.amdhsa_next_free_vgpr 197
		.amdhsa_next_free_sgpr 42
		.amdhsa_reserve_vcc 1
		.amdhsa_float_round_mode_32 0
		.amdhsa_float_round_mode_16_64 0
		.amdhsa_float_denorm_mode_32 3
		.amdhsa_float_denorm_mode_16_64 3
		.amdhsa_fp16_overflow 0
		.amdhsa_workgroup_processor_mode 1
		.amdhsa_memory_ordered 1
		.amdhsa_forward_progress 1
		.amdhsa_inst_pref_size 82
		.amdhsa_round_robin_scheduling 0
		.amdhsa_exception_fp_ieee_invalid_op 0
		.amdhsa_exception_fp_denorm_src 0
		.amdhsa_exception_fp_ieee_div_zero 0
		.amdhsa_exception_fp_ieee_overflow 0
		.amdhsa_exception_fp_ieee_underflow 0
		.amdhsa_exception_fp_ieee_inexact 0
		.amdhsa_exception_int_div_zero 0
	.end_amdhsa_kernel
	.section	.text._ZL15flash_attn_tileILi256ELi256ELi8ELi2ELb1EEvPKcS1_S1_S1_S1_PKiPfP15HIP_vector_typeIfLj2EEffffjfiS5_IjLj3EEiiiiiiiiiiiliiliiiiil,"axG",@progbits,_ZL15flash_attn_tileILi256ELi256ELi8ELi2ELb1EEvPKcS1_S1_S1_S1_PKiPfP15HIP_vector_typeIfLj2EEffffjfiS5_IjLj3EEiiiiiiiiiiiliiliiiiil,comdat
.Lfunc_end66:
	.size	_ZL15flash_attn_tileILi256ELi256ELi8ELi2ELb1EEvPKcS1_S1_S1_S1_PKiPfP15HIP_vector_typeIfLj2EEffffjfiS5_IjLj3EEiiiiiiiiiiiliiliiiiil, .Lfunc_end66-_ZL15flash_attn_tileILi256ELi256ELi8ELi2ELb1EEvPKcS1_S1_S1_S1_PKiPfP15HIP_vector_typeIfLj2EEffffjfiS5_IjLj3EEiiiiiiiiiiiliiliiiiil
                                        ; -- End function
	.set _ZL15flash_attn_tileILi256ELi256ELi8ELi2ELb1EEvPKcS1_S1_S1_S1_PKiPfP15HIP_vector_typeIfLj2EEffffjfiS5_IjLj3EEiiiiiiiiiiiliiliiiiil.num_vgpr, 197
	.set _ZL15flash_attn_tileILi256ELi256ELi8ELi2ELb1EEvPKcS1_S1_S1_S1_PKiPfP15HIP_vector_typeIfLj2EEffffjfiS5_IjLj3EEiiiiiiiiiiiliiliiiiil.num_agpr, 0
	.set _ZL15flash_attn_tileILi256ELi256ELi8ELi2ELb1EEvPKcS1_S1_S1_S1_PKiPfP15HIP_vector_typeIfLj2EEffffjfiS5_IjLj3EEiiiiiiiiiiiliiliiiiil.numbered_sgpr, 42
	.set _ZL15flash_attn_tileILi256ELi256ELi8ELi2ELb1EEvPKcS1_S1_S1_S1_PKiPfP15HIP_vector_typeIfLj2EEffffjfiS5_IjLj3EEiiiiiiiiiiiliiliiiiil.num_named_barrier, 0
	.set _ZL15flash_attn_tileILi256ELi256ELi8ELi2ELb1EEvPKcS1_S1_S1_S1_PKiPfP15HIP_vector_typeIfLj2EEffffjfiS5_IjLj3EEiiiiiiiiiiiliiliiiiil.private_seg_size, 0
	.set _ZL15flash_attn_tileILi256ELi256ELi8ELi2ELb1EEvPKcS1_S1_S1_S1_PKiPfP15HIP_vector_typeIfLj2EEffffjfiS5_IjLj3EEiiiiiiiiiiiliiliiiiil.uses_vcc, 1
	.set _ZL15flash_attn_tileILi256ELi256ELi8ELi2ELb1EEvPKcS1_S1_S1_S1_PKiPfP15HIP_vector_typeIfLj2EEffffjfiS5_IjLj3EEiiiiiiiiiiiliiliiiiil.uses_flat_scratch, 0
	.set _ZL15flash_attn_tileILi256ELi256ELi8ELi2ELb1EEvPKcS1_S1_S1_S1_PKiPfP15HIP_vector_typeIfLj2EEffffjfiS5_IjLj3EEiiiiiiiiiiiliiliiiiil.has_dyn_sized_stack, 0
	.set _ZL15flash_attn_tileILi256ELi256ELi8ELi2ELb1EEvPKcS1_S1_S1_S1_PKiPfP15HIP_vector_typeIfLj2EEffffjfiS5_IjLj3EEiiiiiiiiiiiliiliiiiil.has_recursion, 0
	.set _ZL15flash_attn_tileILi256ELi256ELi8ELi2ELb1EEvPKcS1_S1_S1_S1_PKiPfP15HIP_vector_typeIfLj2EEffffjfiS5_IjLj3EEiiiiiiiiiiiliiliiiiil.has_indirect_call, 0
	.section	.AMDGPU.csdata,"",@progbits
; Kernel info:
; codeLenInByte = 10424
; TotalNumSgprs: 44
; NumVgprs: 197
; ScratchSize: 0
; MemoryBound: 0
; FloatMode: 240
; IeeeMode: 1
; LDSByteSize: 26112 bytes/workgroup (compile time only)
; SGPRBlocks: 0
; VGPRBlocks: 24
; NumSGPRsForWavesPerEU: 44
; NumVGPRsForWavesPerEU: 197
; Occupancy: 7
; WaveLimiterHint : 1
; COMPUTE_PGM_RSRC2:SCRATCH_EN: 0
; COMPUTE_PGM_RSRC2:USER_SGPR: 2
; COMPUTE_PGM_RSRC2:TRAP_HANDLER: 0
; COMPUTE_PGM_RSRC2:TGID_X_EN: 1
; COMPUTE_PGM_RSRC2:TGID_Y_EN: 1
; COMPUTE_PGM_RSRC2:TGID_Z_EN: 1
; COMPUTE_PGM_RSRC2:TIDIG_COMP_CNT: 1
	.section	.text._ZL15flash_attn_tileILi256ELi256ELi4ELi2ELb1EEvPKcS1_S1_S1_S1_PKiPfP15HIP_vector_typeIfLj2EEffffjfiS5_IjLj3EEiiiiiiiiiiiliiliiiiil,"axG",@progbits,_ZL15flash_attn_tileILi256ELi256ELi4ELi2ELb1EEvPKcS1_S1_S1_S1_PKiPfP15HIP_vector_typeIfLj2EEffffjfiS5_IjLj3EEiiiiiiiiiiiliiliiiiil,comdat
	.globl	_ZL15flash_attn_tileILi256ELi256ELi4ELi2ELb1EEvPKcS1_S1_S1_S1_PKiPfP15HIP_vector_typeIfLj2EEffffjfiS5_IjLj3EEiiiiiiiiiiiliiliiiiil ; -- Begin function _ZL15flash_attn_tileILi256ELi256ELi4ELi2ELb1EEvPKcS1_S1_S1_S1_PKiPfP15HIP_vector_typeIfLj2EEffffjfiS5_IjLj3EEiiiiiiiiiiiliiliiiiil
	.p2align	8
	.type	_ZL15flash_attn_tileILi256ELi256ELi4ELi2ELb1EEvPKcS1_S1_S1_S1_PKiPfP15HIP_vector_typeIfLj2EEffffjfiS5_IjLj3EEiiiiiiiiiiiliiliiiiil,@function
_ZL15flash_attn_tileILi256ELi256ELi4ELi2ELb1EEvPKcS1_S1_S1_S1_PKiPfP15HIP_vector_typeIfLj2EEffffjfiS5_IjLj3EEiiiiiiiiiiiliiliiiiil: ; @_ZL15flash_attn_tileILi256ELi256ELi4ELi2ELb1EEvPKcS1_S1_S1_S1_PKiPfP15HIP_vector_typeIfLj2EEffffjfiS5_IjLj3EEiiiiiiiiiiiliiliiiiil
; %bb.0:
	s_clause 0x1
	s_load_b128 s[20:23], s[0:1], 0x5c
	s_load_b64 s[30:31], s[0:1], 0x80
	s_lshr_b32 s5, ttmp7, 16
	s_load_b64 s[38:39], s[0:1], 0xb8
	s_mov_b32 s37, 0
	s_mov_b64 s[34:35], 0
	s_wait_kmcnt 0x0
	s_lshr_b32 s2, s23, 31
	s_delay_alu instid0(SALU_CYCLE_1) | instskip(NEXT) | instid1(SALU_CYCLE_1)
	s_add_co_i32 s2, s23, s2
	s_ashr_i32 s2, s2, 1
	s_delay_alu instid0(SALU_CYCLE_1) | instskip(SKIP_1) | instid1(SALU_CYCLE_2)
	s_cvt_f32_u32 s3, s2
	s_sub_co_i32 s4, 0, s2
	v_rcp_iflag_f32_e32 v1, s3
	s_delay_alu instid0(TRANS32_DEP_1) | instskip(SKIP_2) | instid1(SALU_CYCLE_2)
	v_readfirstlane_b32 s3, v1
	s_mul_f32 s3, s3, 0x4f7ffffe
	s_wait_alu 0xfffe
	s_cvt_u32_f32 s3, s3
	s_wait_alu 0xfffe
	s_delay_alu instid0(SALU_CYCLE_2) | instskip(NEXT) | instid1(SALU_CYCLE_1)
	s_mul_i32 s4, s4, s3
	s_mul_hi_u32 s4, s3, s4
	s_delay_alu instid0(SALU_CYCLE_1)
	s_add_co_i32 s3, s3, s4
	s_wait_alu 0xfffe
	s_mul_hi_u32 s3, s5, s3
	s_wait_alu 0xfffe
	s_mul_i32 s4, s3, s2
	s_add_co_i32 s6, s3, 1
	s_sub_co_i32 s4, s5, s4
	s_delay_alu instid0(SALU_CYCLE_1)
	s_sub_co_i32 s7, s4, s2
	s_cmp_ge_u32 s4, s2
	s_cselect_b32 s3, s6, s3
	s_cselect_b32 s4, s7, s4
	s_wait_alu 0xfffe
	s_add_co_i32 s6, s3, 1
	s_cmp_ge_u32 s4, s2
	s_cselect_b32 s2, s6, s3
	s_abs_i32 s3, s31
	s_abs_i32 s8, s23
	s_wait_alu 0xfffe
	s_cvt_f32_u32 s4, s3
	s_sub_co_i32 s6, 0, s3
	s_lshl_b32 s5, s5, 1
	s_mul_i32 s7, s2, s23
	v_rcp_iflag_f32_e32 v1, s4
	s_sub_co_i32 s28, s5, s7
	s_xor_b32 s5, s23, s31
	s_wait_alu 0xfffe
	s_ashr_i32 s24, s5, 31
	s_delay_alu instid0(TRANS32_DEP_1) | instskip(SKIP_2) | instid1(SALU_CYCLE_2)
	v_readfirstlane_b32 s4, v1
	s_mul_f32 s4, s4, 0x4f7ffffe
	s_wait_alu 0xfffe
	s_cvt_u32_f32 s4, s4
	s_wait_alu 0xfffe
	s_delay_alu instid0(SALU_CYCLE_2) | instskip(NEXT) | instid1(SALU_CYCLE_1)
	s_mul_i32 s6, s6, s4
	s_mul_hi_u32 s6, s4, s6
	s_delay_alu instid0(SALU_CYCLE_1) | instskip(SKIP_4) | instid1(SALU_CYCLE_1)
	s_add_co_i32 s4, s4, s6
	s_wait_alu 0xfffe
	s_mul_hi_u32 s4, s8, s4
	s_wait_alu 0xfffe
	s_mul_i32 s6, s4, s3
	s_sub_co_i32 s5, s8, s6
	s_add_co_i32 s6, s4, 1
	s_wait_alu 0xfffe
	s_sub_co_i32 s7, s5, s3
	s_cmp_ge_u32 s5, s3
	s_cselect_b32 s4, s6, s4
	s_cselect_b32 s5, s7, s5
	s_wait_alu 0xfffe
	s_add_co_i32 s6, s4, 1
	s_cmp_ge_u32 s5, s3
	s_cselect_b32 s3, s6, s4
	s_load_b512 s[4:19], s[0:1], 0x0
	s_xor_b32 s3, s3, s24
	s_wait_alu 0xfffe
	s_sub_co_i32 s31, s3, s24
	s_delay_alu instid0(SALU_CYCLE_1) | instskip(NEXT) | instid1(SALU_CYCLE_1)
	s_abs_i32 s29, s31
	s_cvt_f32_u32 s3, s29
	s_wait_alu 0xfffe
	s_delay_alu instid0(SALU_CYCLE_2) | instskip(SKIP_2) | instid1(TRANS32_DEP_1)
	v_rcp_iflag_f32_e32 v1, s3
	s_wait_kmcnt 0x0
	s_cmp_eq_u64 s[10:11], 0
	v_readfirstlane_b32 s27, v1
	s_cbranch_scc1 .LBB67_2
; %bb.1:
	s_abs_i32 s3, s38
	s_wait_alu 0xfffe
	s_cvt_f32_u32 s24, s3
	s_delay_alu instid0(SALU_CYCLE_3) | instskip(NEXT) | instid1(TRANS32_DEP_1)
	v_rcp_iflag_f32_e32 v1, s24
	v_readfirstlane_b32 s24, v1
	s_mul_f32 s24, s24, 0x4f7ffffe
	s_wait_alu 0xfffe
	s_delay_alu instid0(SALU_CYCLE_2) | instskip(SKIP_2) | instid1(SALU_CYCLE_1)
	s_cvt_u32_f32 s26, s24
	s_sub_co_i32 s24, 0, s3
	s_wait_alu 0xfffe
	s_mul_i32 s24, s24, s26
	s_wait_alu 0xfffe
	s_mul_hi_u32 s33, s26, s24
	s_load_b64 s[24:25], s[0:1], 0xc8
	s_add_co_i32 s26, s26, s33
	s_delay_alu instid0(SALU_CYCLE_1) | instskip(NEXT) | instid1(SALU_CYCLE_1)
	s_mul_hi_u32 s26, s2, s26
	s_mul_i32 s26, s26, s3
	s_delay_alu instid0(SALU_CYCLE_1) | instskip(NEXT) | instid1(SALU_CYCLE_1)
	s_sub_co_i32 s26, s2, s26
	s_sub_co_i32 s33, s26, s3
	s_cmp_ge_u32 s26, s3
	s_cselect_b32 s26, s33, s26
	s_delay_alu instid0(SALU_CYCLE_1) | instskip(SKIP_2) | instid1(SALU_CYCLE_1)
	s_sub_co_i32 s33, s26, s3
	s_cmp_ge_u32 s26, s3
	s_cselect_b32 s34, s33, s26
	s_ashr_i32 s35, s34, 31
	s_wait_kmcnt 0x0
	s_mul_u64 s[24:25], s[24:25], s[34:35]
	s_wait_alu 0xfffe
	s_add_nc_u64 s[34:35], s[10:11], s[24:25]
.LBB67_2:
	v_bfe_u32 v4, v0, 10, 10
	s_load_b96 s[24:26], s[0:1], 0x70
	v_and_b32_e32 v0, 0x3ff, v0
	s_delay_alu instid0(VALU_DEP_2) | instskip(SKIP_1) | instid1(VALU_DEP_3)
	v_lshl_add_u32 v1, ttmp9, 2, v4
	v_lshl_add_u32 v38, v4, 10, 0x4200
	v_lshlrev_b32_e32 v39, 3, v0
	s_delay_alu instid0(VALU_DEP_3) | instskip(NEXT) | instid1(VALU_DEP_1)
	v_mul_hi_u32 v2, s20, v1
	v_add_nc_u32_e32 v2, v1, v2
	s_wait_kmcnt 0x0
	s_ashr_i32 s11, s24, 31
	s_mov_b32 s10, s24
	s_delay_alu instid0(VALU_DEP_1) | instskip(SKIP_3) | instid1(SALU_CYCLE_1)
	v_lshrrev_b32_e32 v2, s21, v2
	s_lshr_b64 s[20:21], s[10:11], 2
	s_lshr_b32 s3, s11, 2
	s_mul_i32 s10, s2, s26
	s_ashr_i32 s11, s10, 31
	v_mul_lo_u32 v2, v2, s22
	s_add_nc_u64 s[4:5], s[4:5], s[10:11]
	s_delay_alu instid0(VALU_DEP_1) | instskip(SKIP_1) | instid1(VALU_DEP_1)
	v_sub_nc_u32_e32 v2, v1, v2
	s_wait_alu 0xfffe
	v_mad_co_u64_u32 v[5:6], null, s20, v2, 0
	s_mul_i32 s20, s28, s25
	s_wait_alu 0xfffe
	s_ashr_i32 s21, s20, 31
	s_wait_alu 0xfffe
	s_add_nc_u64 s[4:5], s[4:5], s[20:21]
	v_mov_b32_e32 v3, v6
	s_delay_alu instid0(VALU_DEP_1) | instskip(SKIP_2) | instid1(VALU_DEP_2)
	v_mad_co_u64_u32 v[6:7], null, s3, v2, v[3:4]
	v_lshlrev_b32_e32 v3, 4, v0
	s_ashr_i32 s3, s25, 31
	v_lshlrev_b64_e32 v[5:6], 2, v[5:6]
	s_wait_alu 0xfffe
	s_delay_alu instid0(VALU_DEP_1) | instskip(NEXT) | instid1(VALU_DEP_1)
	v_add_co_u32 v5, vcc_lo, s4, v5
	v_add_co_ci_u32_e64 v6, null, s5, v6, vcc_lo
	s_and_b32 s4, s25, -4
	v_add_co_u32 v13, vcc_lo, v5, v3
	s_wait_alu 0xfffd
	v_add_co_ci_u32_e64 v14, null, 0, v6, vcc_lo
	v_add_nc_u32_e32 v3, v38, v39
	s_wait_alu 0xfffe
	v_add_co_u32 v17, vcc_lo, v13, s4
	s_clause 0x1
	global_load_b128 v[5:8], v[13:14], off
	global_load_b128 v[9:12], v[13:14], off offset:512
	s_wait_alu 0xfffd
	v_add_co_ci_u32_e64 v18, null, s3, v14, vcc_lo
	s_load_b32 s3, s[0:1], 0x40
	s_clause 0x1
	global_load_b128 v[13:16], v[17:18], off
	global_load_b128 v[17:20], v[17:18], off offset:512
	s_cmp_eq_u64 s[14:15], 0
	s_wait_loadcnt 0x3
	s_wait_kmcnt 0x0
	v_fma_mixlo_f16 v5, s3, v5, 0
	v_fma_mixlo_f16 v6, s3, v6, 0
	;; [unrolled: 1-line block ×4, first 2 shown]
	s_wait_loadcnt 0x2
	v_fma_mixlo_f16 v9, s3, v9, 0
	v_fma_mixlo_f16 v10, s3, v10, 0
	;; [unrolled: 1-line block ×4, first 2 shown]
	v_lshlrev_b32_e32 v6, 16, v6
	v_and_b32_e32 v5, 0xffff, v5
	v_lshlrev_b32_e32 v8, 16, v8
	v_and_b32_e32 v7, 0xffff, v7
	;; [unrolled: 2-line block ×3, first 2 shown]
	s_wait_loadcnt 0x1
	v_fma_mixlo_f16 v13, s3, v13, 0
	v_fma_mixlo_f16 v14, s3, v14, 0
	s_wait_loadcnt 0x0
	v_fma_mixlo_f16 v17, s3, v17, 0
	v_fma_mixlo_f16 v18, s3, v18, 0
	v_lshlrev_b32_e32 v12, 16, v12
	v_and_b32_e32 v11, 0xffff, v11
	v_fma_mixlo_f16 v15, s3, v15, 0
	v_fma_mixlo_f16 v16, s3, v16, 0
	;; [unrolled: 1-line block ×4, first 2 shown]
	v_or_b32_e32 v5, v6, v5
	v_or3_b32 v6, v8, v7, 0
	v_or_b32_e32 v7, v10, v9
	v_lshlrev_b32_e32 v9, 16, v14
	v_and_b32_e32 v10, 0xffff, v13
	v_lshlrev_b32_e32 v13, 16, v18
	v_and_b32_e32 v14, 0xffff, v17
	v_or3_b32 v8, v12, v11, 0
	v_lshlrev_b32_e32 v11, 16, v16
	v_and_b32_e32 v12, 0xffff, v15
	v_lshlrev_b32_e32 v15, 16, v20
	v_and_b32_e32 v16, 0xffff, v19
	v_or_b32_e32 v9, v9, v10
	v_or_b32_e32 v13, v13, v14
	v_or3_b32 v5, 0, 0, v5
	v_or3_b32 v7, 0, 0, v7
	;; [unrolled: 1-line block ×6, first 2 shown]
	ds_store_2addr_b64 v3, v[5:6], v[7:8] offset1:32
	ds_store_2addr_b64 v3, v[9:10], v[11:12] offset0:64 offset1:96
	s_wait_dscnt 0x0
	s_barrier_signal -1
	s_barrier_wait -1
	global_inv scope:SCOPE_SE
	s_cbranch_scc1 .LBB67_4
; %bb.3:
	s_load_b32 s3, s[0:1], 0xd0
	s_mov_b32 s5, 0
	s_wait_kmcnt 0x0
	s_mul_i32 s3, s3, s2
	s_wait_alu 0xfffe
	s_add_co_i32 s4, s3, ttmp9
	s_wait_alu 0xfffe
	s_lshl_b64 s[4:5], s[4:5], 2
	s_wait_alu 0xfffe
	s_add_nc_u64 s[4:5], s[14:15], s[4:5]
	s_load_b32 s30, s[4:5], 0x0
.LBB67_4:
	s_and_b32 s4, ttmp7, 0xffff
	v_lshlrev_b32_e32 v37, 2, v0
	v_mbcnt_lo_u32_b32 v40, -1, 0
	s_wait_alu 0xfffe
	s_lshl_b32 s10, s4, 5
	s_wait_kmcnt 0x0
	s_cmp_lt_i32 s10, s30
	s_cbranch_scc1 .LBB67_7
; %bb.5:
	v_mbcnt_lo_u32_b32 v3, -1, 0
	v_mov_b32_e32 v42, 32
	s_delay_alu instid0(VALU_DEP_2)
	v_xor_b32_e32 v77, 16, v3
	v_xor_b32_e32 v73, 8, v3
	;; [unrolled: 1-line block ×5, first 2 shown]
	s_mov_b32 s3, 0
	s_cbranch_execz .LBB67_8
; %bb.6:
	v_dual_mov_b32 v63, 0 :: v_dual_mov_b32 v78, 0
	v_dual_mov_b32 v36, 0xfeffffff :: v_dual_mov_b32 v35, 0xfeffffff
	;; [unrolled: 1-line block ×6, first 2 shown]
	s_branch .LBB67_20
.LBB67_7:
                                        ; implicit-def: $vgpr3
                                        ; implicit-def: $vgpr42
                                        ; implicit-def: $vgpr77
                                        ; implicit-def: $vgpr73
                                        ; implicit-def: $vgpr74
                                        ; implicit-def: $vgpr75
                                        ; implicit-def: $vgpr76
	s_mov_b32 s3, 0
.LBB67_8:
	s_mul_f32 s5, s27, 0x4f7ffffe
	s_clause 0x1
	s_load_b128 s[24:27], s[0:1], 0x98
	s_load_b64 s[40:41], s[0:1], 0x8c
	s_sub_co_i32 s14, 0, s29
	s_abs_i32 s36, s28
	s_cvt_u32_f32 s11, s5
	s_load_b32 s5, s[0:1], 0x54
	s_mov_b32 s15, s37
	s_ashr_i32 s20, s28, 31
	s_mul_i32 s14, s14, s11
	v_dual_mov_b32 v62, 0 :: v_dual_lshlrev_b32 v41, 2, v37
	s_mul_hi_u32 s14, s11, s14
	v_lshl_add_u32 v53, v4, 7, 0x5200
	s_add_co_i32 s14, s11, s14
	s_ashr_i32 s11, s31, 31
	s_ashr_i32 s31, s39, 1
	s_load_b64 s[38:39], s[0:1], 0xa8
	s_mul_u64 s[14:15], s[36:37], s[14:15]
	s_xor_b32 s11, s20, s11
	s_mul_i32 s20, s15, s29
	s_add_co_i32 s21, s15, 1
	s_wait_alu 0xfffe
	s_sub_co_i32 s33, s36, s20
	s_wait_kmcnt 0x0
	s_ashr_i32 s14, s26, 2
	s_ashr_i32 s20, s40, 2
	s_sub_co_i32 s36, s33, s29
	s_cmp_ge_u32 s33, s29
	s_wait_alu 0xfffe
	v_mul_lo_u32 v5, s20, v4
	v_mul_lo_u32 v19, s14, v4
	s_cselect_b32 s15, s21, s15
	s_cselect_b32 s21, s36, s33
	s_wait_alu 0xfffe
	s_add_co_i32 s33, s15, 1
	s_cmp_ge_u32 s21, s29
	s_mul_u64 s[24:25], s[24:25], s[2:3]
	s_cselect_b32 s15, s33, s15
	s_and_b32 s29, s40, -4
	s_delay_alu instid0(SALU_CYCLE_1)
	v_dual_mov_b32 v42, 32 :: v_dual_add_nc_u32 v7, s29, v5
	s_mul_u64 s[36:37], s[38:39], s[2:3]
	s_and_b32 s3, s26, -4
	s_wait_alu 0xfffe
	v_dual_mov_b32 v64, 0 :: v_dual_add_nc_u32 v21, s3, v19
	v_dual_mov_b32 v66, 0 :: v_dual_add_nc_u32 v9, s29, v7
	v_ashrrev_i32_e32 v6, 31, v5
	v_ashrrev_i32_e32 v8, 31, v7
	s_delay_alu instid0(VALU_DEP_4) | instskip(NEXT) | instid1(VALU_DEP_4)
	v_add_nc_u32_e32 v23, s3, v21
	v_dual_mov_b32 v68, 0 :: v_dual_add_nc_u32 v11, s29, v9
	v_ashrrev_i32_e32 v10, 31, v9
	v_ashrrev_i32_e32 v20, 31, v19
	s_delay_alu instid0(VALU_DEP_4) | instskip(NEXT) | instid1(VALU_DEP_4)
	v_add_nc_u32_e32 v27, s3, v23
	;; [unrolled: 5-line block ×3, first 2 shown]
	v_add_nc_u32_e32 v15, s29, v13
	v_ashrrev_i32_e32 v14, 31, v13
	v_ashrrev_i32_e32 v24, 31, v23
	;; [unrolled: 1-line block ×3, first 2 shown]
	v_add_nc_u32_e32 v31, s3, v29
	v_add_nc_u32_e32 v17, s29, v15
	v_ashrrev_i32_e32 v16, 31, v15
	v_ashrrev_i32_e32 v30, 31, v29
	s_xor_b32 s15, s15, s11
	v_add_nc_u32_e32 v33, s3, v31
	v_add_nc_u32_e32 v25, s29, v17
	v_ashrrev_i32_e32 v18, 31, v17
	v_ashrrev_i32_e32 v32, 31, v31
	v_mad_u32_u24 v43, 0x210, v4, v41
	v_add_nc_u32_e32 v35, s3, v33
	v_ashrrev_i32_e32 v26, 31, v25
	v_ashrrev_i32_e32 v34, 31, v33
	v_lshl_add_u32 v52, v4, 9, v41
	s_wait_alu 0xfffe
	s_sub_co_i32 s11, s15, s11
	v_ashrrev_i32_e32 v36, 31, v35
	v_mad_co_u64_u32 v[2:3], null, v2, s31, v[0:1]
	s_mul_i32 s38, s11, s41
	s_add_nc_u64 s[6:7], s[6:7], s[24:25]
	s_mul_i32 s24, s11, s27
	v_lshlrev_b64_e32 v[3:4], 2, v[5:6]
	v_lshlrev_b64_e32 v[5:6], 2, v[7:8]
	;; [unrolled: 1-line block ×16, first 2 shown]
	v_dual_mov_b32 v69, 0 :: v_dual_add_nc_u32 v44, 0x840, v43
	v_dual_mov_b32 v70, 0 :: v_dual_add_nc_u32 v45, 0x1080, v43
	;; [unrolled: 1-line block ×3, first 2 shown]
	v_add_nc_u32_e32 v47, 0x2100, v43
	v_dual_mov_b32 v55, 0 :: v_dual_add_nc_u32 v48, 0x2940, v43
	v_add_nc_u32_e32 v49, 0x3180, v43
	v_dual_mov_b32 v67, 0 :: v_dual_add_nc_u32 v50, 0x39c0, v43
	v_mul_u32_u24_e32 v51, 0x210, v0
	v_dual_mov_b32 v63, 0 :: v_dual_add_nc_u32 v54, 0x800, v52
	v_add_nc_u32_e32 v56, 0x1000, v52
	v_add_nc_u32_e32 v57, 0x1800, v52
	;; [unrolled: 1-line block ×6, first 2 shown]
	v_mov_b32_e32 v71, 0xfeffffff
	s_ashr_i32 s39, s38, 31
	s_add_nc_u64 s[8:9], s[8:9], s[36:37]
	s_wait_alu 0xfffe
	s_ashr_i32 s25, s24, 31
	s_add_nc_u64 s[6:7], s[6:7], s[38:39]
	s_wait_alu 0xfffe
	s_add_nc_u64 s[8:9], s[8:9], s[24:25]
	s_ashr_i32 s21, s20, 31
	s_ashr_i32 s15, s14, 31
	s_add_nc_u64 s[24:25], s[0:1], 0xd0
	s_mov_b32 s3, 0xbbbac73d
.LBB67_9:                               ; =>This Inner Loop Header: Depth=1
	s_ashr_i32 s11, s10, 31
	s_wait_alu 0xfffe
	s_mul_u64 s[26:27], s[10:11], s[20:21]
	s_wait_alu 0xfffe
	s_lshl_b64 s[26:27], s[26:27], 2
	s_wait_alu 0xfffe
	s_add_nc_u64 s[26:27], s[6:7], s[26:27]
	s_wait_alu 0xfffe
	v_add_co_u32 v35, vcc_lo, s26, v3
	s_wait_alu 0xfffd
	v_add_co_ci_u32_e64 v36, null, s27, v4, vcc_lo
	v_add_co_u32 v73, vcc_lo, s26, v5
	s_wait_alu 0xfffd
	v_add_co_ci_u32_e64 v74, null, s27, v6, vcc_lo
	;; [unrolled: 3-line block ×4, first 2 shown]
	s_clause 0x1
	global_load_b128 v[73:76], v[35:36], off
	global_load_b128 v[77:80], v[77:78], off
	v_add_co_u32 v35, vcc_lo, s26, v7
	s_wait_alu 0xfffd
	v_add_co_ci_u32_e64 v36, null, s27, v8, vcc_lo
	v_add_co_u32 v81, vcc_lo, s26, v9
	s_wait_alu 0xfffd
	v_add_co_ci_u32_e64 v82, null, s27, v10, vcc_lo
	;; [unrolled: 3-line block ×12, first 2 shown]
	s_clause 0x5
	global_load_b128 v[81:84], v[35:36], off
	global_load_b128 v[85:88], v[85:86], off
	global_load_b128 v[89:92], v[89:90], off
	global_load_b128 v[93:96], v[93:94], off
	global_load_b128 v[97:100], v[97:98], off
	global_load_b128 v[101:104], v[101:102], off
	v_dual_mov_b32 v36, 0 :: v_dual_mov_b32 v35, 0
	s_wait_loadcnt 0x7
	ds_store_b128 v43, v[73:76]
	s_wait_loadcnt 0x6
	ds_store_b128 v44, v[77:80]
	;; [unrolled: 2-line block ×8, first 2 shown]
	s_wait_dscnt 0x0
	s_barrier_signal -1
	s_barrier_wait -1
	global_inv scope:SCOPE_SE
	ds_load_b128 v[73:76], v51
	ds_load_b128 v[77:80], v38
	ds_load_b128 v[81:84], v38 offset:512
	s_wait_dscnt 0x1
	;;#ASMSTART
	v_dot2_f32_f16 v36, v73, v77, v36
	;;#ASMEND
	;;#ASMSTART
	v_dot2_f32_f16 v36, v74, v78, v36
	;;#ASMEND
	;;#ASMSTART
	v_dot2_f32_f16 v36, v75, v79, v36
	;;#ASMEND
	;;#ASMSTART
	v_dot2_f32_f16 v36, v76, v80, v36
	;;#ASMEND
	s_wait_dscnt 0x0
	;;#ASMSTART
	v_dot2_f32_f16 v35, v73, v81, v35
	;;#ASMEND
	;;#ASMSTART
	v_dot2_f32_f16 v35, v74, v82, v35
	;;#ASMEND
	;;#ASMSTART
	v_dot2_f32_f16 v35, v75, v83, v35
	;;#ASMEND
	;;#ASMSTART
	v_dot2_f32_f16 v35, v76, v84, v35
	;;#ASMEND
	ds_load_b128 v[73:76], v51 offset:16
	ds_load_b128 v[77:80], v38 offset:16
	ds_load_b128 v[81:84], v38 offset:528
	s_wait_dscnt 0x1
	;;#ASMSTART
	v_dot2_f32_f16 v36, v73, v77, v36
	;;#ASMEND
	;;#ASMSTART
	v_dot2_f32_f16 v36, v74, v78, v36
	;;#ASMEND
	;;#ASMSTART
	v_dot2_f32_f16 v36, v75, v79, v36
	;;#ASMEND
	;;#ASMSTART
	v_dot2_f32_f16 v36, v76, v80, v36
	;;#ASMEND
	s_wait_dscnt 0x0
	;;#ASMSTART
	v_dot2_f32_f16 v35, v73, v81, v35
	;;#ASMEND
	;;#ASMSTART
	v_dot2_f32_f16 v35, v74, v82, v35
	;;#ASMEND
	;;#ASMSTART
	v_dot2_f32_f16 v35, v75, v83, v35
	;;#ASMEND
	;;#ASMSTART
	v_dot2_f32_f16 v35, v76, v84, v35
	;;#ASMEND
	ds_load_b128 v[73:76], v51 offset:32
	ds_load_b128 v[77:80], v38 offset:32
	;; [unrolled: 29-line block ×31, first 2 shown]
	v_add_nc_u32_e32 v85, s10, v2
	ds_load_b128 v[81:84], v38 offset:1008
	s_wait_dscnt 0x1
	;;#ASMSTART
	v_dot2_f32_f16 v36, v73, v77, v36
	;;#ASMEND
	v_ashrrev_i32_e32 v86, 31, v85
	;;#ASMSTART
	v_dot2_f32_f16 v36, v74, v78, v36
	;;#ASMEND
	;;#ASMSTART
	v_dot2_f32_f16 v36, v75, v79, v36
	;;#ASMEND
	;; [unrolled: 3-line block ×3, first 2 shown]
	s_wait_dscnt 0x0
	;;#ASMSTART
	v_dot2_f32_f16 v35, v73, v81, v35
	;;#ASMEND
	v_lshlrev_b64_e32 v[85:86], 1, v[85:86]
	;;#ASMSTART
	v_dot2_f32_f16 v35, v74, v82, v35
	;;#ASMEND
	;;#ASMSTART
	v_dot2_f32_f16 v35, v75, v83, v35
	;;#ASMEND
	;; [unrolled: 3-line block ×3, first 2 shown]
	v_cmp_ngt_f32_e64 s26, 0x3f200000, |v36|
                                        ; implicit-def: $vgpr73
	s_delay_alu instid0(VALU_DEP_2)
	v_add_co_u32 v85, vcc_lo, s34, v85
	s_wait_alu 0xfffd
	v_add_co_ci_u32_e64 v86, null, s35, v86, vcc_lo
	global_load_u16 v78, v[85:86], off
	s_and_saveexec_b32 s27, s26
	s_wait_alu 0xfffe
	s_xor_b32 s26, exec_lo, s27
	s_cbranch_execz .LBB67_11
; %bb.10:                               ;   in Loop: Header=BB67_9 Depth=1
	v_add_f32_e64 v73, |v36|, |v36|
	s_delay_alu instid0(VALU_DEP_1) | instskip(SKIP_1) | instid1(VALU_DEP_2)
	v_mul_f32_e32 v74, 0x3fb8aa3b, v73
	v_cmp_ngt_f32_e32 vcc_lo, 0xc2ce8ed0, v73
	v_rndne_f32_e32 v75, v74
	v_fma_f32 v76, 0x3fb8aa3b, v73, -v74
	s_delay_alu instid0(VALU_DEP_2) | instskip(NEXT) | instid1(VALU_DEP_2)
	v_sub_f32_e32 v74, v74, v75
	v_fmac_f32_e32 v76, 0x32a5705f, v73
	v_cvt_i32_f32_e32 v75, v75
	s_delay_alu instid0(VALU_DEP_2) | instskip(NEXT) | instid1(VALU_DEP_1)
	v_add_f32_e32 v74, v74, v76
	v_exp_f32_e32 v74, v74
	s_delay_alu instid0(TRANS32_DEP_1) | instskip(SKIP_1) | instid1(VALU_DEP_1)
	v_ldexp_f32 v74, v74, v75
	s_wait_alu 0xfffd
	v_cndmask_b32_e32 v74, 0, v74, vcc_lo
	v_cmp_nlt_f32_e32 vcc_lo, 0x42b17218, v73
	s_wait_alu 0xfffd
	s_delay_alu instid0(VALU_DEP_2) | instskip(NEXT) | instid1(VALU_DEP_1)
	v_cndmask_b32_e32 v73, 0x7f800000, v74, vcc_lo
	v_add_f32_e32 v73, 1.0, v73
	s_delay_alu instid0(VALU_DEP_1) | instskip(NEXT) | instid1(TRANS32_DEP_1)
	v_rcp_f32_e32 v73, v73
	v_fma_f32 v73, v73, -2.0, 1.0
.LBB67_11:                              ;   in Loop: Header=BB67_9 Depth=1
	s_wait_alu 0xfffe
	s_and_not1_saveexec_b32 s26, s26
	s_cbranch_execz .LBB67_13
; %bb.12:                               ;   in Loop: Header=BB67_9 Depth=1
	v_mul_f32_e32 v73, v36, v36
	s_delay_alu instid0(VALU_DEP_1) | instskip(NEXT) | instid1(VALU_DEP_1)
	v_fmaak_f32 v74, s3, v73, 0x3ca908c9
	v_fmaak_f32 v74, v73, v74, 0xbd5c1c4e
	s_delay_alu instid0(VALU_DEP_1) | instskip(NEXT) | instid1(VALU_DEP_1)
	v_fmaak_f32 v74, v73, v74, 0x3e088382
	v_fmaak_f32 v74, v73, v74, 0xbeaaaa99
	s_delay_alu instid0(VALU_DEP_1) | instskip(NEXT) | instid1(VALU_DEP_1)
	v_mul_f32_e64 v74, |v36|, v74
	v_fma_f32 v73, v73, v74, |v36|
.LBB67_13:                              ;   in Loop: Header=BB67_9 Depth=1
	s_wait_alu 0xfffe
	s_or_b32 exec_lo, exec_lo, s26
	v_xor_b32_e32 v77, 16, v40
	s_delay_alu instid0(VALU_DEP_2) | instskip(SKIP_1) | instid1(VALU_DEP_3)
	v_bfi_b32 v36, 0x7fffffff, v73, v36
	v_cmp_ngt_f32_e64 s26, 0x3f200000, |v35|
	v_cmp_gt_i32_e32 vcc_lo, 32, v77
	s_wait_loadcnt 0x0
	s_delay_alu instid0(VALU_DEP_3) | instskip(SKIP_1) | instid1(VALU_DEP_1)
	v_fma_mix_f32 v36, s5, v36, v78 op_sel_hi:[0,0,1]
	s_wait_alu 0xfffd
	v_dual_cndmask_b32 v73, v40, v77 :: v_dual_add_f32 v74, 0x40051340, v36
	s_delay_alu instid0(VALU_DEP_1) | instskip(SKIP_1) | instid1(VALU_DEP_1)
	v_lshlrev_b32_e32 v79, 2, v73
	v_xor_b32_e32 v73, 8, v40
	v_cmp_gt_i32_e32 vcc_lo, 32, v73
	s_wait_alu 0xfffd
	v_dual_max_num_f32 v75, v71, v71 :: v_dual_cndmask_b32 v76, v40, v73
	s_delay_alu instid0(VALU_DEP_1) | instskip(NEXT) | instid1(VALU_DEP_2)
	v_max_num_f32_e32 v74, v75, v74
	v_lshlrev_b32_e32 v80, 2, v76
	ds_bpermute_b32 v75, v79, v74
	s_wait_dscnt 0x0
	v_max_num_f32_e32 v75, v75, v75
	s_delay_alu instid0(VALU_DEP_1)
	v_max_num_f32_e32 v75, v74, v75
	v_xor_b32_e32 v74, 4, v40
	ds_bpermute_b32 v76, v80, v75
	v_cmp_gt_i32_e32 vcc_lo, 32, v74
	s_wait_dscnt 0x0
	v_max_num_f32_e32 v76, v76, v76
	s_wait_alu 0xfffd
	s_delay_alu instid0(VALU_DEP_1) | instskip(NEXT) | instid1(VALU_DEP_1)
	v_dual_cndmask_b32 v81, v40, v74 :: v_dual_max_num_f32 v76, v75, v76
	v_lshlrev_b32_e32 v81, 2, v81
	v_xor_b32_e32 v75, 2, v40
	ds_bpermute_b32 v82, v81, v76
	v_cmp_gt_i32_e32 vcc_lo, 32, v75
	s_wait_dscnt 0x0
	s_wait_alu 0xfffd
	v_dual_cndmask_b32 v83, v40, v75 :: v_dual_max_num_f32 v84, v82, v82
	s_delay_alu instid0(VALU_DEP_1)
	v_dual_max_num_f32 v83, v76, v84 :: v_dual_lshlrev_b32 v82, 2, v83
	v_xor_b32_e32 v76, 1, v40
	ds_bpermute_b32 v84, v82, v83
	v_cmp_gt_i32_e32 vcc_lo, 32, v76
	s_wait_alu 0xfffd
	v_cndmask_b32_e32 v85, v40, v76, vcc_lo
	s_wait_dscnt 0x0
	v_max_num_f32_e32 v86, v84, v84
	s_delay_alu instid0(VALU_DEP_1)
	v_dual_max_num_f32 v83, v83, v86 :: v_dual_lshlrev_b32 v84, 2, v85
                                        ; implicit-def: $vgpr86
	ds_bpermute_b32 v85, v84, v83
	s_and_saveexec_b32 s27, s26
	s_wait_alu 0xfffe
	s_xor_b32 s26, exec_lo, s27
	s_cbranch_execz .LBB67_15
; %bb.14:                               ;   in Loop: Header=BB67_9 Depth=1
	v_add_f32_e64 v86, |v35|, |v35|
	s_delay_alu instid0(VALU_DEP_1) | instskip(SKIP_1) | instid1(VALU_DEP_2)
	v_mul_f32_e32 v87, 0x3fb8aa3b, v86
	v_cmp_ngt_f32_e32 vcc_lo, 0xc2ce8ed0, v86
	v_rndne_f32_e32 v88, v87
	v_fma_f32 v89, 0x3fb8aa3b, v86, -v87
	s_delay_alu instid0(VALU_DEP_2) | instskip(NEXT) | instid1(VALU_DEP_2)
	v_sub_f32_e32 v87, v87, v88
	v_fmac_f32_e32 v89, 0x32a5705f, v86
	v_cvt_i32_f32_e32 v88, v88
	s_delay_alu instid0(VALU_DEP_2) | instskip(NEXT) | instid1(VALU_DEP_1)
	v_add_f32_e32 v87, v87, v89
	v_exp_f32_e32 v87, v87
	s_delay_alu instid0(TRANS32_DEP_1) | instskip(SKIP_1) | instid1(VALU_DEP_1)
	v_ldexp_f32 v87, v87, v88
	s_wait_alu 0xfffd
	v_cndmask_b32_e32 v87, 0, v87, vcc_lo
	v_cmp_nlt_f32_e32 vcc_lo, 0x42b17218, v86
	s_wait_alu 0xfffd
	s_delay_alu instid0(VALU_DEP_2) | instskip(NEXT) | instid1(VALU_DEP_1)
	v_cndmask_b32_e32 v86, 0x7f800000, v87, vcc_lo
	v_add_f32_e32 v86, 1.0, v86
	s_delay_alu instid0(VALU_DEP_1) | instskip(NEXT) | instid1(TRANS32_DEP_1)
	v_rcp_f32_e32 v86, v86
	v_fma_f32 v86, v86, -2.0, 1.0
.LBB67_15:                              ;   in Loop: Header=BB67_9 Depth=1
	s_wait_alu 0xfffe
	s_and_not1_saveexec_b32 s26, s26
	s_cbranch_execz .LBB67_17
; %bb.16:                               ;   in Loop: Header=BB67_9 Depth=1
	v_mul_f32_e32 v86, v35, v35
	s_delay_alu instid0(VALU_DEP_1) | instskip(NEXT) | instid1(VALU_DEP_1)
	v_fmaak_f32 v87, s3, v86, 0x3ca908c9
	v_fmaak_f32 v87, v86, v87, 0xbd5c1c4e
	s_delay_alu instid0(VALU_DEP_1) | instskip(NEXT) | instid1(VALU_DEP_1)
	v_fmaak_f32 v87, v86, v87, 0x3e088382
	v_fmaak_f32 v87, v86, v87, 0xbeaaaa99
	s_delay_alu instid0(VALU_DEP_1) | instskip(NEXT) | instid1(VALU_DEP_1)
	v_mul_f32_e64 v87, |v35|, v87
	v_fma_f32 v86, v86, v87, |v35|
.LBB67_17:                              ;   in Loop: Header=BB67_9 Depth=1
	s_wait_alu 0xfffe
	s_or_b32 exec_lo, exec_lo, s26
	s_mul_u64 s[26:27], s[10:11], s[14:15]
	s_wait_dscnt 0x0
	s_wait_alu 0xfffe
	s_lshl_b64 s[26:27], s[26:27], 2
	s_barrier_signal -1
	s_wait_alu 0xfffe
	s_add_nc_u64 s[26:27], s[8:9], s[26:27]
	s_barrier_wait -1
	s_wait_alu 0xfffe
	v_add_co_u32 v87, vcc_lo, s26, v19
	s_wait_alu 0xfffd
	v_add_co_ci_u32_e64 v88, null, s27, v20, vcc_lo
	v_add_co_u32 v89, vcc_lo, s26, v21
	s_wait_alu 0xfffd
	v_add_co_ci_u32_e64 v90, null, s27, v22, vcc_lo
	v_add_co_u32 v87, vcc_lo, v87, v41
	s_wait_alu 0xfffd
	v_add_co_ci_u32_e64 v88, null, 0, v88, vcc_lo
	v_add_co_u32 v91, vcc_lo, v89, v41
	s_wait_alu 0xfffd
	v_add_co_ci_u32_e64 v92, null, 0, v90, vcc_lo
	v_add_co_u32 v89, vcc_lo, s26, v23
	s_wait_alu 0xfffd
	v_add_co_ci_u32_e64 v90, null, s27, v24, vcc_lo
	v_add_co_u32 v93, vcc_lo, s26, v25
	s_wait_alu 0xfffd
	v_add_co_ci_u32_e64 v94, null, s27, v26, vcc_lo
	v_add_co_u32 v95, vcc_lo, v89, v41
	s_wait_alu 0xfffd
	v_add_co_ci_u32_e64 v96, null, 0, v90, vcc_lo
	v_add_co_u32 v99, vcc_lo, v93, v41
	s_wait_alu 0xfffd
	v_add_co_ci_u32_e64 v100, null, 0, v94, vcc_lo
	v_add_co_u32 v89, vcc_lo, s26, v27
	s_wait_alu 0xfffd
	v_add_co_ci_u32_e64 v90, null, s27, v28, vcc_lo
	v_add_co_u32 v93, vcc_lo, s26, v29
	s_wait_alu 0xfffd
	v_add_co_ci_u32_e64 v94, null, s27, v30, vcc_lo
	v_add_co_u32 v103, vcc_lo, v89, v41
	s_wait_alu 0xfffd
	v_add_co_ci_u32_e64 v104, null, 0, v90, vcc_lo
	v_add_co_u32 v107, vcc_lo, v93, v41
	s_wait_alu 0xfffd
	v_add_co_ci_u32_e64 v108, null, 0, v94, vcc_lo
	v_add_co_u32 v89, vcc_lo, s26, v31
	s_wait_alu 0xfffd
	v_add_co_ci_u32_e64 v90, null, s27, v32, vcc_lo
	v_add_co_u32 v93, vcc_lo, s26, v33
	s_wait_alu 0xfffd
	v_add_co_ci_u32_e64 v94, null, s27, v34, vcc_lo
	v_add_co_u32 v111, vcc_lo, v89, v41
	s_wait_alu 0xfffd
	v_add_co_ci_u32_e64 v112, null, 0, v90, vcc_lo
	v_add_co_u32 v115, vcc_lo, v93, v41
	s_wait_alu 0xfffd
	v_add_co_ci_u32_e64 v116, null, 0, v94, vcc_lo
	global_inv scope:SCOPE_SE
	s_clause 0x7
	global_load_b128 v[87:90], v[87:88], off
	global_load_b128 v[91:94], v[91:92], off
	;; [unrolled: 1-line block ×8, first 2 shown]
	v_cvt_f32_f16_e32 v78, v78
	v_bfi_b32 v35, 0x7fffffff, v86, v35
	v_add_nc_u32_e32 v148, 0x1800, v39
	v_add_nc_u32_e32 v164, 0x2000, v39
	;; [unrolled: 1-line block ×3, first 2 shown]
	s_delay_alu instid0(VALU_DEP_4) | instskip(NEXT) | instid1(VALU_DEP_1)
	v_dual_fmac_f32 v78, s5, v35 :: v_dual_max_num_f32 v35, v72, v72
	v_add_f32_e32 v86, 0x40051340, v78
	s_delay_alu instid0(VALU_DEP_1) | instskip(SKIP_3) | instid1(VALU_DEP_1)
	v_max_num_f32_e32 v35, v35, v86
	ds_bpermute_b32 v79, v79, v35
	s_wait_dscnt 0x0
	v_max_num_f32_e32 v79, v79, v79
	v_max_num_f32_e32 v35, v35, v79
	ds_bpermute_b32 v79, v80, v35
	s_wait_dscnt 0x0
	v_max_num_f32_e32 v79, v79, v79
	s_delay_alu instid0(VALU_DEP_1) | instskip(SKIP_4) | instid1(VALU_DEP_1)
	v_max_num_f32_e32 v35, v35, v79
	ds_bpermute_b32 v79, v81, v35
	v_max_num_f32_e32 v81, v83, v83
	s_wait_dscnt 0x0
	v_max_num_f32_e32 v79, v79, v79
	v_max_num_f32_e32 v35, v35, v79
	ds_bpermute_b32 v79, v82, v35
	s_wait_dscnt 0x0
	v_max_num_f32_e32 v79, v79, v79
	s_delay_alu instid0(VALU_DEP_1) | instskip(SKIP_3) | instid1(VALU_DEP_1)
	v_max_num_f32_e32 v79, v35, v79
	v_max_num_f32_e32 v35, v85, v85
	ds_bpermute_b32 v80, v84, v79
	v_max_num_f32_e32 v35, v81, v35
	v_sub_f32_e32 v81, v36, v35
	s_wait_dscnt 0x0
	v_max_num_f32_e32 v36, v80, v80
	s_delay_alu instid0(VALU_DEP_2) | instskip(NEXT) | instid1(VALU_DEP_1)
	v_mul_f32_e32 v80, 0x3fb8aa3b, v81
	v_fma_f32 v85, 0x3fb8aa3b, v81, -v80
	v_rndne_f32_e32 v86, v80
	s_delay_alu instid0(VALU_DEP_1) | instskip(NEXT) | instid1(VALU_DEP_1)
	v_dual_fmac_f32 v85, 0x32a5705f, v81 :: v_dual_sub_f32 v80, v80, v86
	v_add_f32_e32 v80, v80, v85
	v_max_num_f32_e32 v36, v79, v36
	s_delay_alu instid0(VALU_DEP_2) | instskip(NEXT) | instid1(VALU_DEP_1)
	v_exp_f32_e32 v80, v80
	v_sub_f32_e32 v78, v78, v36
	s_delay_alu instid0(VALU_DEP_1) | instskip(NEXT) | instid1(VALU_DEP_1)
	v_dual_sub_f32 v72, v72, v36 :: v_dual_mul_f32 v121, 0x3fb8aa3b, v78
	v_mul_f32_e32 v119, 0x3fb8aa3b, v72
	s_delay_alu instid0(VALU_DEP_2) | instskip(NEXT) | instid1(VALU_DEP_2)
	v_fma_f32 v122, 0x3fb8aa3b, v78, -v121
	v_rndne_f32_e32 v85, v119
	v_add_nc_u32_e32 v120, 0x800, v39
	v_rndne_f32_e32 v123, v121
	s_delay_alu instid0(VALU_DEP_4) | instskip(NEXT) | instid1(VALU_DEP_2)
	v_dual_fmac_f32 v122, 0x32a5705f, v78 :: v_dual_sub_f32 v71, v71, v35
	v_sub_f32_e32 v121, v121, v123
	v_add_nc_u32_e32 v132, 0x1000, v39
	s_delay_alu instid0(VALU_DEP_3) | instskip(SKIP_1) | instid1(VALU_DEP_2)
	v_mul_f32_e32 v82, 0x3fb8aa3b, v71
	v_cmp_ngt_f32_e32 vcc_lo, 0xc2ce8ed0, v71
	v_fma_f32 v84, 0x3fb8aa3b, v71, -v82
	v_rndne_f32_e32 v79, v82
	s_delay_alu instid0(VALU_DEP_2) | instskip(NEXT) | instid1(VALU_DEP_2)
	v_dual_fmac_f32 v84, 0x32a5705f, v71 :: v_dual_add_nc_u32 v83, v53, v37
	v_sub_f32_e32 v82, v82, v79
	v_cvt_i32_f32_e32 v79, v79
	s_delay_alu instid0(VALU_DEP_2) | instskip(SKIP_3) | instid1(VALU_DEP_4)
	v_add_f32_e32 v82, v82, v84
	v_fma_f32 v84, 0x3fb8aa3b, v72, -v119
	v_sub_f32_e32 v119, v119, v85
	v_cvt_i32_f32_e32 v85, v85
	v_exp_f32_e32 v82, v82
	s_delay_alu instid0(VALU_DEP_3) | instskip(NEXT) | instid1(VALU_DEP_1)
	v_fmac_f32_e32 v84, 0x32a5705f, v72
	v_dual_add_f32 v84, v119, v84 :: v_dual_add_f32 v119, v121, v122
	s_delay_alu instid0(TRANS32_DEP_1) | instskip(NEXT) | instid1(VALU_DEP_2)
	v_ldexp_f32 v79, v82, v79
	v_exp_f32_e32 v82, v84
	v_cvt_i32_f32_e32 v84, v86
	s_delay_alu instid0(VALU_DEP_3)
	v_exp_f32_e32 v86, v119
	s_wait_alu 0xfffd
	v_cndmask_b32_e32 v79, 0, v79, vcc_lo
	v_cmp_nlt_f32_e32 vcc_lo, 0x42b17218, v71
	v_ldexp_f32 v80, v80, v84
	v_cvt_i32_f32_e32 v84, v123
	s_wait_alu 0xfffd
	v_cndmask_b32_e32 v71, 0x7f800000, v79, vcc_lo
	v_cmp_ngt_f32_e32 vcc_lo, 0xc2ce8ed0, v81
	v_ldexp_f32 v79, v82, v85
	v_ldexp_f32 v82, v86, v84
	s_delay_alu instid0(VALU_DEP_4)
	v_cvt_f16_f32_e32 v84, v71
	s_wait_alu 0xfffd
	v_cndmask_b32_e32 v80, 0, v80, vcc_lo
	v_cmp_ngt_f32_e32 vcc_lo, 0xc2ce8ed0, v72
	s_wait_alu 0xfffd
	v_cndmask_b32_e32 v79, 0, v79, vcc_lo
	v_cmp_ngt_f32_e32 vcc_lo, 0xc2ce8ed0, v78
	s_wait_alu 0xfffd
	v_cndmask_b32_e32 v82, 0, v82, vcc_lo
	v_cmp_nlt_f32_e32 vcc_lo, 0x42b17218, v72
	s_wait_alu 0xfffd
	v_cndmask_b32_e32 v72, 0x7f800000, v79, vcc_lo
	v_cmp_nlt_f32_e32 vcc_lo, 0x42b17218, v81
	s_delay_alu instid0(VALU_DEP_2)
	v_cvt_f16_f32_e32 v81, v72
	s_wait_alu 0xfffd
	v_cndmask_b32_e32 v79, 0x7f800000, v80, vcc_lo
	v_cmp_nlt_f32_e32 vcc_lo, 0x42b17218, v78
	v_and_b32_e32 v80, 0xffff, v84
	v_and_b32_e32 v81, 0xffff, v81
	s_wait_alu 0xfffd
	v_cndmask_b32_e32 v78, 0x7f800000, v82, vcc_lo
	v_cvt_f16_f32_e32 v82, v79
	v_mul_u32_u24_e32 v184, 0x10001, v80
	v_fmac_f32_e32 v79, v69, v71
	v_mul_u32_u24_e32 v187, 0x10001, v81
	v_cvt_f16_f32_e32 v80, v78
	v_fmac_f32_e32 v78, v70, v72
	v_pk_mul_f16 v186, v68, v184
	v_pk_mul_f16 v188, v66, v184
	;; [unrolled: 1-line block ×3, first 2 shown]
	v_pack_b32_f16 v68, v82, v80
	v_pk_mul_f16 v72, v65, v187
	v_pk_mul_f16 v190, v64, v187
	v_pk_mul_f16 v62, v62, v187
	ds_store_b32 v83, v68
	s_wait_loadcnt 0x7
	ds_store_b128 v52, v[87:90]
	s_wait_loadcnt 0x6
	ds_store_b128 v54, v[91:94]
	;; [unrolled: 2-line block ×8, first 2 shown]
	s_wait_dscnt 0x0
	s_barrier_signal -1
	s_barrier_wait -1
	global_inv scope:SCOPE_SE
	ds_load_2addr_b64 v[64:67], v39 offset1:32
	ds_load_b128 v[68:71], v53
	ds_load_b128 v[80:83], v53 offset:16
	ds_load_b128 v[84:87], v53 offset:32
	ds_load_b128 v[88:91], v53 offset:48
	ds_load_2addr_b64 v[92:95], v39 offset0:64 offset1:96
	ds_load_2addr_b64 v[96:99], v39 offset0:128 offset1:160
	ds_load_2addr_b64 v[100:103], v39 offset0:192 offset1:224
	ds_load_2addr_b64 v[104:107], v120 offset1:32
	ds_load_2addr_b64 v[108:111], v120 offset0:64 offset1:96
	ds_load_2addr_b64 v[112:115], v120 offset0:128 offset1:160
	ds_load_2addr_b64 v[116:119], v120 offset0:192 offset1:224
	ds_load_2addr_b64 v[120:123], v132 offset1:32
	ds_load_2addr_b64 v[124:127], v132 offset0:64 offset1:96
	ds_load_2addr_b64 v[128:131], v132 offset0:128 offset1:160
	ds_load_2addr_b64 v[132:135], v132 offset0:192 offset1:224
	ds_load_2addr_b64 v[136:139], v148 offset1:32
	ds_load_2addr_b64 v[140:143], v148 offset0:64 offset1:96
	ds_load_2addr_b64 v[144:147], v148 offset0:128 offset1:160
	ds_load_2addr_b64 v[148:151], v148 offset0:192 offset1:224
	ds_load_2addr_b64 v[152:155], v164 offset1:32
	ds_load_2addr_b64 v[156:159], v164 offset0:64 offset1:96
	ds_load_2addr_b64 v[160:163], v164 offset0:128 offset1:160
	ds_load_2addr_b64 v[164:167], v164 offset0:192 offset1:224
	ds_load_2addr_b64 v[168:171], v185 offset1:32
	ds_load_b128 v[172:175], v53 offset:64
	ds_load_b128 v[176:179], v53 offset:80
	ds_load_2addr_b64 v[180:183], v185 offset0:64 offset1:96
	s_wait_dscnt 0x1a
	v_lshrrev_b32_e32 v191, 16, v68
	v_and_b32_e32 v68, 0xffff, v68
	v_lshrrev_b32_e32 v192, 16, v69
	v_and_b32_e32 v69, 0xffff, v69
	v_lshrrev_b32_e32 v193, 16, v70
	v_mul_u32_u24_e32 v191, 0x10001, v191
	v_mul_u32_u24_e32 v68, 0x10001, v68
	v_and_b32_e32 v70, 0xffff, v70
	v_mul_u32_u24_e32 v69, 0x10001, v69
	v_mul_u32_u24_e32 v192, 0x10001, v192
	v_lshrrev_b32_e32 v194, 16, v71
	v_pk_mul_f16 v213, v64, v68
	v_pk_mul_f16 v64, v64, v191
	v_pk_fma_f16 v186, v65, v68, v186
	v_pk_fma_f16 v65, v65, v191, v72
	v_and_b32_e32 v71, 0xffff, v71
	v_pk_fma_f16 v63, v63, v184, v213
	v_mul_u32_u24_e32 v70, 0x10001, v70
	v_mul_u32_u24_e32 v193, 0x10001, v193
	v_pk_fma_f16 v62, v67, v191, v62
	v_pk_fma_f16 v55, v55, v187, v64
	s_wait_dscnt 0x16
	v_pk_fma_f16 v64, v93, v69, v186
	v_pk_fma_f16 v65, v93, v192, v65
	;; [unrolled: 1-line block ×3, first 2 shown]
	v_lshrrev_b32_e32 v195, 16, v80
	v_and_b32_e32 v80, 0xffff, v80
	v_mul_u32_u24_e32 v71, 0x10001, v71
	v_mul_u32_u24_e32 v194, 0x10001, v194
	v_pk_fma_f16 v72, v66, v68, v188
	v_pk_fma_f16 v66, v66, v191, v190
	v_pk_fma_f16 v68, v67, v68, v189
	v_pk_fma_f16 v62, v95, v192, v62
	s_wait_dscnt 0x15
	v_pk_fma_f16 v64, v97, v70, v64
	v_pk_fma_f16 v65, v97, v193, v65
	v_pk_fma_f16 v63, v96, v70, v63
	v_lshrrev_b32_e32 v196, 16, v81
	v_and_b32_e32 v81, 0xffff, v81
	v_mul_u32_u24_e32 v80, 0x10001, v80
	v_mul_u32_u24_e32 v195, 0x10001, v195
	v_pk_fma_f16 v67, v94, v69, v72
	v_pk_fma_f16 v66, v94, v192, v66
	v_pk_fma_f16 v68, v95, v69, v68
	v_pk_fma_f16 v55, v92, v192, v55
	v_pk_fma_f16 v62, v99, v193, v62
	s_wait_dscnt 0x14
	v_pk_fma_f16 v64, v101, v71, v64
	v_pk_fma_f16 v65, v101, v194, v65
	v_pk_fma_f16 v63, v100, v71, v63
	v_lshrrev_b32_e32 v197, 16, v82
	v_and_b32_e32 v82, 0xffff, v82
	v_mul_u32_u24_e32 v81, 0x10001, v81
	v_mul_u32_u24_e32 v196, 0x10001, v196
	v_pk_fma_f16 v67, v98, v70, v67
	;; [unrolled: 13-line block ×11, first 2 shown]
	v_pk_fma_f16 v66, v134, v202, v66
	v_pk_fma_f16 v68, v135, v87, v68
	;; [unrolled: 1-line block ×4, first 2 shown]
	s_wait_dscnt 0xa
	v_pk_fma_f16 v64, v141, v89, v64
	v_pk_fma_f16 v65, v141, v204, v65
	;; [unrolled: 1-line block ×3, first 2 shown]
	s_wait_dscnt 0x2
	v_lshrrev_b32_e32 v207, 16, v172
	v_and_b32_e32 v172, 0xffff, v172
	v_mul_u32_u24_e32 v91, 0x10001, v91
	v_mul_u32_u24_e32 v206, 0x10001, v206
	v_pk_fma_f16 v67, v138, v88, v67
	v_pk_fma_f16 v66, v138, v203, v66
	v_pk_fma_f16 v68, v139, v88, v68
	v_pk_fma_f16 v55, v136, v203, v55
	v_pk_fma_f16 v62, v143, v204, v62
	v_pk_fma_f16 v64, v145, v90, v64
	v_pk_fma_f16 v65, v145, v205, v65
	v_pk_fma_f16 v63, v144, v90, v63
	v_lshrrev_b32_e32 v208, 16, v173
	v_and_b32_e32 v173, 0xffff, v173
	v_mul_u32_u24_e32 v172, 0x10001, v172
	v_mul_u32_u24_e32 v207, 0x10001, v207
	v_pk_fma_f16 v67, v142, v89, v67
	v_pk_fma_f16 v66, v142, v204, v66
	v_pk_fma_f16 v68, v143, v89, v68
	v_pk_fma_f16 v55, v140, v204, v55
	v_pk_fma_f16 v62, v147, v205, v62
	v_pk_fma_f16 v64, v149, v91, v64
	v_pk_fma_f16 v65, v149, v206, v65
	v_pk_fma_f16 v63, v148, v91, v63
	;; [unrolled: 12-line block ×4, first 2 shown]
	s_wait_dscnt 0x1
	v_lshrrev_b32_e32 v211, 16, v176
	v_and_b32_e32 v176, 0xffff, v176
	v_mul_u32_u24_e32 v175, 0x10001, v175
	v_mul_u32_u24_e32 v210, 0x10001, v210
	v_pk_fma_f16 v67, v154, v172, v67
	v_pk_fma_f16 v66, v154, v207, v66
	;; [unrolled: 1-line block ×8, first 2 shown]
	v_mul_u32_u24_e32 v176, 0x10001, v176
	v_mul_u32_u24_e32 v211, 0x10001, v211
	v_pk_fma_f16 v67, v158, v173, v67
	v_pk_fma_f16 v66, v158, v208, v66
	;; [unrolled: 1-line block ×16, first 2 shown]
	ds_load_2addr_b64 v[62:65], v185 offset0:128 offset1:160
	v_lshrrev_b32_e32 v212, 16, v177
	v_and_b32_e32 v177, 0xffff, v177
	v_pk_fma_f16 v67, v166, v175, v67
	v_pk_fma_f16 v66, v166, v210, v66
	;; [unrolled: 1-line block ×4, first 2 shown]
	v_mul_u32_u24_e32 v80, 0x10001, v177
	v_pk_fma_f16 v67, v170, v176, v67
	v_mul_u32_u24_e32 v84, 0x10001, v212
	v_pk_fma_f16 v66, v170, v211, v66
	v_pk_fma_f16 v55, v168, v211, v55
	;; [unrolled: 1-line block ×3, first 2 shown]
	v_and_b32_e32 v82, 0xffff, v178
	v_lshrrev_b32_e32 v83, 16, v178
	v_pk_fma_f16 v85, v171, v211, v69
	s_wait_dscnt 0x1
	v_pk_fma_f16 v72, v180, v80, v72
	v_pk_fma_f16 v55, v180, v84, v55
	;; [unrolled: 1-line block ×5, first 2 shown]
	ds_load_2addr_b64 v[66:69], v185 offset0:192 offset1:224
	v_mul_u32_u24_e32 v89, 0x10001, v82
	v_mul_u32_u24_e32 v90, 0x10001, v83
	v_pk_fma_f16 v91, v183, v80, v81
	ds_load_b128 v[80:83], v53 offset:96
	v_pk_fma_f16 v71, v181, v84, v71
	s_wait_dscnt 0x2
	v_pk_fma_f16 v72, v62, v89, v72
	v_pk_fma_f16 v55, v62, v90, v55
	;; [unrolled: 1-line block ×3, first 2 shown]
	v_add_nc_u32_e32 v70, 0x3000, v39
	v_pk_fma_f16 v92, v183, v84, v85
	v_and_b32_e32 v93, 0xffff, v179
	v_lshrrev_b32_e32 v94, 16, v179
	v_pk_fma_f16 v95, v64, v89, v86
	ds_load_2addr_b64 v[84:87], v70 offset1:32
	v_pk_fma_f16 v71, v63, v90, v71
	v_mul_u32_u24_e32 v93, 0x10001, v93
	v_mul_u32_u24_e32 v94, 0x10001, v94
	v_pk_fma_f16 v96, v64, v90, v88
	v_pk_fma_f16 v97, v65, v89, v91
	;; [unrolled: 1-line block ×3, first 2 shown]
	s_wait_dscnt 0x2
	v_pk_fma_f16 v72, v66, v93, v72
	v_pk_fma_f16 v55, v66, v94, v55
	;; [unrolled: 1-line block ×3, first 2 shown]
	ds_load_b128 v[62:65], v53 offset:112
	s_wait_dscnt 0x2
	v_and_b32_e32 v98, 0xffff, v80
	v_lshrrev_b32_e32 v80, 16, v80
	ds_load_2addr_b64 v[88:91], v70 offset0:64 offset1:96
	v_pk_fma_f16 v67, v67, v94, v71
	v_pk_fma_f16 v71, v68, v93, v95
	v_mul_u32_u24_e32 v95, 0x10001, v98
	v_mul_u32_u24_e32 v80, 0x10001, v80
	v_pk_fma_f16 v96, v68, v94, v96
	v_pk_fma_f16 v93, v69, v93, v97
	;; [unrolled: 1-line block ×3, first 2 shown]
	s_wait_dscnt 0x2
	v_pk_fma_f16 v72, v84, v95, v72
	v_pk_fma_f16 v55, v84, v80, v55
	;; [unrolled: 1-line block ×3, first 2 shown]
	v_and_b32_e32 v94, 0xffff, v81
	v_lshrrev_b32_e32 v81, 16, v81
	v_pk_fma_f16 v85, v85, v80, v67
	ds_load_2addr_b64 v[66:69], v70 offset0:128 offset1:160
	v_pk_fma_f16 v71, v86, v95, v71
	v_mul_u32_u24_e32 v94, 0x10001, v94
	v_mul_u32_u24_e32 v81, 0x10001, v81
	v_pk_fma_f16 v96, v86, v80, v96
	v_pk_fma_f16 v93, v87, v95, v93
	;; [unrolled: 1-line block ×3, first 2 shown]
	s_wait_dscnt 0x1
	v_pk_fma_f16 v72, v88, v94, v72
	v_pk_fma_f16 v55, v88, v81, v55
	;; [unrolled: 1-line block ×3, first 2 shown]
	v_and_b32_e32 v92, 0xffff, v82
	v_lshrrev_b32_e32 v82, 16, v82
	v_pk_fma_f16 v89, v89, v81, v85
	ds_load_2addr_b64 v[84:87], v70 offset0:192 offset1:224
	v_pk_fma_f16 v71, v90, v94, v71
	v_mul_u32_u24_e32 v70, 0x10001, v92
	v_mul_u32_u24_e32 v92, 0x10001, v82
	v_pk_fma_f16 v93, v91, v94, v93
	v_add_nc_u32_e32 v94, 0x3800, v39
	v_pk_fma_f16 v90, v90, v81, v96
	v_pk_fma_f16 v91, v91, v81, v80
	s_wait_dscnt 0x1
	v_pk_fma_f16 v72, v66, v70, v72
	v_pk_fma_f16 v55, v66, v92, v55
	v_pk_fma_f16 v66, v67, v70, v88
	v_and_b32_e32 v88, 0xffff, v83
	v_lshrrev_b32_e32 v95, 16, v83
	ds_load_2addr_b64 v[80:83], v94 offset1:32
	v_pk_fma_f16 v67, v67, v92, v89
	v_pk_fma_f16 v71, v68, v70, v71
	v_mul_u32_u24_e32 v88, 0x10001, v88
	v_mul_u32_u24_e32 v89, 0x10001, v95
	v_pk_fma_f16 v90, v68, v92, v90
	v_pk_fma_f16 v70, v69, v70, v93
	v_pk_fma_f16 v91, v69, v92, v91
	s_wait_dscnt 0x1
	v_pk_fma_f16 v72, v84, v88, v72
	v_pk_fma_f16 v55, v84, v89, v55
	;; [unrolled: 1-line block ×3, first 2 shown]
	v_and_b32_e32 v92, 0xffff, v62
	v_lshrrev_b32_e32 v62, 16, v62
	v_pk_fma_f16 v85, v85, v89, v67
	ds_load_2addr_b64 v[66:69], v94 offset0:64 offset1:96
	v_pk_fma_f16 v71, v86, v88, v71
	v_mul_u32_u24_e32 v92, 0x10001, v92
	v_mul_u32_u24_e32 v62, 0x10001, v62
	v_pk_fma_f16 v86, v86, v89, v90
	v_pk_fma_f16 v70, v87, v88, v70
	;; [unrolled: 1-line block ×3, first 2 shown]
	s_wait_dscnt 0x1
	v_pk_fma_f16 v72, v80, v92, v72
	v_pk_fma_f16 v55, v80, v62, v55
	;; [unrolled: 1-line block ×3, first 2 shown]
	v_and_b32_e32 v84, 0xffff, v63
	v_lshrrev_b32_e32 v63, 16, v63
	v_pk_fma_f16 v81, v81, v62, v85
	v_pk_fma_f16 v71, v82, v92, v71
	;; [unrolled: 1-line block ×3, first 2 shown]
	v_mul_u32_u24_e32 v89, 0x10001, v84
	v_mul_u32_u24_e32 v63, 0x10001, v63
	v_pk_fma_f16 v70, v83, v92, v70
	v_pk_fma_f16 v62, v83, v62, v88
	ds_load_2addr_b64 v[84:87], v94 offset0:128 offset1:160
	s_wait_dscnt 0x1
	v_pk_fma_f16 v72, v66, v89, v72
	v_pk_fma_f16 v55, v66, v63, v55
	;; [unrolled: 1-line block ×8, first 2 shown]
	ds_load_2addr_b64 v[68:71], v94 offset0:192 offset1:224
	s_wait_loadcnt_dscnt 0x0
	s_barrier_signal -1
	s_barrier_wait -1
	global_inv scope:SCOPE_SE
	s_load_b32 s11, s[24:25], 0x4
	v_and_b32_e32 v82, 0xffff, v64
	v_lshrrev_b32_e32 v64, 16, v64
	s_delay_alu instid0(VALU_DEP_2) | instskip(NEXT) | instid1(VALU_DEP_2)
	v_mul_u32_u24_e32 v63, 0x10001, v82
	v_mul_u32_u24_e32 v64, 0x10001, v64
	v_and_b32_e32 v82, 0xffff, v65
	v_lshrrev_b32_e32 v65, 16, v65
	s_delay_alu instid0(VALU_DEP_4) | instskip(NEXT) | instid1(VALU_DEP_4)
	v_pk_fma_f16 v72, v84, v63, v72
	v_pk_fma_f16 v55, v84, v64, v55
	;; [unrolled: 1-line block ×5, first 2 shown]
	v_mul_u32_u24_e32 v82, 0x10001, v82
	v_mul_u32_u24_e32 v84, 0x10001, v65
	v_pk_fma_f16 v81, v86, v64, v81
	v_pk_fma_f16 v83, v87, v63, v83
	;; [unrolled: 1-line block ×3, first 2 shown]
	s_wait_kmcnt 0x0
	s_lshl_b32 s11, s11, 5
	v_pk_fma_f16 v63, v68, v82, v72
	v_pk_fma_f16 v55, v68, v84, v55
	v_pk_fma_f16 v68, v69, v82, v66
	v_pk_fma_f16 v65, v69, v84, v67
	v_pk_fma_f16 v66, v70, v82, v80
	v_pk_fma_f16 v64, v70, v84, v81
	v_pk_fma_f16 v67, v71, v82, v83
	v_pk_fma_f16 v62, v71, v84, v62
	s_wait_alu 0xfffe
	s_add_co_i32 s10, s11, s10
	s_wait_alu 0xfffe
	s_cmp_ge_i32 s10, s30
	s_cbranch_scc1 .LBB67_19
; %bb.18:                               ;   in Loop: Header=BB67_9 Depth=1
	v_dual_mov_b32 v71, v35 :: v_dual_mov_b32 v72, v36
	v_dual_mov_b32 v69, v79 :: v_dual_mov_b32 v70, v78
	s_branch .LBB67_9
.LBB67_19:
	v_mov_b32_e32 v3, v40
.LBB67_20:
	v_cmp_lt_i32_e32 vcc_lo, v77, v42
	s_cmp_lg_u64 s[12:13], 0
	s_cselect_b32 s3, -1, 0
	s_cmp_eq_u32 s4, 0
	s_wait_alu 0xfffd
	v_cndmask_b32_e32 v2, v3, v77, vcc_lo
	v_cmp_lt_i32_e32 vcc_lo, v73, v42
	s_cselect_b32 s5, -1, 0
	s_wait_alu 0xfffe
	s_and_b32 s3, s5, s3
	s_wait_alu 0xfffd
	v_cndmask_b32_e32 v5, v3, v73, vcc_lo
	v_cmp_lt_i32_e32 vcc_lo, v74, v42
	s_wait_alu 0xfffd
	v_cndmask_b32_e32 v7, v3, v74, vcc_lo
	v_cmp_lt_i32_e32 vcc_lo, v75, v42
	s_delay_alu instid0(VALU_DEP_2)
	v_lshlrev_b32_e32 v7, 2, v7
	v_lshlrev_b32_e32 v2, 2, v2
	ds_bpermute_b32 v4, v2, v79
	ds_bpermute_b32 v2, v2, v78
	s_wait_dscnt 0x1
	v_add_f32_e32 v4, v79, v4
	s_wait_dscnt 0x0
	v_dual_add_f32 v2, v78, v2 :: v_dual_lshlrev_b32 v5, 2, v5
	ds_bpermute_b32 v6, v5, v4
	ds_bpermute_b32 v5, v5, v2
	s_wait_dscnt 0x1
	v_add_f32_e32 v4, v4, v6
	s_wait_dscnt 0x0
	v_add_f32_e32 v2, v2, v5
	ds_bpermute_b32 v5, v7, v4
	ds_bpermute_b32 v6, v7, v2
	s_wait_alu 0xfffd
	v_cndmask_b32_e32 v7, v3, v75, vcc_lo
	v_cmp_lt_i32_e32 vcc_lo, v76, v42
	s_delay_alu instid0(VALU_DEP_2)
	v_lshlrev_b32_e32 v7, 2, v7
	s_wait_alu 0xfffd
	v_cndmask_b32_e32 v3, v3, v76, vcc_lo
	s_wait_alu 0xfffe
	s_and_b32 vcc_lo, exec_lo, s3
	s_wait_dscnt 0x1
	s_delay_alu instid0(VALU_DEP_1)
	v_dual_add_f32 v4, v4, v5 :: v_dual_lshlrev_b32 v3, 2, v3
	s_wait_dscnt 0x0
	v_add_f32_e32 v2, v2, v6
	ds_bpermute_b32 v5, v7, v4
	ds_bpermute_b32 v6, v7, v2
	s_wait_dscnt 0x0
	v_dual_add_f32 v4, v4, v5 :: v_dual_add_f32 v5, v2, v6
	ds_bpermute_b32 v2, v3, v4
	ds_bpermute_b32 v3, v3, v5
	s_wait_dscnt 0x0
	v_dual_add_f32 v2, v4, v2 :: v_dual_add_f32 v3, v5, v3
	s_wait_alu 0xfffe
	s_cbranch_vccz .LBB67_23
; %bb.21:
	s_ashr_i32 s29, s28, 31
	v_mov_b32_e32 v4, 0
	s_wait_alu 0xfffe
	s_lshl_b64 s[6:7], s[28:29], 2
	s_delay_alu instid0(SALU_CYCLE_1)
	s_add_nc_u64 s[6:7], s[12:13], s[6:7]
	global_load_b64 v[4:5], v4, s[6:7]
	v_max_num_f32_e32 v6, v35, v35
	v_max_num_f32_e32 v8, v36, v36
	s_wait_loadcnt 0x0
	v_max_num_f32_e32 v7, v4, v4
	s_delay_alu instid0(VALU_DEP_1) | instskip(NEXT) | instid1(VALU_DEP_1)
	v_dual_max_num_f32 v9, v5, v5 :: v_dual_max_num_f32 v6, v6, v7
	v_dual_max_num_f32 v7, v8, v9 :: v_dual_sub_f32 v8, v35, v6
	s_delay_alu instid0(VALU_DEP_1) | instskip(SKIP_2) | instid1(VALU_DEP_4)
	v_sub_f32_e32 v9, v36, v7
	v_dual_sub_f32 v5, v5, v7 :: v_dual_sub_f32 v4, v4, v6
	v_mov_b32_e32 v36, v7
	v_cmp_ngt_f32_e32 vcc_lo, 0xc2ce8ed0, v8
	s_delay_alu instid0(VALU_DEP_4) | instskip(NEXT) | instid1(VALU_DEP_4)
	v_mul_f32_e32 v12, 0x3fb8aa3b, v9
	v_mul_f32_e32 v13, 0x3fb8aa3b, v5
	;; [unrolled: 1-line block ×3, first 2 shown]
	v_mov_b32_e32 v35, v6
	s_delay_alu instid0(VALU_DEP_4) | instskip(SKIP_1) | instid1(VALU_DEP_4)
	v_fma_f32 v18, 0x3fb8aa3b, v9, -v12
	v_rndne_f32_e32 v19, v12
	v_rndne_f32_e32 v17, v11
	v_mul_f32_e32 v10, 0x3fb8aa3b, v8
	v_fma_f32 v16, 0x3fb8aa3b, v4, -v11
	v_fma_f32 v20, 0x3fb8aa3b, v5, -v13
	v_rndne_f32_e32 v21, v13
	v_sub_f32_e32 v11, v11, v17
	v_fma_f32 v14, 0x3fb8aa3b, v8, -v10
	v_rndne_f32_e32 v15, v10
	v_fmac_f32_e32 v16, 0x32a5705f, v4
	v_sub_f32_e32 v12, v12, v19
	v_fmac_f32_e32 v20, 0x32a5705f, v5
	v_dual_fmac_f32 v14, 0x32a5705f, v8 :: v_dual_sub_f32 v13, v13, v21
	s_delay_alu instid0(VALU_DEP_4) | instskip(SKIP_2) | instid1(VALU_DEP_3)
	v_dual_sub_f32 v10, v10, v15 :: v_dual_add_f32 v11, v11, v16
	v_fmac_f32_e32 v18, 0x32a5705f, v9
	v_cvt_i32_f32_e32 v16, v19
	v_dual_add_f32 v13, v13, v20 :: v_dual_add_f32 v10, v10, v14
	v_cvt_i32_f32_e32 v14, v15
	s_delay_alu instid0(VALU_DEP_4)
	v_add_f32_e32 v12, v12, v18
	v_exp_f32_e32 v11, v11
	v_cvt_i32_f32_e32 v15, v17
	v_exp_f32_e32 v10, v10
	v_exp_f32_e32 v13, v13
	;; [unrolled: 1-line block ×3, first 2 shown]
	s_delay_alu instid0(VALU_DEP_1) | instskip(NEXT) | instid1(TRANS32_DEP_3)
	v_ldexp_f32 v11, v11, v15
	v_ldexp_f32 v10, v10, v14
	v_cvt_i32_f32_e32 v14, v21
	s_delay_alu instid0(TRANS32_DEP_1) | instskip(SKIP_1) | instid1(VALU_DEP_3)
	v_ldexp_f32 v12, v12, v16
	s_wait_alu 0xfffd
	v_cndmask_b32_e32 v10, 0, v10, vcc_lo
	v_cmp_ngt_f32_e32 vcc_lo, 0xc2ce8ed0, v9
	s_delay_alu instid0(TRANS32_DEP_2)
	v_ldexp_f32 v13, v13, v14
	s_wait_alu 0xfffd
	v_cndmask_b32_e32 v12, 0, v12, vcc_lo
	v_cmp_nlt_f32_e32 vcc_lo, 0x42b17218, v8
	s_wait_alu 0xfffd
	v_cndmask_b32_e32 v8, 0x7f800000, v10, vcc_lo
	v_cmp_ngt_f32_e32 vcc_lo, 0xc2ce8ed0, v4
	s_wait_alu 0xfffd
	v_cndmask_b32_e32 v10, 0, v11, vcc_lo
	v_cmp_nlt_f32_e32 vcc_lo, 0x42b17218, v9
	v_cvt_f16_f32_e32 v11, v8
	s_wait_alu 0xfffd
	v_cndmask_b32_e32 v9, 0x7f800000, v12, vcc_lo
	v_cmp_ngt_f32_e32 vcc_lo, 0xc2ce8ed0, v5
	s_wait_alu 0xfffd
	v_dual_cndmask_b32 v12, 0, v13 :: v_dual_and_b32 v11, 0xffff, v11
	v_cmp_nlt_f32_e32 vcc_lo, 0x42b17218, v4
	s_wait_alu 0xfffd
	v_cndmask_b32_e32 v4, 0x7f800000, v10, vcc_lo
	v_cvt_f16_f32_e32 v10, v9
	v_cmp_nlt_f32_e32 vcc_lo, 0x42b17218, v5
	s_delay_alu instid0(VALU_DEP_3) | instskip(NEXT) | instid1(VALU_DEP_3)
	v_fmac_f32_e32 v4, v2, v8
	v_and_b32_e32 v8, 0xffff, v10
	s_wait_alu 0xfffd
	v_cndmask_b32_e32 v5, 0x7f800000, v12, vcc_lo
	v_mul_u32_u24_e32 v10, 0x10001, v11
	s_delay_alu instid0(VALU_DEP_2) | instskip(SKIP_1) | instid1(VALU_DEP_3)
	v_dual_mov_b32 v2, v4 :: v_dual_fmac_f32 v5, v3, v9
	v_mul_u32_u24_e32 v3, 0x10001, v8
	v_pk_mul_f16 v63, v63, v10
	v_pk_mul_f16 v68, v68, v10
	;; [unrolled: 1-line block ×8, first 2 shown]
	v_mov_b32_e32 v3, v5
	s_mov_b32 s3, exec_lo
	v_cmpx_gt_i32_e64 s22, v1
	s_cbranch_execnz .LBB67_24
.LBB67_22:
	s_nop 0
	s_sendmsg sendmsg(MSG_DEALLOC_VGPRS)
	s_endpgm
.LBB67_23:
	s_delay_alu instid0(VALU_DEP_1)
	v_dual_mov_b32 v5, v3 :: v_dual_mov_b32 v4, v2
	s_mov_b32 s3, exec_lo
	v_cmpx_gt_i32_e64 s22, v1
	s_cbranch_execz .LBB67_22
.LBB67_24:
	s_load_b32 s1, s[0:1], 0xd4
	v_mov_b32_e32 v6, 1.0
	s_wait_kmcnt 0x0
	s_cmp_lg_u32 s1, 1
	s_cselect_b32 s5, -1, 0
	s_cmp_eq_u32 s1, 1
	s_cselect_b32 s3, -1, 0
	s_wait_alu 0xfffe
	s_and_b32 vcc_lo, exec_lo, s5
	s_wait_alu 0xfffe
	s_cbranch_vccnz .LBB67_26
; %bb.25:
	v_div_scale_f32 v6, null, v2, v2, 1.0
	s_delay_alu instid0(VALU_DEP_1) | instskip(NEXT) | instid1(TRANS32_DEP_1)
	v_rcp_f32_e32 v7, v6
	v_fma_f32 v8, -v6, v7, 1.0
	s_delay_alu instid0(VALU_DEP_1) | instskip(SKIP_1) | instid1(VALU_DEP_1)
	v_fmac_f32_e32 v7, v8, v7
	v_div_scale_f32 v8, vcc_lo, 1.0, v2, 1.0
	v_mul_f32_e32 v9, v8, v7
	s_delay_alu instid0(VALU_DEP_1) | instskip(NEXT) | instid1(VALU_DEP_1)
	v_fma_f32 v10, -v6, v9, v8
	v_fmac_f32_e32 v9, v10, v7
	s_delay_alu instid0(VALU_DEP_1) | instskip(SKIP_1) | instid1(VALU_DEP_1)
	v_fma_f32 v6, -v6, v9, v8
	s_wait_alu 0xfffd
	v_div_fmas_f32 v6, v6, v7, v9
	s_delay_alu instid0(VALU_DEP_1)
	v_div_fixup_f32 v6, v6, v2, 1.0
.LBB67_26:
	v_mad_co_u64_u32 v[1:2], null, s2, s22, v[1:2]
	v_cmp_eq_u32_e32 vcc_lo, 0, v0
	v_lshrrev_b32_e32 v7, 16, v68
	v_cvt_f32_f16_e32 v8, v68
	v_lshrrev_b32_e32 v10, 16, v63
	v_cvt_f32_f16_e32 v11, v63
	v_mov_b32_e32 v2, 0
	v_mad_co_u64_u32 v[0:1], null, v1, s23, s[28:29]
	v_cvt_f32_f16_e32 v15, v66
	v_cvt_f32_f16_e32 v17, v7
	v_mul_f32_e32 v9, v6, v8
	v_cvt_f32_f16_e32 v8, v10
	v_mul_f32_e32 v7, v6, v11
	v_mul_f32_e32 v11, v6, v15
	v_mad_co_u64_u32 v[0:1], null, s1, v0, s[4:5]
	v_lshrrev_b32_e32 v12, 16, v67
	v_lshrrev_b32_e32 v14, 16, v66
	v_cvt_f32_f16_e32 v13, v67
	v_mul_f32_e32 v10, v6, v17
	v_mul_f32_e32 v8, v6, v8
	v_cvt_f32_f16_e32 v12, v12
	v_lshl_add_u32 v1, v0, 8, v37
	v_cvt_f32_f16_e32 v18, v14
	v_mul_f32_e32 v13, v6, v13
	s_delay_alu instid0(VALU_DEP_4) | instskip(NEXT) | instid1(VALU_DEP_4)
	v_mul_f32_e32 v14, v6, v12
	v_lshlrev_b64_e32 v[15:16], 2, v[1:2]
	s_delay_alu instid0(VALU_DEP_4) | instskip(NEXT) | instid1(VALU_DEP_1)
	v_dual_mul_f32 v12, v6, v18 :: v_dual_add_nc_u32 v1, 0x80, v1
	v_lshlrev_b64_e32 v[1:2], 2, v[1:2]
	s_delay_alu instid0(VALU_DEP_3) | instskip(SKIP_1) | instid1(VALU_DEP_4)
	v_add_co_u32 v15, s0, s16, v15
	s_wait_alu 0xf1ff
	v_add_co_ci_u32_e64 v16, null, s17, v16, s0
	s_delay_alu instid0(VALU_DEP_3)
	v_add_co_u32 v1, s0, s16, v1
	s_wait_alu 0xf1ff
	v_add_co_ci_u32_e64 v2, null, s17, v2, s0
	s_and_b32 s0, vcc_lo, s5
	s_clause 0x1
	global_store_b128 v[15:16], v[7:10], off
	global_store_b128 v[1:2], v[11:14], off
	s_wait_alu 0xfffe
	s_and_saveexec_b32 s2, s0
	s_cbranch_execz .LBB67_28
; %bb.27:
	v_ashrrev_i32_e32 v1, 31, v0
	v_dual_mov_b32 v6, v35 :: v_dual_mov_b32 v7, v4
	s_delay_alu instid0(VALU_DEP_2) | instskip(NEXT) | instid1(VALU_DEP_1)
	v_lshlrev_b64_e32 v[1:2], 3, v[0:1]
	v_add_co_u32 v1, vcc_lo, s18, v1
	s_wait_alu 0xfffd
	s_delay_alu instid0(VALU_DEP_2)
	v_add_co_ci_u32_e64 v2, null, s19, v2, vcc_lo
	global_store_b64 v[1:2], v[6:7], off
.LBB67_28:
	s_wait_alu 0xfffe
	s_or_b32 exec_lo, exec_lo, s2
	v_mov_b32_e32 v1, 1.0
	s_and_not1_b32 vcc_lo, exec_lo, s3
	s_wait_alu 0xfffe
	s_cbranch_vccnz .LBB67_30
; %bb.29:
	v_div_scale_f32 v1, null, v3, v3, 1.0
	s_delay_alu instid0(VALU_DEP_1) | instskip(NEXT) | instid1(TRANS32_DEP_1)
	v_rcp_f32_e32 v2, v1
	v_fma_f32 v4, -v1, v2, 1.0
	s_delay_alu instid0(VALU_DEP_1) | instskip(SKIP_1) | instid1(VALU_DEP_1)
	v_fmac_f32_e32 v2, v4, v2
	v_div_scale_f32 v4, vcc_lo, 1.0, v3, 1.0
	v_mul_f32_e32 v6, v4, v2
	s_delay_alu instid0(VALU_DEP_1) | instskip(NEXT) | instid1(VALU_DEP_1)
	v_fma_f32 v7, -v1, v6, v4
	v_fmac_f32_e32 v6, v7, v2
	s_delay_alu instid0(VALU_DEP_1) | instskip(SKIP_1) | instid1(VALU_DEP_1)
	v_fma_f32 v1, -v1, v6, v4
	s_wait_alu 0xfffd
	v_div_fmas_f32 v1, v1, v2, v6
	s_delay_alu instid0(VALU_DEP_1)
	v_div_fixup_f32 v1, v1, v3, 1.0
.LBB67_30:
	v_lshrrev_b32_e32 v2, 16, v65
	v_dual_mov_b32 v3, 0 :: v_dual_add_nc_u32 v0, s1, v0
	v_lshrrev_b32_e32 v4, 16, v55
	v_cvt_f32_f16_e32 v6, v65
	s_delay_alu instid0(VALU_DEP_4) | instskip(NEXT) | instid1(VALU_DEP_4)
	v_cvt_f32_f16_e32 v7, v2
	v_lshl_add_u32 v2, v0, 8, v37
	v_cvt_f32_f16_e32 v12, v55
	v_cvt_f32_f16_e32 v4, v4
	v_mul_f32_e32 v8, v1, v6
	v_mul_f32_e32 v9, v1, v7
	v_lshlrev_b64_e32 v[10:11], 2, v[2:3]
	v_mul_f32_e32 v6, v1, v12
	v_lshrrev_b32_e32 v12, 16, v64
	v_dual_mul_f32 v7, v1, v4 :: v_dual_add_nc_u32 v2, 0x80, v2
	v_lshrrev_b32_e32 v4, 16, v62
	v_cvt_f32_f16_e32 v14, v62
	s_delay_alu instid0(VALU_DEP_4) | instskip(NEXT) | instid1(VALU_DEP_4)
	v_cvt_f32_f16_e32 v15, v12
	v_lshlrev_b64_e32 v[12:13], 2, v[2:3]
	v_cvt_f32_f16_e32 v16, v64
	v_cvt_f32_f16_e32 v4, v4
	v_add_co_u32 v10, vcc_lo, s16, v10
	s_wait_alu 0xfffd
	v_add_co_ci_u32_e64 v11, null, s17, v11, vcc_lo
	v_add_co_u32 v12, vcc_lo, s16, v12
	v_mul_f32_e32 v4, v1, v4
	v_mul_f32_e32 v3, v1, v14
	;; [unrolled: 1-line block ×4, first 2 shown]
	s_wait_alu 0xfffd
	v_add_co_ci_u32_e64 v13, null, s17, v13, vcc_lo
	s_clause 0x1
	global_store_b128 v[10:11], v[6:9], off
	global_store_b128 v[12:13], v[1:4], off
	s_and_b32 exec_lo, exec_lo, s0
	s_cbranch_execz .LBB67_22
; %bb.31:
	v_ashrrev_i32_e32 v1, 31, v0
	v_mov_b32_e32 v4, v36
	s_delay_alu instid0(VALU_DEP_2) | instskip(NEXT) | instid1(VALU_DEP_1)
	v_lshlrev_b64_e32 v[0:1], 3, v[0:1]
	v_add_co_u32 v0, vcc_lo, s18, v0
	s_wait_alu 0xfffd
	s_delay_alu instid0(VALU_DEP_2)
	v_add_co_ci_u32_e64 v1, null, s19, v1, vcc_lo
	global_store_b64 v[0:1], v[4:5], off
	s_nop 0
	s_sendmsg sendmsg(MSG_DEALLOC_VGPRS)
	s_endpgm
	.section	.rodata,"a",@progbits
	.p2align	6, 0x0
	.amdhsa_kernel _ZL15flash_attn_tileILi256ELi256ELi4ELi2ELb1EEvPKcS1_S1_S1_S1_PKiPfP15HIP_vector_typeIfLj2EEffffjfiS5_IjLj3EEiiiiiiiiiiiliiliiiiil
		.amdhsa_group_segment_fixed_size 21504
		.amdhsa_private_segment_fixed_size 0
		.amdhsa_kernarg_size 464
		.amdhsa_user_sgpr_count 2
		.amdhsa_user_sgpr_dispatch_ptr 0
		.amdhsa_user_sgpr_queue_ptr 0
		.amdhsa_user_sgpr_kernarg_segment_ptr 1
		.amdhsa_user_sgpr_dispatch_id 0
		.amdhsa_user_sgpr_private_segment_size 0
		.amdhsa_wavefront_size32 1
		.amdhsa_uses_dynamic_stack 0
		.amdhsa_enable_private_segment 0
		.amdhsa_system_sgpr_workgroup_id_x 1
		.amdhsa_system_sgpr_workgroup_id_y 1
		.amdhsa_system_sgpr_workgroup_id_z 1
		.amdhsa_system_sgpr_workgroup_info 0
		.amdhsa_system_vgpr_workitem_id 1
		.amdhsa_next_free_vgpr 217
		.amdhsa_next_free_sgpr 42
		.amdhsa_reserve_vcc 1
		.amdhsa_float_round_mode_32 0
		.amdhsa_float_round_mode_16_64 0
		.amdhsa_float_denorm_mode_32 3
		.amdhsa_float_denorm_mode_16_64 3
		.amdhsa_fp16_overflow 0
		.amdhsa_workgroup_processor_mode 1
		.amdhsa_memory_ordered 1
		.amdhsa_forward_progress 1
		.amdhsa_inst_pref_size 88
		.amdhsa_round_robin_scheduling 0
		.amdhsa_exception_fp_ieee_invalid_op 0
		.amdhsa_exception_fp_denorm_src 0
		.amdhsa_exception_fp_ieee_div_zero 0
		.amdhsa_exception_fp_ieee_overflow 0
		.amdhsa_exception_fp_ieee_underflow 0
		.amdhsa_exception_fp_ieee_inexact 0
		.amdhsa_exception_int_div_zero 0
	.end_amdhsa_kernel
	.section	.text._ZL15flash_attn_tileILi256ELi256ELi4ELi2ELb1EEvPKcS1_S1_S1_S1_PKiPfP15HIP_vector_typeIfLj2EEffffjfiS5_IjLj3EEiiiiiiiiiiiliiliiiiil,"axG",@progbits,_ZL15flash_attn_tileILi256ELi256ELi4ELi2ELb1EEvPKcS1_S1_S1_S1_PKiPfP15HIP_vector_typeIfLj2EEffffjfiS5_IjLj3EEiiiiiiiiiiiliiliiiiil,comdat
.Lfunc_end67:
	.size	_ZL15flash_attn_tileILi256ELi256ELi4ELi2ELb1EEvPKcS1_S1_S1_S1_PKiPfP15HIP_vector_typeIfLj2EEffffjfiS5_IjLj3EEiiiiiiiiiiiliiliiiiil, .Lfunc_end67-_ZL15flash_attn_tileILi256ELi256ELi4ELi2ELb1EEvPKcS1_S1_S1_S1_PKiPfP15HIP_vector_typeIfLj2EEffffjfiS5_IjLj3EEiiiiiiiiiiiliiliiiiil
                                        ; -- End function
	.set _ZL15flash_attn_tileILi256ELi256ELi4ELi2ELb1EEvPKcS1_S1_S1_S1_PKiPfP15HIP_vector_typeIfLj2EEffffjfiS5_IjLj3EEiiiiiiiiiiiliiliiiiil.num_vgpr, 214
	.set _ZL15flash_attn_tileILi256ELi256ELi4ELi2ELb1EEvPKcS1_S1_S1_S1_PKiPfP15HIP_vector_typeIfLj2EEffffjfiS5_IjLj3EEiiiiiiiiiiiliiliiiiil.num_agpr, 0
	.set _ZL15flash_attn_tileILi256ELi256ELi4ELi2ELb1EEvPKcS1_S1_S1_S1_PKiPfP15HIP_vector_typeIfLj2EEffffjfiS5_IjLj3EEiiiiiiiiiiiliiliiiiil.numbered_sgpr, 42
	.set _ZL15flash_attn_tileILi256ELi256ELi4ELi2ELb1EEvPKcS1_S1_S1_S1_PKiPfP15HIP_vector_typeIfLj2EEffffjfiS5_IjLj3EEiiiiiiiiiiiliiliiiiil.num_named_barrier, 0
	.set _ZL15flash_attn_tileILi256ELi256ELi4ELi2ELb1EEvPKcS1_S1_S1_S1_PKiPfP15HIP_vector_typeIfLj2EEffffjfiS5_IjLj3EEiiiiiiiiiiiliiliiiiil.private_seg_size, 0
	.set _ZL15flash_attn_tileILi256ELi256ELi4ELi2ELb1EEvPKcS1_S1_S1_S1_PKiPfP15HIP_vector_typeIfLj2EEffffjfiS5_IjLj3EEiiiiiiiiiiiliiliiiiil.uses_vcc, 1
	.set _ZL15flash_attn_tileILi256ELi256ELi4ELi2ELb1EEvPKcS1_S1_S1_S1_PKiPfP15HIP_vector_typeIfLj2EEffffjfiS5_IjLj3EEiiiiiiiiiiiliiliiiiil.uses_flat_scratch, 0
	.set _ZL15flash_attn_tileILi256ELi256ELi4ELi2ELb1EEvPKcS1_S1_S1_S1_PKiPfP15HIP_vector_typeIfLj2EEffffjfiS5_IjLj3EEiiiiiiiiiiiliiliiiiil.has_dyn_sized_stack, 0
	.set _ZL15flash_attn_tileILi256ELi256ELi4ELi2ELb1EEvPKcS1_S1_S1_S1_PKiPfP15HIP_vector_typeIfLj2EEffffjfiS5_IjLj3EEiiiiiiiiiiiliiliiiiil.has_recursion, 0
	.set _ZL15flash_attn_tileILi256ELi256ELi4ELi2ELb1EEvPKcS1_S1_S1_S1_PKiPfP15HIP_vector_typeIfLj2EEffffjfiS5_IjLj3EEiiiiiiiiiiiliiliiiiil.has_indirect_call, 0
	.section	.AMDGPU.csdata,"",@progbits
; Kernel info:
; codeLenInByte = 11172
; TotalNumSgprs: 44
; NumVgprs: 214
; ScratchSize: 0
; MemoryBound: 0
; FloatMode: 240
; IeeeMode: 1
; LDSByteSize: 21504 bytes/workgroup (compile time only)
; SGPRBlocks: 0
; VGPRBlocks: 27
; NumSGPRsForWavesPerEU: 44
; NumVGPRsForWavesPerEU: 217
; Occupancy: 6
; WaveLimiterHint : 1
; COMPUTE_PGM_RSRC2:SCRATCH_EN: 0
; COMPUTE_PGM_RSRC2:USER_SGPR: 2
; COMPUTE_PGM_RSRC2:TRAP_HANDLER: 0
; COMPUTE_PGM_RSRC2:TGID_X_EN: 1
; COMPUTE_PGM_RSRC2:TGID_Y_EN: 1
; COMPUTE_PGM_RSRC2:TGID_Z_EN: 1
; COMPUTE_PGM_RSRC2:TIDIG_COMP_CNT: 1
	.section	.text._ZL15flash_attn_tileILi256ELi256ELi2ELi2ELb1EEvPKcS1_S1_S1_S1_PKiPfP15HIP_vector_typeIfLj2EEffffjfiS5_IjLj3EEiiiiiiiiiiiliiliiiiil,"axG",@progbits,_ZL15flash_attn_tileILi256ELi256ELi2ELi2ELb1EEvPKcS1_S1_S1_S1_PKiPfP15HIP_vector_typeIfLj2EEffffjfiS5_IjLj3EEiiiiiiiiiiiliiliiiiil,comdat
	.globl	_ZL15flash_attn_tileILi256ELi256ELi2ELi2ELb1EEvPKcS1_S1_S1_S1_PKiPfP15HIP_vector_typeIfLj2EEffffjfiS5_IjLj3EEiiiiiiiiiiiliiliiiiil ; -- Begin function _ZL15flash_attn_tileILi256ELi256ELi2ELi2ELb1EEvPKcS1_S1_S1_S1_PKiPfP15HIP_vector_typeIfLj2EEffffjfiS5_IjLj3EEiiiiiiiiiiiliiliiiiil
	.p2align	8
	.type	_ZL15flash_attn_tileILi256ELi256ELi2ELi2ELb1EEvPKcS1_S1_S1_S1_PKiPfP15HIP_vector_typeIfLj2EEffffjfiS5_IjLj3EEiiiiiiiiiiiliiliiiiil,@function
_ZL15flash_attn_tileILi256ELi256ELi2ELi2ELb1EEvPKcS1_S1_S1_S1_PKiPfP15HIP_vector_typeIfLj2EEffffjfiS5_IjLj3EEiiiiiiiiiiiliiliiiiil: ; @_ZL15flash_attn_tileILi256ELi256ELi2ELi2ELb1EEvPKcS1_S1_S1_S1_PKiPfP15HIP_vector_typeIfLj2EEffffjfiS5_IjLj3EEiiiiiiiiiiiliiliiiiil
; %bb.0:
	s_clause 0x1
	s_load_b128 s[20:23], s[0:1], 0x5c
	s_load_b64 s[28:29], s[0:1], 0x80
	s_lshr_b32 s5, ttmp7, 16
	s_load_b64 s[36:37], s[0:1], 0xb8
	s_mov_b32 s35, 0
	s_mov_b64 s[30:31], 0
	s_wait_kmcnt 0x0
	s_lshr_b32 s2, s23, 31
	s_delay_alu instid0(SALU_CYCLE_1) | instskip(NEXT) | instid1(SALU_CYCLE_1)
	s_add_co_i32 s2, s23, s2
	s_ashr_i32 s2, s2, 1
	s_delay_alu instid0(SALU_CYCLE_1) | instskip(SKIP_1) | instid1(SALU_CYCLE_2)
	s_cvt_f32_u32 s3, s2
	s_sub_co_i32 s4, 0, s2
	v_rcp_iflag_f32_e32 v1, s3
	s_delay_alu instid0(TRANS32_DEP_1) | instskip(SKIP_2) | instid1(SALU_CYCLE_2)
	v_readfirstlane_b32 s3, v1
	s_mul_f32 s3, s3, 0x4f7ffffe
	s_wait_alu 0xfffe
	s_cvt_u32_f32 s3, s3
	s_wait_alu 0xfffe
	s_delay_alu instid0(SALU_CYCLE_2) | instskip(NEXT) | instid1(SALU_CYCLE_1)
	s_mul_i32 s4, s4, s3
	s_mul_hi_u32 s4, s3, s4
	s_delay_alu instid0(SALU_CYCLE_1)
	s_add_co_i32 s3, s3, s4
	s_wait_alu 0xfffe
	s_mul_hi_u32 s3, s5, s3
	s_wait_alu 0xfffe
	s_mul_i32 s4, s3, s2
	s_add_co_i32 s6, s3, 1
	s_sub_co_i32 s4, s5, s4
	s_delay_alu instid0(SALU_CYCLE_1)
	s_sub_co_i32 s7, s4, s2
	s_cmp_ge_u32 s4, s2
	s_cselect_b32 s3, s6, s3
	s_cselect_b32 s4, s7, s4
	s_wait_alu 0xfffe
	s_add_co_i32 s6, s3, 1
	s_cmp_ge_u32 s4, s2
	s_cselect_b32 s2, s6, s3
	s_abs_i32 s3, s29
	s_abs_i32 s8, s23
	s_wait_alu 0xfffe
	s_cvt_f32_u32 s4, s3
	s_sub_co_i32 s6, 0, s3
	s_lshl_b32 s5, s5, 1
	s_mul_i32 s7, s2, s23
	v_rcp_iflag_f32_e32 v1, s4
	s_sub_co_i32 s33, s5, s7
	s_xor_b32 s5, s23, s29
	s_wait_alu 0xfffe
	s_ashr_i32 s24, s5, 31
	s_delay_alu instid0(TRANS32_DEP_1) | instskip(SKIP_2) | instid1(SALU_CYCLE_2)
	v_readfirstlane_b32 s4, v1
	s_mul_f32 s4, s4, 0x4f7ffffe
	s_wait_alu 0xfffe
	s_cvt_u32_f32 s4, s4
	s_wait_alu 0xfffe
	s_delay_alu instid0(SALU_CYCLE_2) | instskip(NEXT) | instid1(SALU_CYCLE_1)
	s_mul_i32 s6, s6, s4
	s_mul_hi_u32 s6, s4, s6
	s_delay_alu instid0(SALU_CYCLE_1) | instskip(SKIP_4) | instid1(SALU_CYCLE_1)
	s_add_co_i32 s4, s4, s6
	s_wait_alu 0xfffe
	s_mul_hi_u32 s4, s8, s4
	s_wait_alu 0xfffe
	s_mul_i32 s6, s4, s3
	s_sub_co_i32 s5, s8, s6
	s_add_co_i32 s6, s4, 1
	s_wait_alu 0xfffe
	s_sub_co_i32 s7, s5, s3
	s_cmp_ge_u32 s5, s3
	s_cselect_b32 s4, s6, s4
	s_cselect_b32 s5, s7, s5
	s_wait_alu 0xfffe
	s_add_co_i32 s6, s4, 1
	s_cmp_ge_u32 s5, s3
	s_cselect_b32 s3, s6, s4
	s_load_b512 s[4:19], s[0:1], 0x0
	s_xor_b32 s3, s3, s24
	s_wait_alu 0xfffe
	s_sub_co_i32 s38, s3, s24
	s_delay_alu instid0(SALU_CYCLE_1) | instskip(NEXT) | instid1(SALU_CYCLE_1)
	s_abs_i32 s29, s38
	s_cvt_f32_u32 s3, s29
	s_wait_alu 0xfffe
	s_delay_alu instid0(SALU_CYCLE_2) | instskip(SKIP_2) | instid1(TRANS32_DEP_1)
	v_rcp_iflag_f32_e32 v1, s3
	s_wait_kmcnt 0x0
	s_cmp_eq_u64 s[10:11], 0
	v_readfirstlane_b32 s24, v1
	s_cbranch_scc1 .LBB68_2
; %bb.1:
	s_abs_i32 s3, s36
	s_wait_alu 0xfffe
	s_cvt_f32_u32 s25, s3
	s_sub_co_i32 s26, 0, s3
	s_delay_alu instid0(SALU_CYCLE_2) | instskip(NEXT) | instid1(TRANS32_DEP_1)
	v_rcp_iflag_f32_e32 v1, s25
	v_readfirstlane_b32 s25, v1
	s_mul_f32 s25, s25, 0x4f7ffffe
	s_wait_alu 0xfffe
	s_delay_alu instid0(SALU_CYCLE_2) | instskip(SKIP_1) | instid1(SALU_CYCLE_2)
	s_cvt_u32_f32 s25, s25
	s_wait_alu 0xfffe
	s_mul_i32 s26, s26, s25
	s_delay_alu instid0(SALU_CYCLE_1)
	s_mul_hi_u32 s30, s25, s26
	s_load_b64 s[26:27], s[0:1], 0xc8
	s_add_co_i32 s25, s25, s30
	s_wait_alu 0xfffe
	s_mul_hi_u32 s25, s2, s25
	s_wait_alu 0xfffe
	s_mul_i32 s25, s25, s3
	s_wait_alu 0xfffe
	s_sub_co_i32 s25, s2, s25
	s_wait_alu 0xfffe
	s_sub_co_i32 s30, s25, s3
	s_cmp_ge_u32 s25, s3
	s_cselect_b32 s25, s30, s25
	s_wait_alu 0xfffe
	s_sub_co_i32 s30, s25, s3
	s_cmp_ge_u32 s25, s3
	s_cselect_b32 s30, s30, s25
	s_delay_alu instid0(SALU_CYCLE_1) | instskip(SKIP_2) | instid1(SALU_CYCLE_1)
	s_ashr_i32 s31, s30, 31
	s_wait_kmcnt 0x0
	s_mul_u64 s[26:27], s[26:27], s[30:31]
	s_add_nc_u64 s[30:31], s[10:11], s[26:27]
.LBB68_2:
	v_lshrrev_b32_e32 v1, 10, v0
	s_load_b96 s[40:42], s[0:1], 0x70
	v_bfe_u32 v38, v0, 10, 1
	s_delay_alu instid0(VALU_DEP_2) | instskip(NEXT) | instid1(VALU_DEP_1)
	v_bfe_u32 v1, v1, 1, 9
	v_lshl_add_u32 v1, ttmp9, 1, v1
	s_delay_alu instid0(VALU_DEP_1) | instskip(SKIP_3) | instid1(VALU_DEP_1)
	v_mul_hi_u32 v2, s20, v1
	s_wait_kmcnt 0x0
	s_mul_i32 s10, s33, s41
	s_mov_b32 s20, s41
	v_add_nc_u32_e32 v2, v1, v2
	s_delay_alu instid0(VALU_DEP_1)
	v_lshrrev_b32_e32 v2, s21, v2
	s_ashr_i32 s21, s41, 31
	s_ashr_i32 s41, s40, 31
	s_wait_alu 0xfffe
	s_lshr_b32 s3, s21, 2
	s_lshr_b64 s[26:27], s[40:41], 2
	v_mul_lo_u32 v2, v2, s22
	s_lshr_b32 s11, s41, 2
	s_wait_alu 0xfffe
	v_mul_lo_u32 v7, s3, v38
	s_load_b32 s3, s[0:1], 0x40
	s_delay_alu instid0(VALU_DEP_2) | instskip(NEXT) | instid1(VALU_DEP_1)
	v_sub_nc_u32_e32 v3, v1, v2
	v_mad_co_u64_u32 v[4:5], null, s26, v3, 0
	s_lshr_b64 s[26:27], s[20:21], 2
	s_mul_i32 s20, s2, s42
	s_wait_alu 0xfffe
	s_ashr_i32 s21, s20, 31
	s_wait_alu 0xfffe
	s_add_nc_u64 s[4:5], s[4:5], s[20:21]
	v_mov_b32_e32 v2, v5
	s_delay_alu instid0(VALU_DEP_1)
	v_mad_co_u64_u32 v[5:6], null, s11, v3, v[2:3]
	v_mul_lo_u32 v6, s26, v38
	s_ashr_i32 s11, s10, 31
	v_and_b32_e32 v2, 0x3ff, v0
	s_wait_alu 0xfffe
	s_add_nc_u64 s[4:5], s[4:5], s[10:11]
	s_cmp_eq_u64 s[14:15], 0
	s_delay_alu instid0(VALU_DEP_3) | instskip(SKIP_3) | instid1(VALU_DEP_1)
	v_lshlrev_b64_e32 v[4:5], 2, v[4:5]
	v_lshlrev_b32_e32 v8, 4, v2
	v_lshlrev_b64_e32 v[6:7], 2, v[6:7]
	s_wait_alu 0xfffe
	v_add_co_u32 v6, vcc_lo, s4, v6
	s_delay_alu instid0(VALU_DEP_1) | instskip(NEXT) | instid1(VALU_DEP_2)
	v_add_co_ci_u32_e64 v7, null, s5, v7, vcc_lo
	v_add_co_u32 v4, vcc_lo, v6, v4
	s_wait_alu 0xfffd
	s_delay_alu instid0(VALU_DEP_2) | instskip(SKIP_1) | instid1(VALU_DEP_3)
	v_add_co_ci_u32_e64 v5, null, v7, v5, vcc_lo
	v_bfe_u32 v6, v0, 10, 10
	v_add_co_u32 v4, vcc_lo, v4, v8
	s_wait_alu 0xfffd
	s_delay_alu instid0(VALU_DEP_3)
	v_add_co_ci_u32_e64 v5, null, 0, v5, vcc_lo
	v_lshlrev_b32_e32 v0, 3, v2
	s_clause 0x1
	global_load_b128 v[7:10], v[4:5], off
	global_load_b128 v[11:14], v[4:5], off offset:512
	v_lshlrev_b32_e32 v5, 9, v6
	s_delay_alu instid0(VALU_DEP_1)
	v_add_nc_u32_e32 v37, 0x4200, v5
	s_wait_loadcnt 0x1
	s_wait_kmcnt 0x0
	v_fma_mixlo_f16 v4, s3, v7, 0
	v_fma_mixlo_f16 v7, s3, v8, 0
	;; [unrolled: 1-line block ×4, first 2 shown]
	s_wait_loadcnt 0x0
	v_fma_mixlo_f16 v10, s3, v11, 0
	v_fma_mixlo_f16 v11, s3, v12, 0
	;; [unrolled: 1-line block ×4, first 2 shown]
	v_lshlrev_b32_e32 v7, 16, v7
	v_and_b32_e32 v4, 0xffff, v4
	v_lshlrev_b32_e32 v11, 16, v11
	v_and_b32_e32 v10, 0xffff, v10
	;; [unrolled: 2-line block ×4, first 2 shown]
	v_or_b32_e32 v4, v7, v4
	v_or_b32_e32 v11, v11, v10
	v_add_nc_u32_e32 v14, v37, v0
	v_or3_b32 v8, v9, v8, 0
	v_or3_b32 v10, v13, v12, 0
	v_or3_b32 v7, 0, 0, v4
	v_or3_b32 v9, 0, 0, v11
	ds_store_2addr_b64 v14, v[7:8], v[9:10] offset1:32
	s_wait_dscnt 0x0
	s_barrier_signal -1
	s_barrier_wait -1
	global_inv scope:SCOPE_SE
	s_cbranch_scc1 .LBB68_4
; %bb.3:
	s_load_b32 s3, s[0:1], 0xd0
	s_mov_b32 s5, 0
	s_wait_kmcnt 0x0
	s_mul_i32 s3, s3, s2
	s_wait_alu 0xfffe
	s_add_co_i32 s4, s3, ttmp9
	s_wait_alu 0xfffe
	s_lshl_b64 s[4:5], s[4:5], 2
	s_wait_alu 0xfffe
	s_add_nc_u64 s[4:5], s[14:15], s[4:5]
	s_load_b32 s28, s[4:5], 0x0
.LBB68_4:
	s_and_b32 s4, ttmp7, 0xffff
	v_lshlrev_b32_e32 v39, 2, v2
	v_mbcnt_lo_u32_b32 v40, -1, 0
	s_wait_alu 0xfffe
	s_lshl_b32 s10, s4, 5
	s_wait_kmcnt 0x0
	s_wait_alu 0xfffe
	s_cmp_lt_i32 s10, s28
	s_cbranch_scc1 .LBB68_7
; %bb.5:
	v_mbcnt_lo_u32_b32 v4, -1, 0
	v_mov_b32_e32 v43, 32
	s_delay_alu instid0(VALU_DEP_2)
	v_xor_b32_e32 v70, 16, v4
	v_xor_b32_e32 v68, 8, v4
	;; [unrolled: 1-line block ×5, first 2 shown]
	s_mov_b32 s3, 0
	s_cbranch_execz .LBB68_8
; %bb.6:
	v_dual_mov_b32 v49, 0 :: v_dual_mov_b32 v36, 0xfeffffff
	v_dual_mov_b32 v73, 0 :: v_dual_mov_b32 v64, 0
	v_mov_b32_e32 v53, 0
	v_mov_b32_e32 v65, 0
	s_branch .LBB68_16
.LBB68_7:
                                        ; implicit-def: $vgpr4
                                        ; implicit-def: $vgpr43
                                        ; implicit-def: $vgpr70
                                        ; implicit-def: $vgpr68
                                        ; implicit-def: $vgpr69
                                        ; implicit-def: $vgpr71
                                        ; implicit-def: $vgpr72
	s_mov_b32 s3, 0
.LBB68_8:
	s_mul_f32 s5, s24, 0x4f7ffffe
	s_sub_co_i32 s14, 0, s29
	s_clause 0x1
	s_load_b128 s[24:27], s[0:1], 0x98
	s_load_b64 s[40:41], s[0:1], 0x8c
	s_abs_i32 s34, s33
	s_cvt_u32_f32 s11, s5
	s_mov_b32 s15, s35
	s_load_b32 s5, s[0:1], 0x54
	v_dual_mov_b32 v66, 0 :: v_dual_lshlrev_b32 v41, 2, v39
	s_mul_i32 s14, s14, s11
	v_lshl_add_u32 v54, v6, 6, 0x4a00
	s_mul_hi_u32 s14, s11, s14
	s_delay_alu instid0(VALU_DEP_2)
	v_mad_u32_u24 v42, 0x210, v6, v41
	s_add_co_i32 s14, s11, s14
	s_ashr_i32 s11, s33, 31
	s_mul_u64 s[14:15], s[34:35], s[14:15]
	s_ashr_i32 s14, s38, 31
	s_ashr_i32 s38, s37, 1
	s_load_b64 s[36:37], s[0:1], 0xa8
	s_mul_i32 s20, s15, s29
	s_xor_b32 s11, s11, s14
	s_wait_alu 0xfffe
	s_sub_co_i32 s34, s34, s20
	s_add_co_i32 s21, s15, 1
	s_wait_kmcnt 0x0
	s_ashr_i32 s14, s26, 2
	s_ashr_i32 s20, s40, 2
	s_sub_co_i32 s35, s34, s29
	s_cmp_ge_u32 s34, s29
	s_wait_alu 0xfffe
	v_mul_lo_u32 v7, s20, v6
	v_mul_lo_u32 v20, s14, v6
	s_cselect_b32 s15, s21, s15
	s_cselect_b32 s21, s35, s34
	s_wait_alu 0xfffe
	s_add_co_i32 s34, s15, 1
	s_cmp_ge_u32 s21, s29
	s_mul_u64 s[24:25], s[24:25], s[2:3]
	s_cselect_b32 s15, s34, s15
	s_and_b32 s29, s40, -4
	s_delay_alu instid0(SALU_CYCLE_1)
	v_dual_mov_b32 v64, 0 :: v_dual_add_nc_u32 v9, s29, v7
	s_mul_u64 s[34:35], s[36:37], s[2:3]
	s_and_b32 s3, s26, -4
	s_wait_alu 0xfffe
	v_dual_mov_b32 v53, 0 :: v_dual_add_nc_u32 v24, s3, v20
	v_add_nc_u32_e32 v11, s29, v9
	s_xor_b32 s15, s15, s11
	v_mad_co_u64_u32 v[3:4], null, v3, s38, v[2:3]
	s_delay_alu instid0(VALU_DEP_3) | instskip(NEXT) | instid1(VALU_DEP_3)
	v_add_nc_u32_e32 v28, s3, v24
	v_add_nc_u32_e32 v13, s29, v11
	s_wait_alu 0xfffe
	s_sub_co_i32 s11, s15, s11
	v_ashrrev_i32_e32 v8, 31, v7
	v_ashrrev_i32_e32 v10, 31, v9
	v_add_nc_u32_e32 v30, s3, v28
	v_add_nc_u32_e32 v15, s29, v13
	v_ashrrev_i32_e32 v12, 31, v11
	v_ashrrev_i32_e32 v14, 31, v13
	s_delay_alu instid0(VALU_DEP_4) | instskip(NEXT) | instid1(VALU_DEP_4)
	v_dual_mov_b32 v67, 0xfeffffff :: v_dual_add_nc_u32 v32, s3, v30
	v_add_nc_u32_e32 v17, s29, v15
	v_ashrrev_i32_e32 v16, 31, v15
	v_lshl_add_u32 v4, v6, 9, v41
	v_ashrrev_i32_e32 v21, 31, v20
	v_add_nc_u32_e32 v34, s3, v32
	v_add_nc_u32_e32 v22, s29, v17
	v_ashrrev_i32_e32 v18, 31, v17
	v_ashrrev_i32_e32 v25, 31, v24
	;; [unrolled: 1-line block ×3, first 2 shown]
	v_add_nc_u32_e32 v68, s3, v34
	v_add_nc_u32_e32 v26, s29, v22
	v_ashrrev_i32_e32 v23, 31, v22
	v_ashrrev_i32_e32 v31, 31, v30
	;; [unrolled: 1-line block ×3, first 2 shown]
	v_add_nc_u32_e32 v70, s3, v68
	v_ashrrev_i32_e32 v27, 31, v26
	v_ashrrev_i32_e32 v35, 31, v34
	;; [unrolled: 1-line block ×3, first 2 shown]
	s_add_nc_u64 s[6:7], s[6:7], s[24:25]
	v_ashrrev_i32_e32 v71, 31, v70
	s_wait_alu 0xfffe
	s_mul_i32 s24, s11, s41
	v_add_nc_u32_e32 v56, v5, v41
	s_wait_alu 0xfffe
	s_ashr_i32 s25, s24, 31
	v_add_nc_u32_e32 v57, 0x800, v4
	s_wait_alu 0xfffe
	s_add_nc_u64 s[6:7], s[6:7], s[24:25]
	s_mul_i32 s24, s11, s27
	v_add_nc_u32_e32 v58, 0x1000, v4
	v_add_nc_u32_e32 v59, 0x1800, v4
	;; [unrolled: 1-line block ×6, first 2 shown]
	v_lshlrev_b64_e32 v[4:5], 2, v[7:8]
	v_lshlrev_b64_e32 v[6:7], 2, v[9:10]
	;; [unrolled: 1-line block ×16, first 2 shown]
	v_dual_mov_b32 v43, 32 :: v_dual_add_nc_u32 v44, 0x840, v42
	v_add_nc_u32_e32 v45, 0x1080, v42
	v_dual_mov_b32 v65, 0 :: v_dual_add_nc_u32 v46, 0x18c0, v42
	v_add_nc_u32_e32 v47, 0x2100, v42
	;; [unrolled: 2-line block ×3, first 2 shown]
	v_add_nc_u32_e32 v51, 0x39c0, v42
	v_mul_u32_u24_e32 v52, 0x210, v2
	v_lshl_add_u32 v55, v2, 1, v54
	s_add_nc_u64 s[8:9], s[8:9], s[34:35]
	s_wait_alu 0xfffe
	s_ashr_i32 s25, s24, 31
	s_ashr_i32 s21, s20, 31
	s_wait_alu 0xfffe
	s_add_nc_u64 s[8:9], s[8:9], s[24:25]
	s_ashr_i32 s15, s14, 31
	s_add_nc_u64 s[24:25], s[0:1], 0xd0
	s_mov_b32 s3, 0xbbbac73d
.LBB68_9:                               ; =>This Inner Loop Header: Depth=1
	s_ashr_i32 s11, s10, 31
	s_wait_alu 0xfffe
	s_mul_u64 s[26:27], s[10:11], s[20:21]
	s_wait_alu 0xfffe
	s_lshl_b64 s[26:27], s[26:27], 2
	s_wait_alu 0xfffe
	s_add_nc_u64 s[26:27], s[6:7], s[26:27]
	s_wait_alu 0xfffe
	v_add_co_u32 v36, vcc_lo, s26, v4
	s_wait_alu 0xfffd
	v_add_co_ci_u32_e64 v69, null, s27, v5, vcc_lo
	v_add_co_u32 v70, vcc_lo, s26, v6
	s_wait_alu 0xfffd
	v_add_co_ci_u32_e64 v71, null, s27, v7, vcc_lo
	;; [unrolled: 3-line block ×16, first 2 shown]
	s_clause 0x7
	global_load_b128 v[68:71], v[68:69], off
	global_load_b128 v[72:75], v[72:73], off
	;; [unrolled: 1-line block ×8, first 2 shown]
	v_mov_b32_e32 v36, 0
	s_wait_loadcnt 0x7
	ds_store_b128 v42, v[68:71]
	s_wait_loadcnt 0x6
	ds_store_b128 v44, v[72:75]
	;; [unrolled: 2-line block ×8, first 2 shown]
	s_wait_dscnt 0x0
	s_barrier_signal -1
	s_barrier_wait -1
	global_inv scope:SCOPE_SE
	ds_load_b128 v[68:71], v52
	ds_load_b128 v[72:75], v37
	s_wait_dscnt 0x0
	;;#ASMSTART
	v_dot2_f32_f16 v36, v68, v72, v36
	;;#ASMEND
	;;#ASMSTART
	v_dot2_f32_f16 v36, v69, v73, v36
	;;#ASMEND
	;;#ASMSTART
	v_dot2_f32_f16 v36, v70, v74, v36
	;;#ASMEND
	;;#ASMSTART
	v_dot2_f32_f16 v36, v71, v75, v36
	;;#ASMEND
	ds_load_b128 v[68:71], v52 offset:16
	ds_load_b128 v[72:75], v37 offset:16
	s_wait_dscnt 0x0
	;;#ASMSTART
	v_dot2_f32_f16 v36, v68, v72, v36
	;;#ASMEND
	;;#ASMSTART
	v_dot2_f32_f16 v36, v69, v73, v36
	;;#ASMEND
	;;#ASMSTART
	v_dot2_f32_f16 v36, v70, v74, v36
	;;#ASMEND
	;;#ASMSTART
	v_dot2_f32_f16 v36, v71, v75, v36
	;;#ASMEND
	ds_load_b128 v[68:71], v52 offset:32
	ds_load_b128 v[72:75], v37 offset:32
	;; [unrolled: 15-line block ×31, first 2 shown]
	v_add_nc_u32_e32 v76, s10, v3
	s_wait_dscnt 0x0
	;;#ASMSTART
	v_dot2_f32_f16 v36, v68, v72, v36
	;;#ASMEND
	s_delay_alu instid0(VALU_DEP_1)
	v_ashrrev_i32_e32 v77, 31, v76
	;;#ASMSTART
	v_dot2_f32_f16 v36, v69, v73, v36
	;;#ASMEND
	;;#ASMSTART
	v_dot2_f32_f16 v36, v70, v74, v36
	;;#ASMEND
	;; [unrolled: 3-line block ×3, first 2 shown]
	v_cmp_ngt_f32_e64 s26, 0x3f200000, |v36|
	v_lshlrev_b64_e32 v[76:77], 1, v[76:77]
                                        ; implicit-def: $vgpr69
	s_delay_alu instid0(VALU_DEP_1) | instskip(SKIP_1) | instid1(VALU_DEP_2)
	v_add_co_u32 v76, vcc_lo, s30, v76
	s_wait_alu 0xfffd
	v_add_co_ci_u32_e64 v77, null, s31, v77, vcc_lo
	global_load_u16 v68, v[76:77], off
	s_and_saveexec_b32 s27, s26
	s_wait_alu 0xfffe
	s_xor_b32 s26, exec_lo, s27
	s_cbranch_execz .LBB68_11
; %bb.10:                               ;   in Loop: Header=BB68_9 Depth=1
	v_add_f32_e64 v69, |v36|, |v36|
	s_delay_alu instid0(VALU_DEP_1) | instskip(SKIP_1) | instid1(VALU_DEP_2)
	v_mul_f32_e32 v70, 0x3fb8aa3b, v69
	v_cmp_ngt_f32_e32 vcc_lo, 0xc2ce8ed0, v69
	v_rndne_f32_e32 v71, v70
	v_fma_f32 v72, 0x3fb8aa3b, v69, -v70
	s_delay_alu instid0(VALU_DEP_2) | instskip(NEXT) | instid1(VALU_DEP_2)
	v_sub_f32_e32 v70, v70, v71
	v_fmac_f32_e32 v72, 0x32a5705f, v69
	v_cvt_i32_f32_e32 v71, v71
	s_delay_alu instid0(VALU_DEP_2) | instskip(NEXT) | instid1(VALU_DEP_1)
	v_add_f32_e32 v70, v70, v72
	v_exp_f32_e32 v70, v70
	s_delay_alu instid0(TRANS32_DEP_1) | instskip(SKIP_1) | instid1(VALU_DEP_1)
	v_ldexp_f32 v70, v70, v71
	s_wait_alu 0xfffd
	v_cndmask_b32_e32 v70, 0, v70, vcc_lo
	v_cmp_nlt_f32_e32 vcc_lo, 0x42b17218, v69
	s_wait_alu 0xfffd
	s_delay_alu instid0(VALU_DEP_2) | instskip(NEXT) | instid1(VALU_DEP_1)
	v_cndmask_b32_e32 v69, 0x7f800000, v70, vcc_lo
	v_add_f32_e32 v69, 1.0, v69
	s_delay_alu instid0(VALU_DEP_1) | instskip(NEXT) | instid1(TRANS32_DEP_1)
	v_rcp_f32_e32 v69, v69
	v_fma_f32 v69, v69, -2.0, 1.0
.LBB68_11:                              ;   in Loop: Header=BB68_9 Depth=1
	s_wait_alu 0xfffe
	s_and_not1_saveexec_b32 s26, s26
	s_cbranch_execz .LBB68_13
; %bb.12:                               ;   in Loop: Header=BB68_9 Depth=1
	v_mul_f32_e32 v69, v36, v36
	s_delay_alu instid0(VALU_DEP_1) | instskip(NEXT) | instid1(VALU_DEP_1)
	v_fmaak_f32 v70, s3, v69, 0x3ca908c9
	v_fmaak_f32 v70, v69, v70, 0xbd5c1c4e
	s_delay_alu instid0(VALU_DEP_1) | instskip(NEXT) | instid1(VALU_DEP_1)
	v_fmaak_f32 v70, v69, v70, 0x3e088382
	v_fmaak_f32 v70, v69, v70, 0xbeaaaa99
	s_delay_alu instid0(VALU_DEP_1) | instskip(NEXT) | instid1(VALU_DEP_1)
	v_mul_f32_e64 v70, |v36|, v70
	v_fma_f32 v69, v69, v70, |v36|
.LBB68_13:                              ;   in Loop: Header=BB68_9 Depth=1
	s_wait_alu 0xfffe
	s_or_b32 exec_lo, exec_lo, s26
	s_mul_u64 s[26:27], s[10:11], s[14:15]
	s_wait_loadcnt 0x0
	s_wait_alu 0xfffe
	s_lshl_b64 s[26:27], s[26:27], 2
	s_barrier_signal -1
	s_wait_alu 0xfffe
	s_add_nc_u64 s[26:27], s[8:9], s[26:27]
	s_barrier_wait -1
	s_wait_alu 0xfffe
	v_add_co_u32 v70, vcc_lo, s26, v20
	s_wait_alu 0xfffd
	v_add_co_ci_u32_e64 v71, null, s27, v21, vcc_lo
	v_add_co_u32 v72, vcc_lo, s26, v22
	s_wait_alu 0xfffd
	v_add_co_ci_u32_e64 v73, null, s27, v23, vcc_lo
	;; [unrolled: 3-line block ×16, first 2 shown]
	global_inv scope:SCOPE_SE
	s_clause 0x7
	global_load_b128 v[74:77], v[70:71], off
	global_load_b128 v[78:81], v[72:73], off
	global_load_b128 v[82:85], v[82:83], off
	global_load_b128 v[86:89], v[86:87], off
	global_load_b128 v[90:93], v[90:91], off
	global_load_b128 v[94:97], v[94:95], off
	global_load_b128 v[98:101], v[98:99], off
	global_load_b128 v[102:105], v[102:103], off
	v_bfi_b32 v36, 0x7fffffff, v69, v36
	v_xor_b32_e32 v70, 16, v40
	v_add_nc_u32_e32 v114, 0x800, v0
	v_add_nc_u32_e32 v130, 0x1000, v0
	;; [unrolled: 1-line block ×3, first 2 shown]
	v_fma_mix_f32 v73, s5, v36, v68 op_sel_hi:[0,0,1]
	v_cmp_gt_i32_e32 vcc_lo, 32, v70
	v_max_num_f32_e32 v36, v67, v67
	v_add_nc_u32_e32 v162, 0x2000, v0
	v_add_nc_u32_e32 v178, 0x2800, v0
	s_wait_alu 0xfffd
	v_dual_add_f32 v69, 0x40051340, v73 :: v_dual_cndmask_b32 v68, v40, v70
	v_add_nc_u32_e32 v194, 0x3000, v0
	v_add_nc_u32_e32 v210, 0x3800, v0
	s_delay_alu instid0(VALU_DEP_3) | instskip(NEXT) | instid1(VALU_DEP_4)
	v_max_num_f32_e32 v36, v36, v69
	v_lshlrev_b32_e32 v68, 2, v68
	ds_bpermute_b32 v69, v68, v36
	v_xor_b32_e32 v68, 8, v40
	s_delay_alu instid0(VALU_DEP_1) | instskip(SKIP_2) | instid1(VALU_DEP_1)
	v_cmp_gt_i32_e32 vcc_lo, 32, v68
	s_wait_alu 0xfffd
	v_cndmask_b32_e32 v71, v40, v68, vcc_lo
	v_lshlrev_b32_e32 v71, 2, v71
	s_wait_dscnt 0x0
	v_max_num_f32_e32 v69, v69, v69
	s_delay_alu instid0(VALU_DEP_1)
	v_max_num_f32_e32 v36, v36, v69
	v_xor_b32_e32 v69, 4, v40
	ds_bpermute_b32 v71, v71, v36
	v_cmp_gt_i32_e32 vcc_lo, 32, v69
	s_wait_alu 0xfffd
	v_cndmask_b32_e32 v72, v40, v69, vcc_lo
	s_wait_dscnt 0x0
	s_delay_alu instid0(VALU_DEP_1) | instskip(NEXT) | instid1(VALU_DEP_1)
	v_dual_max_num_f32 v71, v71, v71 :: v_dual_lshlrev_b32 v72, 2, v72
	v_max_num_f32_e32 v36, v36, v71
	v_xor_b32_e32 v71, 2, v40
	ds_bpermute_b32 v72, v72, v36
	v_cmp_gt_i32_e32 vcc_lo, 32, v71
	s_wait_alu 0xfffd
	v_cndmask_b32_e32 v106, v40, v71, vcc_lo
	s_delay_alu instid0(VALU_DEP_1) | instskip(SKIP_2) | instid1(VALU_DEP_1)
	v_lshlrev_b32_e32 v106, 2, v106
	s_wait_dscnt 0x0
	v_max_num_f32_e32 v72, v72, v72
	v_max_num_f32_e32 v36, v36, v72
	v_xor_b32_e32 v72, 1, v40
	ds_bpermute_b32 v106, v106, v36
	v_cmp_gt_i32_e32 vcc_lo, 32, v72
	s_wait_dscnt 0x0
	s_wait_alu 0xfffd
	v_dual_cndmask_b32 v107, v40, v72 :: v_dual_max_num_f32 v106, v106, v106
	s_delay_alu instid0(VALU_DEP_1) | instskip(SKIP_3) | instid1(VALU_DEP_1)
	v_dual_max_num_f32 v36, v36, v106 :: v_dual_lshlrev_b32 v107, 2, v107
	ds_bpermute_b32 v106, v107, v36
	s_wait_dscnt 0x0
	v_max_num_f32_e32 v106, v106, v106
	v_max_num_f32_e32 v36, v36, v106
	s_delay_alu instid0(VALU_DEP_1) | instskip(NEXT) | instid1(VALU_DEP_1)
	v_sub_f32_e32 v67, v67, v36
	v_dual_sub_f32 v73, v73, v36 :: v_dual_mul_f32 v106, 0x3fb8aa3b, v67
	s_delay_alu instid0(VALU_DEP_1) | instskip(SKIP_1) | instid1(VALU_DEP_3)
	v_mul_f32_e32 v109, 0x3fb8aa3b, v73
	v_cmp_ngt_f32_e32 vcc_lo, 0xc2ce8ed0, v67
	v_fma_f32 v107, 0x3fb8aa3b, v67, -v106
	v_rndne_f32_e32 v108, v106
	s_delay_alu instid0(VALU_DEP_4) | instskip(SKIP_1) | instid1(VALU_DEP_3)
	v_fma_f32 v110, 0x3fb8aa3b, v73, -v109
	v_rndne_f32_e32 v111, v109
	v_dual_fmac_f32 v107, 0x32a5705f, v67 :: v_dual_sub_f32 v106, v106, v108
	s_delay_alu instid0(VALU_DEP_3) | instskip(SKIP_1) | instid1(VALU_DEP_3)
	v_fmac_f32_e32 v110, 0x32a5705f, v73
	v_cvt_i32_f32_e32 v108, v108
	v_add_f32_e32 v106, v106, v107
	v_sub_f32_e32 v107, v109, v111
	s_delay_alu instid0(VALU_DEP_2) | instskip(NEXT) | instid1(VALU_DEP_1)
	v_exp_f32_e32 v106, v106
	v_add_f32_e32 v107, v107, v110
	s_delay_alu instid0(VALU_DEP_1) | instskip(NEXT) | instid1(TRANS32_DEP_2)
	v_exp_f32_e32 v107, v107
	v_ldexp_f32 v106, v106, v108
	v_cvt_i32_f32_e32 v108, v111
	s_wait_alu 0xfffd
	s_delay_alu instid0(VALU_DEP_2)
	v_cndmask_b32_e32 v106, 0, v106, vcc_lo
	v_cmp_nlt_f32_e32 vcc_lo, 0x42b17218, v67
	s_delay_alu instid0(TRANS32_DEP_1) | instid1(VALU_DEP_3)
	v_ldexp_f32 v107, v107, v108
	s_wait_alu 0xfffd
	s_delay_alu instid0(VALU_DEP_3) | instskip(SKIP_3) | instid1(VALU_DEP_3)
	v_cndmask_b32_e32 v67, 0x7f800000, v106, vcc_lo
	v_cmp_ngt_f32_e32 vcc_lo, 0xc2ce8ed0, v73
	s_wait_alu 0xfffd
	v_cndmask_b32_e32 v106, 0, v107, vcc_lo
	v_cvt_f16_f32_e32 v107, v67
	v_cmp_nlt_f32_e32 vcc_lo, 0x42b17218, v73
	s_wait_alu 0xfffd
	s_delay_alu instid0(VALU_DEP_3) | instskip(NEXT) | instid1(VALU_DEP_3)
	v_cndmask_b32_e32 v73, 0x7f800000, v106, vcc_lo
	v_and_b32_e32 v106, 0xffff, v107
	s_delay_alu instid0(VALU_DEP_2) | instskip(NEXT) | instid1(VALU_DEP_2)
	v_cvt_f16_f32_e32 v107, v73
	v_mul_u32_u24_e32 v214, 0x10001, v106
	v_fmac_f32_e32 v73, v66, v67
	ds_store_b16 v55, v107
	v_pk_mul_f16 v215, v65, v214
	v_pk_mul_f16 v216, v64, v214
	s_wait_loadcnt 0x7
	ds_store_b128 v56, v[74:77]
	s_wait_loadcnt 0x6
	ds_store_b128 v57, v[78:81]
	;; [unrolled: 2-line block ×8, first 2 shown]
	s_wait_dscnt 0x0
	s_barrier_signal -1
	s_barrier_wait -1
	global_inv scope:SCOPE_SE
	ds_load_2addr_b64 v[64:67], v0 offset1:32
	ds_load_b128 v[74:77], v54
	ds_load_b128 v[78:81], v54 offset:16
	ds_load_b128 v[82:85], v54 offset:32
	;; [unrolled: 1-line block ×3, first 2 shown]
	ds_load_2addr_b64 v[90:93], v0 offset0:64 offset1:96
	ds_load_2addr_b64 v[94:97], v0 offset0:128 offset1:160
	ds_load_2addr_b64 v[98:101], v0 offset0:192 offset1:224
	ds_load_2addr_b64 v[102:105], v114 offset1:32
	ds_load_2addr_b64 v[106:109], v114 offset0:64 offset1:96
	ds_load_2addr_b64 v[110:113], v114 offset0:128 offset1:160
	ds_load_2addr_b64 v[114:117], v114 offset0:192 offset1:224
	ds_load_2addr_b64 v[118:121], v130 offset1:32
	;; [unrolled: 4-line block ×7, first 2 shown]
	ds_load_2addr_b64 v[202:205], v210 offset0:64 offset1:96
	ds_load_2addr_b64 v[206:209], v210 offset0:128 offset1:160
	;; [unrolled: 1-line block ×3, first 2 shown]
	s_wait_dscnt 0x22
	v_lshrrev_b32_e32 v217, 16, v74
	v_and_b32_e32 v74, 0xffff, v74
	v_lshrrev_b32_e32 v218, 16, v75
	v_and_b32_e32 v75, 0xffff, v75
	v_lshrrev_b32_e32 v219, 16, v76
	v_mul_u32_u24_e32 v217, 0x10001, v217
	v_mul_u32_u24_e32 v74, 0x10001, v74
	v_and_b32_e32 v76, 0xffff, v76
	v_lshrrev_b32_e32 v220, 16, v77
	v_and_b32_e32 v77, 0xffff, v77
	s_wait_dscnt 0x21
	v_lshrrev_b32_e32 v221, 16, v78
	v_pk_mul_f16 v64, v64, v74
	v_pk_mul_f16 v65, v65, v74
	v_pk_fma_f16 v66, v66, v74, v215
	v_pk_fma_f16 v67, v67, v74, v216
	v_and_b32_e32 v78, 0xffff, v78
	v_pk_fma_f16 v49, v49, v214, v64
	v_pk_fma_f16 v53, v53, v214, v65
	v_mul_u32_u24_e32 v64, 0x10001, v75
	s_wait_dscnt 0x1e
	v_pk_fma_f16 v65, v92, v217, v66
	v_pk_fma_f16 v66, v93, v217, v67
	v_pk_fma_f16 v49, v90, v217, v49
	v_pk_fma_f16 v53, v91, v217, v53
	v_mul_u32_u24_e32 v67, 0x10001, v218
	s_wait_dscnt 0x1d
	v_pk_fma_f16 v65, v96, v64, v65
	v_pk_fma_f16 v66, v97, v64, v66
	v_pk_fma_f16 v49, v94, v64, v49
	v_pk_fma_f16 v53, v95, v64, v53
	v_mul_u32_u24_e32 v64, 0x10001, v76
	s_wait_dscnt 0x1c
	v_pk_fma_f16 v65, v100, v67, v65
	v_pk_fma_f16 v66, v101, v67, v66
	v_pk_fma_f16 v49, v98, v67, v49
	v_pk_fma_f16 v53, v99, v67, v53
	v_mul_u32_u24_e32 v67, 0x10001, v219
	s_wait_dscnt 0x1b
	v_pk_fma_f16 v65, v104, v64, v65
	v_pk_fma_f16 v66, v105, v64, v66
	v_pk_fma_f16 v49, v102, v64, v49
	v_pk_fma_f16 v53, v103, v64, v53
	v_mul_u32_u24_e32 v64, 0x10001, v77
	s_wait_dscnt 0x1a
	v_pk_fma_f16 v65, v108, v67, v65
	v_pk_fma_f16 v66, v109, v67, v66
	v_pk_fma_f16 v49, v106, v67, v49
	v_pk_fma_f16 v53, v107, v67, v53
	v_mul_u32_u24_e32 v67, 0x10001, v220
	s_wait_dscnt 0x19
	v_pk_fma_f16 v65, v112, v64, v65
	v_pk_fma_f16 v66, v113, v64, v66
	v_pk_fma_f16 v49, v110, v64, v49
	v_pk_fma_f16 v53, v111, v64, v53
	v_mul_u32_u24_e32 v64, 0x10001, v78
	s_wait_dscnt 0x18
	v_pk_fma_f16 v65, v116, v67, v65
	v_pk_fma_f16 v66, v117, v67, v66
	v_pk_fma_f16 v49, v114, v67, v49
	v_pk_fma_f16 v53, v115, v67, v53
	v_lshrrev_b32_e32 v222, 16, v79
	v_and_b32_e32 v79, 0xffff, v79
	v_mul_u32_u24_e32 v67, 0x10001, v221
	s_wait_dscnt 0x17
	v_pk_fma_f16 v65, v120, v64, v65
	v_pk_fma_f16 v66, v121, v64, v66
	v_pk_fma_f16 v49, v118, v64, v49
	v_pk_fma_f16 v53, v119, v64, v53
	v_mul_u32_u24_e32 v64, 0x10001, v79
	s_wait_dscnt 0x16
	v_pk_fma_f16 v65, v124, v67, v65
	v_pk_fma_f16 v66, v125, v67, v66
	v_pk_fma_f16 v49, v122, v67, v49
	v_pk_fma_f16 v53, v123, v67, v53
	v_lshrrev_b32_e32 v223, 16, v80
	v_and_b32_e32 v80, 0xffff, v80
	v_mul_u32_u24_e32 v67, 0x10001, v222
	s_wait_dscnt 0x15
	v_pk_fma_f16 v65, v128, v64, v65
	v_pk_fma_f16 v66, v129, v64, v66
	v_pk_fma_f16 v49, v126, v64, v49
	v_pk_fma_f16 v53, v127, v64, v53
	v_mul_u32_u24_e32 v64, 0x10001, v80
	s_wait_dscnt 0x14
	v_pk_fma_f16 v65, v132, v67, v65
	v_pk_fma_f16 v66, v133, v67, v66
	;; [unrolled: 14-line block ×9, first 2 shown]
	v_pk_fma_f16 v49, v186, v67, v49
	v_pk_fma_f16 v53, v187, v67, v53
	v_lshrrev_b32_e32 v231, 16, v88
	v_and_b32_e32 v88, 0xffff, v88
	v_mul_u32_u24_e32 v67, 0x10001, v230
	s_wait_dscnt 0x5
	v_pk_fma_f16 v65, v192, v64, v65
	v_pk_fma_f16 v66, v193, v64, v66
	;; [unrolled: 1-line block ×4, first 2 shown]
	s_wait_loadcnt_dscnt 0x0
	s_barrier_signal -1
	s_barrier_wait -1
	global_inv scope:SCOPE_SE
	s_load_b32 s11, s[24:25], 0x4
	v_mul_u32_u24_e32 v64, 0x10001, v88
	v_pk_fma_f16 v65, v196, v67, v65
	v_pk_fma_f16 v66, v197, v67, v66
	;; [unrolled: 1-line block ×4, first 2 shown]
	v_lshrrev_b32_e32 v232, 16, v89
	v_and_b32_e32 v89, 0xffff, v89
	v_mul_u32_u24_e32 v67, 0x10001, v231
	v_pk_fma_f16 v65, v200, v64, v65
	v_pk_fma_f16 v66, v201, v64, v66
	v_pk_fma_f16 v49, v198, v64, v49
	v_pk_fma_f16 v53, v199, v64, v53
	v_mul_u32_u24_e32 v64, 0x10001, v89
	v_pk_fma_f16 v65, v204, v67, v65
	v_pk_fma_f16 v66, v205, v67, v66
	v_pk_fma_f16 v49, v202, v67, v49
	v_pk_fma_f16 v53, v203, v67, v53
	;; [unrolled: 5-line block ×3, first 2 shown]
	s_wait_kmcnt 0x0
	s_lshl_b32 s11, s11, 5
	v_pk_fma_f16 v65, v212, v67, v65
	v_pk_fma_f16 v64, v213, v67, v66
	v_pk_fma_f16 v49, v210, v67, v49
	v_pk_fma_f16 v53, v211, v67, v53
	s_wait_alu 0xfffe
	s_add_co_i32 s10, s11, s10
	s_wait_alu 0xfffe
	s_cmp_ge_i32 s10, s28
	s_cbranch_scc1 .LBB68_15
; %bb.14:                               ;   in Loop: Header=BB68_9 Depth=1
	v_dual_mov_b32 v67, v36 :: v_dual_mov_b32 v66, v73
	s_branch .LBB68_9
.LBB68_15:
	v_mov_b32_e32 v4, v40
.LBB68_16:
	v_cmp_lt_i32_e32 vcc_lo, v70, v43
	s_cmp_lg_u64 s[12:13], 0
	s_cselect_b32 s3, -1, 0
	s_cmp_eq_u32 s4, 0
	s_wait_alu 0xfffd
	v_cndmask_b32_e32 v0, v4, v70, vcc_lo
	v_cmp_lt_i32_e32 vcc_lo, v68, v43
	s_cselect_b32 s5, -1, 0
	s_wait_alu 0xfffe
	s_and_b32 s3, s5, s3
	s_wait_alu 0xfffd
	v_cndmask_b32_e32 v3, v4, v68, vcc_lo
	v_cmp_lt_i32_e32 vcc_lo, v69, v43
	s_delay_alu instid0(VALU_DEP_2)
	v_lshlrev_b32_e32 v3, 2, v3
	s_wait_alu 0xfffd
	v_dual_cndmask_b32 v5, v4, v69 :: v_dual_lshlrev_b32 v0, 2, v0
	v_cmp_lt_i32_e32 vcc_lo, v71, v43
	ds_bpermute_b32 v0, v0, v73
	s_wait_dscnt 0x0
	v_dual_add_f32 v0, v73, v0 :: v_dual_lshlrev_b32 v5, 2, v5
	ds_bpermute_b32 v3, v3, v0
	s_wait_dscnt 0x0
	v_add_f32_e32 v0, v0, v3
	ds_bpermute_b32 v3, v5, v0
	s_wait_alu 0xfffd
	v_cndmask_b32_e32 v5, v4, v71, vcc_lo
	v_cmp_lt_i32_e32 vcc_lo, v72, v43
	s_wait_alu 0xfffd
	v_cndmask_b32_e32 v4, v4, v72, vcc_lo
	s_wait_alu 0xfffe
	s_and_b32 vcc_lo, exec_lo, s3
	s_delay_alu instid0(VALU_DEP_1)
	v_lshlrev_b32_e32 v4, 2, v4
	s_wait_dscnt 0x0
	v_dual_add_f32 v0, v0, v3 :: v_dual_lshlrev_b32 v5, 2, v5
	ds_bpermute_b32 v3, v5, v0
	s_wait_dscnt 0x0
	v_add_f32_e32 v0, v0, v3
	ds_bpermute_b32 v3, v4, v0
	s_wait_dscnt 0x0
	v_add_f32_e32 v37, v0, v3
	s_wait_alu 0xfffe
	s_cbranch_vccz .LBB68_18
; %bb.17:
	v_add_nc_u32_e32 v3, s33, v38
	s_delay_alu instid0(VALU_DEP_1) | instskip(NEXT) | instid1(VALU_DEP_1)
	v_ashrrev_i32_e32 v4, 31, v3
	v_lshlrev_b64_e32 v[3:4], 2, v[3:4]
	s_delay_alu instid0(VALU_DEP_1) | instskip(SKIP_1) | instid1(VALU_DEP_2)
	v_add_co_u32 v3, vcc_lo, s12, v3
	s_wait_alu 0xfffd
	v_add_co_ci_u32_e64 v4, null, s13, v4, vcc_lo
	global_load_b32 v0, v[3:4], off
	v_max_num_f32_e32 v3, v36, v36
	s_wait_loadcnt 0x0
	v_max_num_f32_e32 v4, v0, v0
	s_delay_alu instid0(VALU_DEP_1) | instskip(NEXT) | instid1(VALU_DEP_1)
	v_max_num_f32_e32 v3, v3, v4
	v_sub_f32_e32 v4, v36, v3
	s_delay_alu instid0(VALU_DEP_1) | instskip(NEXT) | instid1(VALU_DEP_1)
	v_dual_sub_f32 v0, v0, v3 :: v_dual_mul_f32 v5, 0x3fb8aa3b, v4
	v_fma_f32 v6, 0x3fb8aa3b, v4, -v5
	v_rndne_f32_e32 v7, v5
	s_delay_alu instid0(VALU_DEP_3) | instskip(NEXT) | instid1(VALU_DEP_2)
	v_mul_f32_e32 v8, 0x3fb8aa3b, v0
	v_dual_fmac_f32 v6, 0x32a5705f, v4 :: v_dual_sub_f32 v5, v5, v7
	s_delay_alu instid0(VALU_DEP_2) | instskip(SKIP_2) | instid1(VALU_DEP_4)
	v_fma_f32 v9, 0x3fb8aa3b, v0, -v8
	v_rndne_f32_e32 v10, v8
	v_cvt_i32_f32_e32 v7, v7
	v_add_f32_e32 v5, v5, v6
	v_cmp_ngt_f32_e32 vcc_lo, 0xc2ce8ed0, v4
	s_delay_alu instid0(VALU_DEP_4) | instskip(SKIP_1) | instid1(VALU_DEP_4)
	v_dual_sub_f32 v6, v8, v10 :: v_dual_fmac_f32 v9, 0x32a5705f, v0
	v_mov_b32_e32 v36, v3
	v_exp_f32_e32 v5, v5
	s_delay_alu instid0(VALU_DEP_2) | instskip(NEXT) | instid1(VALU_DEP_1)
	v_add_f32_e32 v6, v6, v9
	v_exp_f32_e32 v6, v6
	s_delay_alu instid0(TRANS32_DEP_2) | instskip(SKIP_2) | instid1(VALU_DEP_2)
	v_ldexp_f32 v5, v5, v7
	v_cvt_i32_f32_e32 v7, v10
	s_wait_alu 0xfffd
	v_cndmask_b32_e32 v5, 0, v5, vcc_lo
	v_cmp_nlt_f32_e32 vcc_lo, 0x42b17218, v4
	s_delay_alu instid0(TRANS32_DEP_1) | instid1(VALU_DEP_3)
	v_ldexp_f32 v6, v6, v7
	s_wait_alu 0xfffd
	s_delay_alu instid0(VALU_DEP_3)
	v_cndmask_b32_e32 v4, 0x7f800000, v5, vcc_lo
	v_cmp_ngt_f32_e32 vcc_lo, 0xc2ce8ed0, v0
	s_wait_alu 0xfffd
	v_cndmask_b32_e32 v5, 0, v6, vcc_lo
	v_cmp_nlt_f32_e32 vcc_lo, 0x42b17218, v0
	s_wait_alu 0xfffd
	s_delay_alu instid0(VALU_DEP_2) | instskip(NEXT) | instid1(VALU_DEP_1)
	v_cndmask_b32_e32 v0, 0x7f800000, v5, vcc_lo
	v_fmac_f32_e32 v0, v37, v4
	s_delay_alu instid0(VALU_DEP_1) | instskip(SKIP_1) | instid1(VALU_DEP_1)
	v_mov_b32_e32 v37, v0
	v_cvt_f16_f32_e32 v6, v4
	v_and_b32_e32 v5, 0xffff, v6
	s_delay_alu instid0(VALU_DEP_1) | instskip(NEXT) | instid1(VALU_DEP_1)
	v_mul_u32_u24_e32 v4, 0x10001, v5
	v_pk_mul_f16 v49, v49, v4
	v_pk_mul_f16 v53, v53, v4
	v_pk_mul_f16 v65, v65, v4
	v_pk_mul_f16 v64, v64, v4
.LBB68_18:
	s_mov_b32 s3, exec_lo
	v_cmpx_gt_i32_e64 s22, v1
	s_cbranch_execz .LBB68_21
; %bb.19:
	v_div_scale_f32 v3, null, v37, v37, 1.0
	v_mad_co_u64_u32 v[0:1], null, s2, s22, v[1:2]
	s_load_b32 s1, s[0:1], 0xd4
	v_rcp_f32_e32 v5, v3
	v_div_scale_f32 v4, vcc_lo, 1.0, v37, 1.0
	v_cmp_eq_u32_e64 s0, 0, v2
	v_cvt_f32_f16_e32 v7, v53
	v_mul_lo_u32 v0, v0, s23
	v_lshrrev_b32_e32 v9, 16, v49
	v_lshrrev_b32_e32 v6, 16, v53
	;; [unrolled: 1-line block ×4, first 2 shown]
	s_delay_alu instid0(TRANS32_DEP_1)
	v_fma_f32 v1, -v3, v5, 1.0
	v_cvt_f32_f16_e32 v16, v9
	v_cvt_f32_f16_e32 v6, v6
	v_add3_u32 v0, s33, v38, v0
	v_cvt_f32_f16_e32 v13, v49
	v_dual_fmac_f32 v5, v1, v5 :: v_dual_mov_b32 v2, 0
	v_cvt_f32_f16_e32 v14, v64
	v_cvt_f32_f16_e32 v15, v65
	s_wait_kmcnt 0x0
	v_mad_co_u64_u32 v[0:1], null, s1, v0, s[4:5]
	v_mul_f32_e32 v8, v4, v5
	s_cmp_lg_u32 s1, 1
	v_cvt_f32_f16_e32 v17, v11
	s_cselect_b32 s1, -1, 0
	s_delay_alu instid0(VALU_DEP_2) | instskip(SKIP_2) | instid1(VALU_DEP_1)
	v_fma_f32 v1, -v3, v8, v4
	s_wait_alu 0xfffe
	s_and_b32 s0, s0, s1
	v_fmac_f32_e32 v8, v1, v5
	v_lshl_add_u32 v1, v0, 8, v39
	s_delay_alu instid0(VALU_DEP_2) | instskip(NEXT) | instid1(VALU_DEP_2)
	v_fma_f32 v9, -v3, v8, v4
	v_lshlrev_b64_e32 v[3:4], 2, v[1:2]
	s_wait_alu 0xfffd
	s_delay_alu instid0(VALU_DEP_2) | instskip(SKIP_1) | instid1(VALU_DEP_3)
	v_div_fmas_f32 v5, v9, v5, v8
	v_cvt_f32_f16_e32 v8, v10
	v_add_co_u32 v9, vcc_lo, s16, v3
	s_wait_alu 0xfffd
	v_add_co_ci_u32_e64 v10, null, s17, v4, vcc_lo
	v_div_fixup_f32 v5, v5, v37, 1.0
	s_delay_alu instid0(VALU_DEP_1) | instskip(NEXT) | instid1(VALU_DEP_1)
	v_cndmask_b32_e64 v5, v5, 1.0, s1
	v_dual_mul_f32 v4, v5, v6 :: v_dual_add_nc_u32 v1, 0x80, v1
	s_delay_alu instid0(VALU_DEP_1)
	v_lshlrev_b64_e32 v[1:2], 2, v[1:2]
	v_mul_f32_e32 v3, v5, v7
	v_mul_f32_e32 v8, v5, v8
	;; [unrolled: 1-line block ×4, first 2 shown]
	v_add_co_u32 v11, vcc_lo, s16, v1
	s_wait_alu 0xfffd
	v_add_co_ci_u32_e64 v12, null, s17, v2, vcc_lo
	v_mul_f32_e32 v2, v5, v16
	v_mul_f32_e32 v1, v5, v13
	;; [unrolled: 1-line block ×3, first 2 shown]
	s_clause 0x1
	global_store_b128 v[9:10], v[1:4], off
	global_store_b128 v[11:12], v[5:8], off
	s_wait_alu 0xfffe
	s_and_b32 exec_lo, exec_lo, s0
	s_cbranch_execz .LBB68_21
; %bb.20:
	v_ashrrev_i32_e32 v1, 31, v0
	s_delay_alu instid0(VALU_DEP_1) | instskip(NEXT) | instid1(VALU_DEP_1)
	v_lshlrev_b64_e32 v[0:1], 3, v[0:1]
	v_add_co_u32 v0, vcc_lo, s18, v0
	s_wait_alu 0xfffd
	s_delay_alu instid0(VALU_DEP_2)
	v_add_co_ci_u32_e64 v1, null, s19, v1, vcc_lo
	global_store_b64 v[0:1], v[36:37], off
.LBB68_21:
	s_nop 0
	s_sendmsg sendmsg(MSG_DEALLOC_VGPRS)
	s_endpgm
	.section	.rodata,"a",@progbits
	.p2align	6, 0x0
	.amdhsa_kernel _ZL15flash_attn_tileILi256ELi256ELi2ELi2ELb1EEvPKcS1_S1_S1_S1_PKiPfP15HIP_vector_typeIfLj2EEffffjfiS5_IjLj3EEiiiiiiiiiiiliiliiiiil
		.amdhsa_group_segment_fixed_size 19200
		.amdhsa_private_segment_fixed_size 0
		.amdhsa_kernarg_size 464
		.amdhsa_user_sgpr_count 2
		.amdhsa_user_sgpr_dispatch_ptr 0
		.amdhsa_user_sgpr_queue_ptr 0
		.amdhsa_user_sgpr_kernarg_segment_ptr 1
		.amdhsa_user_sgpr_dispatch_id 0
		.amdhsa_user_sgpr_private_segment_size 0
		.amdhsa_wavefront_size32 1
		.amdhsa_uses_dynamic_stack 0
		.amdhsa_enable_private_segment 0
		.amdhsa_system_sgpr_workgroup_id_x 1
		.amdhsa_system_sgpr_workgroup_id_y 1
		.amdhsa_system_sgpr_workgroup_id_z 1
		.amdhsa_system_sgpr_workgroup_info 0
		.amdhsa_system_vgpr_workitem_id 1
		.amdhsa_next_free_vgpr 233
		.amdhsa_next_free_sgpr 43
		.amdhsa_reserve_vcc 1
		.amdhsa_float_round_mode_32 0
		.amdhsa_float_round_mode_16_64 0
		.amdhsa_float_denorm_mode_32 3
		.amdhsa_float_denorm_mode_16_64 3
		.amdhsa_fp16_overflow 0
		.amdhsa_workgroup_processor_mode 1
		.amdhsa_memory_ordered 1
		.amdhsa_forward_progress 1
		.amdhsa_inst_pref_size 60
		.amdhsa_round_robin_scheduling 0
		.amdhsa_exception_fp_ieee_invalid_op 0
		.amdhsa_exception_fp_denorm_src 0
		.amdhsa_exception_fp_ieee_div_zero 0
		.amdhsa_exception_fp_ieee_overflow 0
		.amdhsa_exception_fp_ieee_underflow 0
		.amdhsa_exception_fp_ieee_inexact 0
		.amdhsa_exception_int_div_zero 0
	.end_amdhsa_kernel
	.section	.text._ZL15flash_attn_tileILi256ELi256ELi2ELi2ELb1EEvPKcS1_S1_S1_S1_PKiPfP15HIP_vector_typeIfLj2EEffffjfiS5_IjLj3EEiiiiiiiiiiiliiliiiiil,"axG",@progbits,_ZL15flash_attn_tileILi256ELi256ELi2ELi2ELb1EEvPKcS1_S1_S1_S1_PKiPfP15HIP_vector_typeIfLj2EEffffjfiS5_IjLj3EEiiiiiiiiiiiliiliiiiil,comdat
.Lfunc_end68:
	.size	_ZL15flash_attn_tileILi256ELi256ELi2ELi2ELb1EEvPKcS1_S1_S1_S1_PKiPfP15HIP_vector_typeIfLj2EEffffjfiS5_IjLj3EEiiiiiiiiiiiliiliiiiil, .Lfunc_end68-_ZL15flash_attn_tileILi256ELi256ELi2ELi2ELb1EEvPKcS1_S1_S1_S1_PKiPfP15HIP_vector_typeIfLj2EEffffjfiS5_IjLj3EEiiiiiiiiiiiliiliiiiil
                                        ; -- End function
	.set _ZL15flash_attn_tileILi256ELi256ELi2ELi2ELb1EEvPKcS1_S1_S1_S1_PKiPfP15HIP_vector_typeIfLj2EEffffjfiS5_IjLj3EEiiiiiiiiiiiliiliiiiil.num_vgpr, 233
	.set _ZL15flash_attn_tileILi256ELi256ELi2ELi2ELb1EEvPKcS1_S1_S1_S1_PKiPfP15HIP_vector_typeIfLj2EEffffjfiS5_IjLj3EEiiiiiiiiiiiliiliiiiil.num_agpr, 0
	.set _ZL15flash_attn_tileILi256ELi256ELi2ELi2ELb1EEvPKcS1_S1_S1_S1_PKiPfP15HIP_vector_typeIfLj2EEffffjfiS5_IjLj3EEiiiiiiiiiiiliiliiiiil.numbered_sgpr, 43
	.set _ZL15flash_attn_tileILi256ELi256ELi2ELi2ELb1EEvPKcS1_S1_S1_S1_PKiPfP15HIP_vector_typeIfLj2EEffffjfiS5_IjLj3EEiiiiiiiiiiiliiliiiiil.num_named_barrier, 0
	.set _ZL15flash_attn_tileILi256ELi256ELi2ELi2ELb1EEvPKcS1_S1_S1_S1_PKiPfP15HIP_vector_typeIfLj2EEffffjfiS5_IjLj3EEiiiiiiiiiiiliiliiiiil.private_seg_size, 0
	.set _ZL15flash_attn_tileILi256ELi256ELi2ELi2ELb1EEvPKcS1_S1_S1_S1_PKiPfP15HIP_vector_typeIfLj2EEffffjfiS5_IjLj3EEiiiiiiiiiiiliiliiiiil.uses_vcc, 1
	.set _ZL15flash_attn_tileILi256ELi256ELi2ELi2ELb1EEvPKcS1_S1_S1_S1_PKiPfP15HIP_vector_typeIfLj2EEffffjfiS5_IjLj3EEiiiiiiiiiiiliiliiiiil.uses_flat_scratch, 0
	.set _ZL15flash_attn_tileILi256ELi256ELi2ELi2ELb1EEvPKcS1_S1_S1_S1_PKiPfP15HIP_vector_typeIfLj2EEffffjfiS5_IjLj3EEiiiiiiiiiiiliiliiiiil.has_dyn_sized_stack, 0
	.set _ZL15flash_attn_tileILi256ELi256ELi2ELi2ELb1EEvPKcS1_S1_S1_S1_PKiPfP15HIP_vector_typeIfLj2EEffffjfiS5_IjLj3EEiiiiiiiiiiiliiliiiiil.has_recursion, 0
	.set _ZL15flash_attn_tileILi256ELi256ELi2ELi2ELb1EEvPKcS1_S1_S1_S1_PKiPfP15HIP_vector_typeIfLj2EEffffjfiS5_IjLj3EEiiiiiiiiiiiliiliiiiil.has_indirect_call, 0
	.section	.AMDGPU.csdata,"",@progbits
; Kernel info:
; codeLenInByte = 7676
; TotalNumSgprs: 45
; NumVgprs: 233
; ScratchSize: 0
; MemoryBound: 0
; FloatMode: 240
; IeeeMode: 1
; LDSByteSize: 19200 bytes/workgroup (compile time only)
; SGPRBlocks: 0
; VGPRBlocks: 29
; NumSGPRsForWavesPerEU: 45
; NumVGPRsForWavesPerEU: 233
; Occupancy: 6
; WaveLimiterHint : 1
; COMPUTE_PGM_RSRC2:SCRATCH_EN: 0
; COMPUTE_PGM_RSRC2:USER_SGPR: 2
; COMPUTE_PGM_RSRC2:TRAP_HANDLER: 0
; COMPUTE_PGM_RSRC2:TGID_X_EN: 1
; COMPUTE_PGM_RSRC2:TGID_Y_EN: 1
; COMPUTE_PGM_RSRC2:TGID_Z_EN: 1
; COMPUTE_PGM_RSRC2:TIDIG_COMP_CNT: 1
	.section	.text._ZL15flash_attn_tileILi256ELi256ELi1ELi2ELb1EEvPKcS1_S1_S1_S1_PKiPfP15HIP_vector_typeIfLj2EEffffjfiS5_IjLj3EEiiiiiiiiiiiliiliiiiil,"axG",@progbits,_ZL15flash_attn_tileILi256ELi256ELi1ELi2ELb1EEvPKcS1_S1_S1_S1_PKiPfP15HIP_vector_typeIfLj2EEffffjfiS5_IjLj3EEiiiiiiiiiiiliiliiiiil,comdat
	.globl	_ZL15flash_attn_tileILi256ELi256ELi1ELi2ELb1EEvPKcS1_S1_S1_S1_PKiPfP15HIP_vector_typeIfLj2EEffffjfiS5_IjLj3EEiiiiiiiiiiiliiliiiiil ; -- Begin function _ZL15flash_attn_tileILi256ELi256ELi1ELi2ELb1EEvPKcS1_S1_S1_S1_PKiPfP15HIP_vector_typeIfLj2EEffffjfiS5_IjLj3EEiiiiiiiiiiiliiliiiiil
	.p2align	8
	.type	_ZL15flash_attn_tileILi256ELi256ELi1ELi2ELb1EEvPKcS1_S1_S1_S1_PKiPfP15HIP_vector_typeIfLj2EEffffjfiS5_IjLj3EEiiiiiiiiiiiliiliiiiil,@function
_ZL15flash_attn_tileILi256ELi256ELi1ELi2ELb1EEvPKcS1_S1_S1_S1_PKiPfP15HIP_vector_typeIfLj2EEffffjfiS5_IjLj3EEiiiiiiiiiiiliiliiiiil: ; @_ZL15flash_attn_tileILi256ELi256ELi1ELi2ELb1EEvPKcS1_S1_S1_S1_PKiPfP15HIP_vector_typeIfLj2EEffffjfiS5_IjLj3EEiiiiiiiiiiiliiliiiiil
; %bb.0:
	s_clause 0x1
	s_load_b128 s[20:23], s[0:1], 0x5c
	s_load_b64 s[28:29], s[0:1], 0x80
	s_lshr_b32 s5, ttmp7, 16
	s_load_b64 s[36:37], s[0:1], 0xb8
	s_mov_b32 s35, 0
	s_mov_b64 s[30:31], 0
	s_wait_kmcnt 0x0
	s_lshr_b32 s2, s23, 31
	s_delay_alu instid0(SALU_CYCLE_1) | instskip(NEXT) | instid1(SALU_CYCLE_1)
	s_add_co_i32 s2, s23, s2
	s_ashr_i32 s2, s2, 1
	s_delay_alu instid0(SALU_CYCLE_1) | instskip(SKIP_1) | instid1(SALU_CYCLE_2)
	s_cvt_f32_u32 s3, s2
	s_sub_co_i32 s4, 0, s2
	v_rcp_iflag_f32_e32 v1, s3
	s_delay_alu instid0(TRANS32_DEP_1) | instskip(SKIP_2) | instid1(SALU_CYCLE_2)
	v_readfirstlane_b32 s3, v1
	s_mul_f32 s3, s3, 0x4f7ffffe
	s_wait_alu 0xfffe
	s_cvt_u32_f32 s3, s3
	s_wait_alu 0xfffe
	s_delay_alu instid0(SALU_CYCLE_2) | instskip(NEXT) | instid1(SALU_CYCLE_1)
	s_mul_i32 s4, s4, s3
	s_mul_hi_u32 s4, s3, s4
	s_delay_alu instid0(SALU_CYCLE_1)
	s_add_co_i32 s3, s3, s4
	s_wait_alu 0xfffe
	s_mul_hi_u32 s3, s5, s3
	s_wait_alu 0xfffe
	s_mul_i32 s4, s3, s2
	s_add_co_i32 s6, s3, 1
	s_sub_co_i32 s4, s5, s4
	s_delay_alu instid0(SALU_CYCLE_1)
	s_sub_co_i32 s7, s4, s2
	s_cmp_ge_u32 s4, s2
	s_cselect_b32 s3, s6, s3
	s_cselect_b32 s4, s7, s4
	s_wait_alu 0xfffe
	s_add_co_i32 s6, s3, 1
	s_cmp_ge_u32 s4, s2
	s_cselect_b32 s2, s6, s3
	s_abs_i32 s3, s29
	s_abs_i32 s8, s23
	s_wait_alu 0xfffe
	s_cvt_f32_u32 s4, s3
	s_sub_co_i32 s6, 0, s3
	s_lshl_b32 s5, s5, 1
	s_mul_i32 s7, s2, s23
	v_rcp_iflag_f32_e32 v1, s4
	s_sub_co_i32 s33, s5, s7
	s_xor_b32 s5, s23, s29
	s_wait_alu 0xfffe
	s_ashr_i32 s24, s5, 31
	s_delay_alu instid0(TRANS32_DEP_1) | instskip(SKIP_2) | instid1(SALU_CYCLE_2)
	v_readfirstlane_b32 s4, v1
	s_mul_f32 s4, s4, 0x4f7ffffe
	s_wait_alu 0xfffe
	s_cvt_u32_f32 s4, s4
	s_wait_alu 0xfffe
	s_delay_alu instid0(SALU_CYCLE_2) | instskip(NEXT) | instid1(SALU_CYCLE_1)
	s_mul_i32 s6, s6, s4
	s_mul_hi_u32 s6, s4, s6
	s_delay_alu instid0(SALU_CYCLE_1) | instskip(SKIP_4) | instid1(SALU_CYCLE_1)
	s_add_co_i32 s4, s4, s6
	s_wait_alu 0xfffe
	s_mul_hi_u32 s4, s8, s4
	s_wait_alu 0xfffe
	s_mul_i32 s6, s4, s3
	s_sub_co_i32 s5, s8, s6
	s_add_co_i32 s6, s4, 1
	s_wait_alu 0xfffe
	s_sub_co_i32 s7, s5, s3
	s_cmp_ge_u32 s5, s3
	s_cselect_b32 s4, s6, s4
	s_cselect_b32 s5, s7, s5
	s_wait_alu 0xfffe
	s_add_co_i32 s6, s4, 1
	s_cmp_ge_u32 s5, s3
	s_cselect_b32 s3, s6, s4
	s_load_b512 s[4:19], s[0:1], 0x0
	s_xor_b32 s3, s3, s24
	s_wait_alu 0xfffe
	s_sub_co_i32 s38, s3, s24
	s_delay_alu instid0(SALU_CYCLE_1) | instskip(NEXT) | instid1(SALU_CYCLE_1)
	s_abs_i32 s29, s38
	s_cvt_f32_u32 s3, s29
	s_wait_alu 0xfffe
	s_delay_alu instid0(SALU_CYCLE_2) | instskip(SKIP_2) | instid1(TRANS32_DEP_1)
	v_rcp_iflag_f32_e32 v1, s3
	s_wait_kmcnt 0x0
	s_cmp_eq_u64 s[10:11], 0
	v_readfirstlane_b32 s24, v1
	s_cbranch_scc1 .LBB69_2
; %bb.1:
	s_abs_i32 s3, s36
	s_wait_alu 0xfffe
	s_cvt_f32_u32 s25, s3
	s_sub_co_i32 s26, 0, s3
	s_delay_alu instid0(SALU_CYCLE_2) | instskip(NEXT) | instid1(TRANS32_DEP_1)
	v_rcp_iflag_f32_e32 v1, s25
	v_readfirstlane_b32 s25, v1
	s_mul_f32 s25, s25, 0x4f7ffffe
	s_wait_alu 0xfffe
	s_delay_alu instid0(SALU_CYCLE_2) | instskip(SKIP_1) | instid1(SALU_CYCLE_2)
	s_cvt_u32_f32 s25, s25
	s_wait_alu 0xfffe
	s_mul_i32 s26, s26, s25
	s_delay_alu instid0(SALU_CYCLE_1)
	s_mul_hi_u32 s30, s25, s26
	s_load_b64 s[26:27], s[0:1], 0xc8
	s_add_co_i32 s25, s25, s30
	s_wait_alu 0xfffe
	s_mul_hi_u32 s25, s2, s25
	s_wait_alu 0xfffe
	s_mul_i32 s25, s25, s3
	s_wait_alu 0xfffe
	s_sub_co_i32 s25, s2, s25
	s_wait_alu 0xfffe
	s_sub_co_i32 s30, s25, s3
	s_cmp_ge_u32 s25, s3
	s_cselect_b32 s25, s30, s25
	s_wait_alu 0xfffe
	s_sub_co_i32 s30, s25, s3
	s_cmp_ge_u32 s25, s3
	s_cselect_b32 s30, s30, s25
	s_delay_alu instid0(SALU_CYCLE_1) | instskip(SKIP_2) | instid1(SALU_CYCLE_1)
	s_ashr_i32 s31, s30, 31
	s_wait_kmcnt 0x0
	s_mul_u64 s[26:27], s[26:27], s[30:31]
	s_add_nc_u64 s[30:31], s[10:11], s[26:27]
.LBB69_2:
	v_lshrrev_b32_e32 v1, 10, v0
	s_load_b96 s[40:42], s[0:1], 0x70
	v_bfe_u32 v56, v0, 10, 1
	v_and_b32_e32 v37, 0x3ff, v0
	s_delay_alu instid0(VALU_DEP_3) | instskip(NEXT) | instid1(VALU_DEP_2)
	v_bfe_u32 v1, v1, 1, 9
	v_lshlrev_b32_e32 v6, 4, v37
	v_lshlrev_b32_e32 v58, 3, v37
	s_delay_alu instid0(VALU_DEP_3) | instskip(NEXT) | instid1(VALU_DEP_1)
	v_add_nc_u32_e32 v36, ttmp9, v1
	v_mul_hi_u32 v1, s20, v36
	s_wait_kmcnt 0x0
	s_mul_i32 s10, s33, s41
	s_mov_b32 s20, s41
	s_delay_alu instid0(VALU_DEP_1) | instskip(NEXT) | instid1(VALU_DEP_1)
	v_add_nc_u32_e32 v1, v36, v1
	v_lshrrev_b32_e32 v1, s21, v1
	s_ashr_i32 s21, s41, 31
	s_ashr_i32 s41, s40, 31
	s_wait_alu 0xfffe
	s_lshr_b32 s3, s21, 2
	s_lshr_b64 s[26:27], s[40:41], 2
	v_mul_lo_u32 v1, v1, s22
	s_lshr_b32 s11, s41, 2
	s_wait_alu 0xfffe
	v_mul_lo_u32 v5, s3, v56
	s_load_b32 s3, s[0:1], 0x40
	s_delay_alu instid0(VALU_DEP_2) | instskip(NEXT) | instid1(VALU_DEP_1)
	v_sub_nc_u32_e32 v1, v36, v1
	v_mad_co_u64_u32 v[2:3], null, s26, v1, 0
	s_lshr_b64 s[26:27], s[20:21], 2
	s_mul_i32 s20, s2, s42
	s_wait_alu 0xfffe
	s_ashr_i32 s21, s20, 31
	s_wait_alu 0xfffe
	s_add_nc_u64 s[4:5], s[4:5], s[20:21]
	v_mad_co_u64_u32 v[3:4], null, s11, v1, v[3:4]
	v_mul_lo_u32 v4, s26, v56
	s_ashr_i32 s11, s10, 31
	s_cmp_eq_u64 s[14:15], 0
	s_wait_alu 0xfffe
	s_add_nc_u64 s[4:5], s[4:5], s[10:11]
	s_delay_alu instid0(VALU_DEP_2) | instskip(NEXT) | instid1(VALU_DEP_2)
	v_lshlrev_b64_e32 v[2:3], 2, v[2:3]
	v_lshlrev_b64_e32 v[4:5], 2, v[4:5]
	s_wait_alu 0xfffe
	s_delay_alu instid0(VALU_DEP_1) | instskip(NEXT) | instid1(VALU_DEP_1)
	v_add_co_u32 v4, vcc_lo, s4, v4
	v_add_co_ci_u32_e64 v5, null, s5, v5, vcc_lo
	s_delay_alu instid0(VALU_DEP_2) | instskip(SKIP_1) | instid1(VALU_DEP_2)
	v_add_co_u32 v2, vcc_lo, v4, v2
	s_wait_alu 0xfffd
	v_add_co_ci_u32_e64 v3, null, v5, v3, vcc_lo
	s_delay_alu instid0(VALU_DEP_2) | instskip(SKIP_1) | instid1(VALU_DEP_2)
	v_add_co_u32 v7, vcc_lo, v2, v6
	s_wait_alu 0xfffd
	v_add_co_ci_u32_e64 v8, null, 0, v3, vcc_lo
	v_bfe_u32 v2, v0, 10, 10
	s_clause 0x1
	global_load_b128 v[3:6], v[7:8], off
	global_load_b128 v[7:10], v[7:8], off offset:512
	v_lshlrev_b32_e32 v0, 9, v2
	s_delay_alu instid0(VALU_DEP_1)
	v_add_nc_u32_e32 v59, 0x1200, v0
	s_wait_loadcnt 0x1
	s_wait_kmcnt 0x0
	v_fma_mixlo_f16 v3, s3, v3, 0
	v_fma_mixlo_f16 v4, s3, v4, 0
	s_wait_loadcnt 0x0
	v_fma_mixlo_f16 v7, s3, v7, 0
	v_fma_mixlo_f16 v8, s3, v8, 0
	;; [unrolled: 1-line block ×6, first 2 shown]
	v_lshlrev_b32_e32 v4, 16, v4
	v_and_b32_e32 v3, 0xffff, v3
	v_lshlrev_b32_e32 v8, 16, v8
	v_and_b32_e32 v7, 0xffff, v7
	;; [unrolled: 2-line block ×4, first 2 shown]
	v_or_b32_e32 v3, v4, v3
	v_or_b32_e32 v7, v8, v7
	v_add_nc_u32_e32 v8, v59, v58
	v_or3_b32 v4, v6, v5, 0
	v_or3_b32 v6, v10, v9, 0
	;; [unrolled: 1-line block ×4, first 2 shown]
	ds_store_2addr_b64 v8, v[3:4], v[5:6] offset1:32
	s_wait_dscnt 0x0
	s_barrier_signal -1
	s_barrier_wait -1
	global_inv scope:SCOPE_SE
	s_cbranch_scc1 .LBB69_4
; %bb.3:
	s_load_b32 s3, s[0:1], 0xd0
	s_mov_b32 s5, 0
	s_wait_kmcnt 0x0
	s_mul_i32 s3, s3, s2
	s_wait_alu 0xfffe
	s_add_co_i32 s4, s3, ttmp9
	s_wait_alu 0xfffe
	s_lshl_b64 s[4:5], s[4:5], 2
	s_wait_alu 0xfffe
	s_add_nc_u64 s[4:5], s[14:15], s[4:5]
	s_load_b32 s28, s[4:5], 0x0
.LBB69_4:
	s_and_b32 s4, ttmp7, 0xffff
	v_lshlrev_b32_e32 v57, 2, v37
	v_mbcnt_lo_u32_b32 v60, -1, 0
	s_wait_alu 0xfffe
	s_lshl_b32 s10, s4, 5
	s_wait_kmcnt 0x0
	s_wait_alu 0xfffe
	s_cmp_lt_i32 s10, s28
	s_cbranch_scc1 .LBB69_7
; %bb.5:
	v_mbcnt_lo_u32_b32 v3, -1, 0
	v_mov_b32_e32 v61, 32
	s_delay_alu instid0(VALU_DEP_2)
	v_xor_b32_e32 v82, 16, v3
	v_xor_b32_e32 v81, 8, v3
	;; [unrolled: 1-line block ×5, first 2 shown]
	s_mov_b32 s3, 0
	s_cbranch_execz .LBB69_8
; %bb.6:
	v_dual_mov_b32 v77, 0 :: v_dual_mov_b32 v86, 0
	v_dual_mov_b32 v55, 0xfeffffff :: v_dual_mov_b32 v78, 0
	;; [unrolled: 1-line block ×3, first 2 shown]
	s_branch .LBB69_16
.LBB69_7:
                                        ; implicit-def: $vgpr3
                                        ; implicit-def: $vgpr61
                                        ; implicit-def: $vgpr82
                                        ; implicit-def: $vgpr81
                                        ; implicit-def: $vgpr83
                                        ; implicit-def: $vgpr84
                                        ; implicit-def: $vgpr85
	s_mov_b32 s3, 0
.LBB69_8:
	s_mul_f32 s5, s24, 0x4f7ffffe
	s_clause 0x1
	s_load_b128 s[24:27], s[0:1], 0x98
	s_load_b64 s[20:21], s[0:1], 0x8c
	s_sub_co_i32 s14, 0, s29
	s_abs_i32 s34, s33
	s_cvt_u32_f32 s11, s5
	s_load_b32 s5, s[0:1], 0x54
	s_mov_b32 s15, s35
	s_ashr_i32 s36, s33, 31
	s_mul_i32 s14, s14, s11
	v_lshrrev_b32_e32 v3, 3, v37
	s_mul_hi_u32 s14, s11, s14
	s_ashr_i32 s40, s37, 1
	s_add_co_i32 s14, s11, s14
	s_ashr_i32 s11, s38, 31
	s_load_b64 s[38:39], s[0:1], 0xa8
	s_mul_u64 s[14:15], s[34:35], s[14:15]
	s_xor_b32 s11, s36, s11
	s_mul_i32 s35, s15, s29
	s_add_co_i32 s36, s15, 1
	v_lshl_add_u32 v4, v2, 2, v3
	s_wait_kmcnt 0x0
	s_ashr_i32 s14, s26, 2
	s_sub_co_i32 s26, s34, s35
	s_ashr_i32 s20, s20, 2
	s_wait_alu 0xfffe
	s_sub_co_i32 s34, s26, s29
	s_cmp_ge_u32 s26, s29
	v_mul_lo_u32 v3, s20, v4
	s_cselect_b32 s15, s36, s15
	s_cselect_b32 s26, s34, s26
	s_add_co_i32 s34, s15, 1
	s_wait_alu 0xfffe
	s_cmp_ge_u32 s26, s29
	s_mul_u64 s[24:25], s[24:25], s[2:3]
	s_cselect_b32 s15, s34, s15
	s_wait_alu 0xfffe
	s_add_nc_u64 s[6:7], s[6:7], s[24:25]
	s_xor_b32 s15, s15, s11
	s_mul_u64 s[34:35], s[38:39], s[2:3]
	s_sub_co_i32 s3, s15, s11
	v_mul_lo_u32 v11, s14, v2
	s_wait_alu 0xfffe
	s_mul_i32 s36, s3, s21
	s_mul_i32 s24, s3, s27
	s_lshl_b32 s3, s20, 3
	s_wait_alu 0xfffe
	v_dual_mov_b32 v76, 0 :: v_dual_add_nc_u32 v5, s3, v3
	v_dual_mov_b32 v78, 0 :: v_dual_and_b32 v17, 28, v57
	v_dual_mov_b32 v80, 0xfeffffff :: v_dual_lshlrev_b32 v67, 2, v57
	s_delay_alu instid0(VALU_DEP_3) | instskip(SKIP_1) | instid1(VALU_DEP_4)
	v_add_nc_u32_e32 v7, s3, v5
	v_mad_co_u64_u32 v[38:39], null, v1, s40, v[37:38]
	v_dual_mov_b32 v75, 0 :: v_dual_lshlrev_b32 v6, 2, v17
	s_delay_alu instid0(VALU_DEP_3)
	v_add_nc_u32_e32 v9, s3, v7
	s_lshl_b32 s3, s14, 1
	v_lshl_add_u32 v16, v2, 9, v67
	s_wait_alu 0xfffe
	v_add_nc_u32_e32 v13, s3, v11
	v_mad_u32_u24 v62, 0x90, v4, v6
	v_ashrrev_i32_e32 v4, 31, v3
	v_ashrrev_i32_e32 v6, 31, v5
	;; [unrolled: 1-line block ×3, first 2 shown]
	v_add_nc_u32_e32 v1, s3, v13
	v_ashrrev_i32_e32 v10, 31, v9
	v_lshl_add_u32 v68, v2, 6, 0x1600
	v_ashrrev_i32_e32 v12, 31, v11
	v_add_nc_u32_e32 v71, 0x400, v16
	v_add_nc_u32_e32 v15, s3, v1
	v_ashrrev_i32_e32 v14, 31, v13
	v_dual_mov_b32 v79, 0 :: v_dual_add_nc_u32 v72, 0x800, v16
	v_ashrrev_i32_e32 v2, 31, v1
	v_add_nc_u32_e32 v73, 0xc00, v16
	v_ashrrev_i32_e32 v16, 31, v15
	v_lshlrev_b64_e32 v[39:40], 2, v[3:4]
	v_lshlrev_b64_e32 v[41:42], 2, v[5:6]
	;; [unrolled: 1-line block ×8, first 2 shown]
	v_add_nc_u32_e32 v63, 0x480, v62
	v_dual_mov_b32 v61, 32 :: v_dual_add_nc_u32 v64, 0x900, v62
	v_add_nc_u32_e32 v65, 0xd80, v62
	v_mul_u32_u24_e32 v66, 0x90, v37
	v_lshl_add_u32 v69, v37, 1, v68
	v_dual_mov_b32 v77, 0 :: v_dual_add_nc_u32 v70, v0, v67
	v_lshlrev_b32_e32 v74, 2, v17
	s_ashr_i32 s37, s36, 31
	s_add_nc_u64 s[8:9], s[8:9], s[34:35]
	s_ashr_i32 s25, s24, 31
	s_add_nc_u64 s[6:7], s[6:7], s[36:37]
	s_wait_alu 0xfffe
	s_add_nc_u64 s[8:9], s[8:9], s[24:25]
	s_ashr_i32 s21, s20, 31
	s_ashr_i32 s15, s14, 31
	s_add_nc_u64 s[24:25], s[0:1], 0xd0
	s_mov_b32 s3, 0xbbbac73d
.LBB69_9:                               ; =>This Inner Loop Header: Depth=1
	s_ashr_i32 s11, s10, 31
	s_wait_alu 0xfffe
	s_mul_u64 s[26:27], s[10:11], s[20:21]
	s_wait_alu 0xfffe
	s_lshl_b64 s[26:27], s[26:27], 2
	s_wait_alu 0xfffe
	s_add_nc_u64 s[26:27], s[6:7], s[26:27]
	s_wait_alu 0xfffe
	v_add_co_u32 v0, vcc_lo, s26, v39
	s_wait_alu 0xfffd
	v_add_co_ci_u32_e64 v1, null, s27, v40, vcc_lo
	v_add_co_u32 v2, vcc_lo, s26, v41
	s_wait_alu 0xfffd
	v_add_co_ci_u32_e64 v3, null, s27, v42, vcc_lo
	;; [unrolled: 3-line block ×8, first 2 shown]
	s_clause 0x3
	global_load_b128 v[8:11], v[0:1], off
	global_load_b128 v[12:15], v[2:3], off
	;; [unrolled: 1-line block ×4, first 2 shown]
	s_wait_loadcnt 0x3
	ds_store_b128 v62, v[8:11]
	s_wait_loadcnt 0x2
	ds_store_b128 v63, v[12:15]
	;; [unrolled: 2-line block ×4, first 2 shown]
	s_wait_dscnt 0x0
	s_barrier_signal -1
	s_barrier_wait -1
	global_inv scope:SCOPE_SE
	ds_load_b128 v[9:12], v66
	ds_load_b128 v[13:16], v59
	v_mov_b32_e32 v8, 0
	s_wait_dscnt 0x0
	;;#ASMSTART
	v_dot2_f32_f16 v8, v9, v13, v8
	;;#ASMEND
	;;#ASMSTART
	v_dot2_f32_f16 v8, v10, v14, v8
	;;#ASMEND
	;;#ASMSTART
	v_dot2_f32_f16 v8, v11, v15, v8
	;;#ASMEND
	;;#ASMSTART
	v_dot2_f32_f16 v8, v12, v16, v8
	;;#ASMEND
	ds_load_b128 v[9:12], v66 offset:16
	ds_load_b128 v[13:16], v59 offset:16
	s_wait_dscnt 0x0
	;;#ASMSTART
	v_dot2_f32_f16 v8, v9, v13, v8
	;;#ASMEND
	;;#ASMSTART
	v_dot2_f32_f16 v8, v10, v14, v8
	;;#ASMEND
	;;#ASMSTART
	v_dot2_f32_f16 v8, v11, v15, v8
	;;#ASMEND
	;;#ASMSTART
	v_dot2_f32_f16 v8, v12, v16, v8
	;;#ASMEND
	ds_load_b128 v[9:12], v66 offset:32
	ds_load_b128 v[13:16], v59 offset:32
	;; [unrolled: 15-line block ×7, first 2 shown]
	s_wait_dscnt 0x0
	;;#ASMSTART
	v_dot2_f32_f16 v8, v9, v13, v8
	;;#ASMEND
	;;#ASMSTART
	v_dot2_f32_f16 v8, v10, v14, v8
	;;#ASMEND
	;;#ASMSTART
	v_dot2_f32_f16 v8, v11, v15, v8
	;;#ASMEND
	;;#ASMSTART
	v_dot2_f32_f16 v8, v12, v16, v8
	;;#ASMEND
	s_wait_loadcnt 0x0
	s_barrier_signal -1
	s_barrier_wait -1
	global_inv scope:SCOPE_SE
	s_clause 0x3
	global_load_b128 v[9:12], v[0:1], off offset:128
	global_load_b128 v[13:16], v[2:3], off offset:128
	;; [unrolled: 1-line block ×4, first 2 shown]
	s_wait_loadcnt 0x3
	ds_store_b128 v62, v[9:12]
	s_wait_loadcnt 0x2
	ds_store_b128 v63, v[13:16]
	;; [unrolled: 2-line block ×4, first 2 shown]
	s_wait_dscnt 0x0
	s_barrier_signal -1
	s_barrier_wait -1
	global_inv scope:SCOPE_SE
	ds_load_b128 v[9:12], v66
	ds_load_b128 v[13:16], v59 offset:128
	s_wait_dscnt 0x0
	;;#ASMSTART
	v_dot2_f32_f16 v8, v9, v13, v8
	;;#ASMEND
	;;#ASMSTART
	v_dot2_f32_f16 v8, v10, v14, v8
	;;#ASMEND
	;;#ASMSTART
	v_dot2_f32_f16 v8, v11, v15, v8
	;;#ASMEND
	;;#ASMSTART
	v_dot2_f32_f16 v8, v12, v16, v8
	;;#ASMEND
	ds_load_b128 v[9:12], v66 offset:16
	ds_load_b128 v[13:16], v59 offset:144
	s_wait_dscnt 0x0
	;;#ASMSTART
	v_dot2_f32_f16 v8, v9, v13, v8
	;;#ASMEND
	;;#ASMSTART
	v_dot2_f32_f16 v8, v10, v14, v8
	;;#ASMEND
	;;#ASMSTART
	v_dot2_f32_f16 v8, v11, v15, v8
	;;#ASMEND
	;;#ASMSTART
	v_dot2_f32_f16 v8, v12, v16, v8
	;;#ASMEND
	ds_load_b128 v[9:12], v66 offset:32
	;; [unrolled: 15-line block ×7, first 2 shown]
	ds_load_b128 v[13:16], v59 offset:240
	s_wait_dscnt 0x0
	;;#ASMSTART
	v_dot2_f32_f16 v8, v9, v13, v8
	;;#ASMEND
	;;#ASMSTART
	v_dot2_f32_f16 v8, v10, v14, v8
	;;#ASMEND
	;; [unrolled: 3-line block ×4, first 2 shown]
	s_wait_loadcnt 0x0
	s_barrier_signal -1
	s_barrier_wait -1
	global_inv scope:SCOPE_SE
	s_clause 0x3
	global_load_b128 v[9:12], v[0:1], off offset:256
	global_load_b128 v[13:16], v[2:3], off offset:256
	;; [unrolled: 1-line block ×4, first 2 shown]
	s_wait_loadcnt 0x3
	ds_store_b128 v62, v[9:12]
	s_wait_loadcnt 0x2
	ds_store_b128 v63, v[13:16]
	;; [unrolled: 2-line block ×4, first 2 shown]
	s_wait_dscnt 0x0
	s_barrier_signal -1
	s_barrier_wait -1
	global_inv scope:SCOPE_SE
	ds_load_b128 v[9:12], v66
	ds_load_b128 v[13:16], v59 offset:256
	s_wait_dscnt 0x0
	;;#ASMSTART
	v_dot2_f32_f16 v8, v9, v13, v8
	;;#ASMEND
	;;#ASMSTART
	v_dot2_f32_f16 v8, v10, v14, v8
	;;#ASMEND
	;;#ASMSTART
	v_dot2_f32_f16 v8, v11, v15, v8
	;;#ASMEND
	;;#ASMSTART
	v_dot2_f32_f16 v8, v12, v16, v8
	;;#ASMEND
	ds_load_b128 v[9:12], v66 offset:16
	ds_load_b128 v[13:16], v59 offset:272
	s_wait_dscnt 0x0
	;;#ASMSTART
	v_dot2_f32_f16 v8, v9, v13, v8
	;;#ASMEND
	;;#ASMSTART
	v_dot2_f32_f16 v8, v10, v14, v8
	;;#ASMEND
	;;#ASMSTART
	v_dot2_f32_f16 v8, v11, v15, v8
	;;#ASMEND
	;;#ASMSTART
	v_dot2_f32_f16 v8, v12, v16, v8
	;;#ASMEND
	ds_load_b128 v[9:12], v66 offset:32
	;; [unrolled: 15-line block ×7, first 2 shown]
	ds_load_b128 v[13:16], v59 offset:368
	s_wait_dscnt 0x0
	;;#ASMSTART
	v_dot2_f32_f16 v8, v9, v13, v8
	;;#ASMEND
	;;#ASMSTART
	v_dot2_f32_f16 v8, v10, v14, v8
	;;#ASMEND
	;; [unrolled: 3-line block ×4, first 2 shown]
	s_wait_loadcnt 0x0
	s_barrier_signal -1
	s_barrier_wait -1
	global_inv scope:SCOPE_SE
	s_clause 0x3
	global_load_b128 v[9:12], v[0:1], off offset:384
	global_load_b128 v[0:3], v[2:3], off offset:384
	;; [unrolled: 1-line block ×4, first 2 shown]
	s_wait_loadcnt 0x3
	ds_store_b128 v62, v[9:12]
	s_wait_loadcnt 0x2
	ds_store_b128 v63, v[0:3]
	;; [unrolled: 2-line block ×4, first 2 shown]
	s_wait_dscnt 0x0
	s_barrier_signal -1
	s_barrier_wait -1
	global_inv scope:SCOPE_SE
	ds_load_b128 v[0:3], v66
	ds_load_b128 v[4:7], v59 offset:384
	s_wait_dscnt 0x0
	;;#ASMSTART
	v_dot2_f32_f16 v8, v0, v4, v8
	;;#ASMEND
	;;#ASMSTART
	v_dot2_f32_f16 v8, v1, v5, v8
	;;#ASMEND
	;;#ASMSTART
	v_dot2_f32_f16 v8, v2, v6, v8
	;;#ASMEND
	;;#ASMSTART
	v_dot2_f32_f16 v8, v3, v7, v8
	;;#ASMEND
	ds_load_b128 v[0:3], v66 offset:16
	ds_load_b128 v[4:7], v59 offset:400
	s_wait_dscnt 0x0
	;;#ASMSTART
	v_dot2_f32_f16 v8, v0, v4, v8
	;;#ASMEND
	;;#ASMSTART
	v_dot2_f32_f16 v8, v1, v5, v8
	;;#ASMEND
	;;#ASMSTART
	v_dot2_f32_f16 v8, v2, v6, v8
	;;#ASMEND
	;;#ASMSTART
	v_dot2_f32_f16 v8, v3, v7, v8
	;;#ASMEND
	ds_load_b128 v[0:3], v66 offset:32
	;; [unrolled: 15-line block ×7, first 2 shown]
	ds_load_b128 v[4:7], v59 offset:496
	v_add_nc_u32_e32 v9, s10, v38
	s_wait_dscnt 0x0
	;;#ASMSTART
	v_dot2_f32_f16 v8, v0, v4, v8
	;;#ASMEND
	s_delay_alu instid0(VALU_DEP_1)
	v_ashrrev_i32_e32 v10, 31, v9
	;;#ASMSTART
	v_dot2_f32_f16 v8, v1, v5, v8
	;;#ASMEND
	;;#ASMSTART
	v_dot2_f32_f16 v8, v2, v6, v8
	;;#ASMEND
	;; [unrolled: 3-line block ×3, first 2 shown]
	v_cmp_ngt_f32_e64 s26, 0x3f200000, |v8|
	v_lshlrev_b64_e32 v[9:10], 1, v[9:10]
                                        ; implicit-def: $vgpr1
	s_delay_alu instid0(VALU_DEP_1) | instskip(SKIP_1) | instid1(VALU_DEP_2)
	v_add_co_u32 v9, vcc_lo, s30, v9
	s_wait_alu 0xfffd
	v_add_co_ci_u32_e64 v10, null, s31, v10, vcc_lo
	global_load_u16 v0, v[9:10], off
	s_and_saveexec_b32 s27, s26
	s_wait_alu 0xfffe
	s_xor_b32 s26, exec_lo, s27
	s_cbranch_execz .LBB69_11
; %bb.10:                               ;   in Loop: Header=BB69_9 Depth=1
	v_add_f32_e64 v1, |v8|, |v8|
	s_delay_alu instid0(VALU_DEP_1) | instskip(SKIP_1) | instid1(VALU_DEP_2)
	v_mul_f32_e32 v2, 0x3fb8aa3b, v1
	v_cmp_ngt_f32_e32 vcc_lo, 0xc2ce8ed0, v1
	v_rndne_f32_e32 v3, v2
	v_fma_f32 v4, 0x3fb8aa3b, v1, -v2
	s_delay_alu instid0(VALU_DEP_2) | instskip(NEXT) | instid1(VALU_DEP_2)
	v_sub_f32_e32 v2, v2, v3
	v_fmac_f32_e32 v4, 0x32a5705f, v1
	v_cvt_i32_f32_e32 v3, v3
	s_delay_alu instid0(VALU_DEP_2) | instskip(NEXT) | instid1(VALU_DEP_1)
	v_add_f32_e32 v2, v2, v4
	v_exp_f32_e32 v2, v2
	s_delay_alu instid0(TRANS32_DEP_1) | instskip(SKIP_1) | instid1(VALU_DEP_1)
	v_ldexp_f32 v2, v2, v3
	s_wait_alu 0xfffd
	v_cndmask_b32_e32 v2, 0, v2, vcc_lo
	v_cmp_nlt_f32_e32 vcc_lo, 0x42b17218, v1
	s_wait_alu 0xfffd
	s_delay_alu instid0(VALU_DEP_2) | instskip(NEXT) | instid1(VALU_DEP_1)
	v_cndmask_b32_e32 v1, 0x7f800000, v2, vcc_lo
	v_add_f32_e32 v1, 1.0, v1
	s_delay_alu instid0(VALU_DEP_1) | instskip(NEXT) | instid1(TRANS32_DEP_1)
	v_rcp_f32_e32 v1, v1
	v_fma_f32 v1, v1, -2.0, 1.0
.LBB69_11:                              ;   in Loop: Header=BB69_9 Depth=1
	s_wait_alu 0xfffe
	s_and_not1_saveexec_b32 s26, s26
	s_cbranch_execz .LBB69_13
; %bb.12:                               ;   in Loop: Header=BB69_9 Depth=1
	v_mul_f32_e32 v1, v8, v8
	s_delay_alu instid0(VALU_DEP_1) | instskip(NEXT) | instid1(VALU_DEP_1)
	v_fmaak_f32 v2, s3, v1, 0x3ca908c9
	v_fmaak_f32 v2, v1, v2, 0xbd5c1c4e
	s_delay_alu instid0(VALU_DEP_1) | instskip(NEXT) | instid1(VALU_DEP_1)
	v_fmaak_f32 v2, v1, v2, 0x3e088382
	v_fmaak_f32 v2, v1, v2, 0xbeaaaa99
	s_delay_alu instid0(VALU_DEP_1) | instskip(NEXT) | instid1(VALU_DEP_1)
	v_mul_f32_e64 v2, |v8|, v2
	v_fma_f32 v1, v1, v2, |v8|
.LBB69_13:                              ;   in Loop: Header=BB69_9 Depth=1
	s_wait_alu 0xfffe
	s_or_b32 exec_lo, exec_lo, s26
	s_mul_u64 s[26:27], s[10:11], s[14:15]
	s_wait_loadcnt 0x0
	s_wait_alu 0xfffe
	s_lshl_b64 s[26:27], s[26:27], 2
	s_barrier_signal -1
	s_wait_alu 0xfffe
	s_add_nc_u64 s[26:27], s[8:9], s[26:27]
	s_barrier_wait -1
	s_wait_alu 0xfffe
	v_add_co_u32 v2, vcc_lo, s26, v47
	s_wait_alu 0xfffd
	v_add_co_ci_u32_e64 v3, null, s27, v48, vcc_lo
	v_add_co_u32 v4, vcc_lo, s26, v49
	s_wait_alu 0xfffd
	v_add_co_ci_u32_e64 v5, null, s27, v50, vcc_lo
	;; [unrolled: 3-line block ×8, first 2 shown]
	global_inv scope:SCOPE_SE
	s_clause 0x3
	global_load_b128 v[2:5], v[2:3], off
	global_load_b128 v[9:12], v[6:7], off
	;; [unrolled: 1-line block ×4, first 2 shown]
	v_bfi_b32 v1, 0x7fffffff, v1, v8
	v_xor_b32_e32 v82, 16, v60
	v_xor_b32_e32 v81, 8, v60
	v_xor_b32_e32 v83, 4, v60
	v_xor_b32_e32 v84, 2, v60
	v_fma_mix_f32 v0, s5, v1, v0 op_sel_hi:[0,0,1]
	v_cmp_gt_i32_e32 vcc_lo, 32, v82
	v_xor_b32_e32 v85, 1, v60
	s_or_b32 s26, s10, 8
	s_wait_alu 0xfffd
	v_dual_add_f32 v7, 0x40051340, v0 :: v_dual_cndmask_b32 v6, v60, v82
	v_max_num_f32_e32 v1, v80, v80
	v_cmp_gt_i32_e32 vcc_lo, 32, v81
	s_wait_alu 0xfffe
	s_ashr_i32 s27, s26, 31
	s_delay_alu instid0(VALU_DEP_2)
	v_dual_max_num_f32 v1, v1, v7 :: v_dual_lshlrev_b32 v6, 2, v6
	s_wait_alu 0xfffd
	v_cndmask_b32_e32 v7, v60, v81, vcc_lo
	v_cmp_gt_i32_e32 vcc_lo, 32, v83
	s_wait_alu 0xfffe
	s_mul_u64 s[26:27], s[26:27], s[14:15]
	ds_bpermute_b32 v6, v6, v1
	v_lshlrev_b32_e32 v7, 2, v7
	s_wait_alu 0xfffe
	s_lshl_b64 s[26:27], s[26:27], 2
	s_wait_alu 0xfffe
	s_add_nc_u64 s[26:27], s[8:9], s[26:27]
	s_wait_dscnt 0x0
	v_max_num_f32_e32 v6, v6, v6
	s_delay_alu instid0(VALU_DEP_1)
	v_max_num_f32_e32 v1, v1, v6
	ds_bpermute_b32 v6, v7, v1
	s_wait_alu 0xfffd
	v_cndmask_b32_e32 v7, v60, v83, vcc_lo
	v_cmp_gt_i32_e32 vcc_lo, 32, v84
	s_wait_dscnt 0x0
	s_delay_alu instid0(VALU_DEP_2) | instskip(NEXT) | instid1(VALU_DEP_1)
	v_dual_max_num_f32 v6, v6, v6 :: v_dual_lshlrev_b32 v7, 2, v7
	v_max_num_f32_e32 v1, v1, v6
	ds_bpermute_b32 v6, v7, v1
	s_wait_alu 0xfffd
	v_cndmask_b32_e32 v7, v60, v84, vcc_lo
	v_cmp_gt_i32_e32 vcc_lo, 32, v85
	s_wait_dscnt 0x0
	s_delay_alu instid0(VALU_DEP_2) | instskip(NEXT) | instid1(VALU_DEP_1)
	v_dual_max_num_f32 v6, v6, v6 :: v_dual_lshlrev_b32 v7, 2, v7
	v_max_num_f32_e32 v1, v1, v6
	ds_bpermute_b32 v6, v7, v1
	s_wait_alu 0xfffd
	v_cndmask_b32_e32 v7, v60, v85, vcc_lo
	s_wait_alu 0xfffe
	v_add_co_u32 v8, vcc_lo, s26, v47
	s_wait_alu 0xfffd
	v_add_co_ci_u32_e64 v21, null, s27, v48, vcc_lo
	s_wait_dscnt 0x0
	v_dual_max_num_f32 v6, v6, v6 :: v_dual_lshlrev_b32 v7, 2, v7
	s_delay_alu instid0(VALU_DEP_1) | instskip(SKIP_3) | instid1(VALU_DEP_1)
	v_max_num_f32_e32 v1, v1, v6
	ds_bpermute_b32 v6, v7, v1
	s_wait_dscnt 0x0
	v_max_num_f32_e32 v6, v6, v6
	v_max_num_f32_e32 v55, v1, v6
	s_delay_alu instid0(VALU_DEP_1) | instskip(NEXT) | instid1(VALU_DEP_1)
	v_sub_f32_e32 v0, v0, v55
	v_dual_sub_f32 v80, v80, v55 :: v_dual_mul_f32 v1, 0x3fb8aa3b, v0
	s_delay_alu instid0(VALU_DEP_1) | instskip(NEXT) | instid1(VALU_DEP_2)
	v_mul_f32_e32 v140, 0x3fb8aa3b, v80
	v_fma_f32 v6, 0x3fb8aa3b, v0, -v1
	v_rndne_f32_e32 v7, v1
	s_delay_alu instid0(VALU_DEP_3) | instskip(SKIP_1) | instid1(VALU_DEP_3)
	v_fma_f32 v141, 0x3fb8aa3b, v80, -v140
	v_rndne_f32_e32 v142, v140
	v_dual_fmac_f32 v6, 0x32a5705f, v0 :: v_dual_sub_f32 v1, v1, v7
	v_cvt_i32_f32_e32 v7, v7
	s_delay_alu instid0(VALU_DEP_3) | instskip(SKIP_1) | instid1(VALU_DEP_4)
	v_dual_fmac_f32 v141, 0x32a5705f, v80 :: v_dual_sub_f32 v140, v140, v142
	v_cvt_i32_f32_e32 v142, v142
	v_add_f32_e32 v1, v1, v6
	v_add_co_u32 v6, vcc_lo, s26, v49
	s_wait_alu 0xfffd
	v_add_co_ci_u32_e64 v22, null, s27, v50, vcc_lo
	s_delay_alu instid0(VALU_DEP_3)
	v_exp_f32_e32 v1, v1
	v_add_co_u32 v23, vcc_lo, s26, v51
	s_wait_alu 0xfffd
	v_add_co_ci_u32_e64 v24, null, s27, v52, vcc_lo
	v_add_co_u32 v25, vcc_lo, s26, v53
	s_wait_alu 0xfffd
	v_add_co_ci_u32_e64 v26, null, s27, v54, vcc_lo
	v_add_co_u32 v88, vcc_lo, v8, v67
	s_delay_alu instid0(TRANS32_DEP_1)
	v_ldexp_f32 v1, v1, v7
	s_wait_alu 0xfffd
	v_add_co_ci_u32_e64 v89, null, 0, v21, vcc_lo
	v_cmp_ngt_f32_e32 vcc_lo, 0xc2ce8ed0, v0
	s_or_b32 s26, s10, 16
	v_add_f32_e32 v140, v140, v141
	s_wait_alu 0xfffe
	s_ashr_i32 s27, s26, 31
	s_wait_alu 0xfffd
	v_cndmask_b32_e32 v1, 0, v1, vcc_lo
	v_add_co_u32 v92, vcc_lo, v6, v67
	s_wait_alu 0xfffd
	v_add_co_ci_u32_e64 v93, null, 0, v22, vcc_lo
	v_cmp_nlt_f32_e32 vcc_lo, 0x42b17218, v0
	s_wait_alu 0xfffe
	s_mul_u64 s[26:27], s[26:27], s[14:15]
	v_exp_f32_e32 v140, v140
	s_wait_alu 0xfffe
	s_lshl_b64 s[26:27], s[26:27], 2
	s_wait_alu 0xfffd
	v_cndmask_b32_e32 v86, 0x7f800000, v1, vcc_lo
	v_add_co_u32 v96, vcc_lo, v23, v67
	s_wait_alu 0xfffd
	v_add_co_ci_u32_e64 v97, null, 0, v24, vcc_lo
	v_add_co_u32 v100, vcc_lo, v25, v67
	s_wait_alu 0xfffe
	s_add_nc_u64 s[26:27], s[8:9], s[26:27]
	s_wait_alu 0xfffd
	v_add_co_ci_u32_e64 v101, null, 0, v26, vcc_lo
	s_wait_alu 0xfffe
	v_add_co_u32 v104, vcc_lo, s26, v47
	s_wait_alu 0xfffd
	v_add_co_ci_u32_e64 v105, null, s27, v48, vcc_lo
	v_add_co_u32 v106, vcc_lo, s26, v49
	s_wait_alu 0xfffd
	v_add_co_ci_u32_e64 v107, null, s27, v50, vcc_lo
	v_add_co_u32 v108, vcc_lo, s26, v51
	s_wait_alu 0xfffd
	v_add_co_ci_u32_e64 v109, null, s27, v52, vcc_lo
	v_add_co_u32 v110, vcc_lo, s26, v53
	s_or_b32 s26, s10, 24
	s_wait_alu 0xfffd
	v_add_co_ci_u32_e64 v111, null, s27, v54, vcc_lo
	v_add_co_u32 v124, vcc_lo, v104, v67
	s_wait_alu 0xfffe
	s_ashr_i32 s27, s26, 31
	s_wait_alu 0xfffd
	v_add_co_ci_u32_e64 v125, null, 0, v105, vcc_lo
	v_add_co_u32 v128, vcc_lo, v106, v67
	s_wait_alu 0xfffe
	s_mul_u64 s[26:27], s[26:27], s[14:15]
	s_wait_alu 0xfffd
	v_add_co_ci_u32_e64 v129, null, 0, v107, vcc_lo
	v_add_co_u32 v132, vcc_lo, v108, v67
	s_wait_alu 0xfffe
	s_lshl_b64 s[26:27], s[26:27], 2
	s_wait_alu 0xfffd
	v_add_co_ci_u32_e64 v133, null, 0, v109, vcc_lo
	v_add_co_u32 v136, vcc_lo, v110, v67
	s_wait_alu 0xfffe
	s_add_nc_u64 s[26:27], s[8:9], s[26:27]
	s_wait_alu 0xfffd
	v_add_co_ci_u32_e64 v137, null, 0, v111, vcc_lo
	s_wait_alu 0xfffe
	v_add_co_u32 v141, vcc_lo, s26, v47
	s_wait_alu 0xfffd
	v_add_co_ci_u32_e64 v143, null, s27, v48, vcc_lo
	v_add_co_u32 v144, vcc_lo, s26, v49
	s_wait_alu 0xfffd
	v_add_co_ci_u32_e64 v145, null, s27, v50, vcc_lo
	v_add_co_u32 v146, vcc_lo, s26, v51
	v_ldexp_f32 v140, v140, v142
	s_wait_alu 0xfffd
	v_add_co_ci_u32_e64 v147, null, s27, v52, vcc_lo
	v_cmp_ngt_f32_e32 vcc_lo, 0xc2ce8ed0, v80
	v_cvt_f16_f32_e32 v0, v86
	ds_store_b16 v69, v0
	s_wait_loadcnt 0x3
	ds_store_b128 v70, v[2:5]
	s_wait_loadcnt 0x2
	ds_store_b128 v71, v[9:12]
	;; [unrolled: 2-line block ×4, first 2 shown]
	s_wait_alu 0xfffd
	v_cndmask_b32_e32 v140, 0, v140, vcc_lo
	v_add_co_u32 v148, vcc_lo, s26, v53
	s_wait_alu 0xfffd
	v_add_co_ci_u32_e64 v149, null, s27, v54, vcc_lo
	v_cmp_nlt_f32_e32 vcc_lo, 0x42b17218, v80
	s_wait_dscnt 0x0
	s_barrier_signal -1
	s_barrier_wait -1
	global_inv scope:SCOPE_SE
	s_wait_alu 0xfffd
	v_cndmask_b32_e32 v80, 0x7f800000, v140, vcc_lo
	v_add_nc_u32_e32 v87, 0x800, v58
	v_add_co_u32 v140, vcc_lo, v141, v67
	s_wait_alu 0xfffd
	v_add_co_ci_u32_e64 v141, null, 0, v143, vcc_lo
	v_fmac_f32_e32 v86, v79, v80
	ds_load_2addr_b64 v[32:35], v58 offset1:32
	ds_load_b128 v[20:23], v68
	ds_load_2addr_b64 v[28:31], v58 offset0:64 offset1:96
	ds_load_2addr_b64 v[24:27], v58 offset0:128 offset1:160
	;; [unrolled: 1-line block ×3, first 2 shown]
	ds_load_2addr_b64 v[12:15], v87 offset1:32
	ds_load_2addr_b64 v[8:11], v87 offset0:64 offset1:96
	ds_load_2addr_b64 v[4:7], v87 offset0:128 offset1:160
	;; [unrolled: 1-line block ×3, first 2 shown]
	s_wait_loadcnt_dscnt 0x0
	s_barrier_signal -1
	s_barrier_wait -1
	global_inv scope:SCOPE_SE
	s_clause 0x3
	global_load_b128 v[88:91], v[88:89], off
	global_load_b128 v[92:95], v[92:93], off
	;; [unrolled: 1-line block ×4, first 2 shown]
	v_cvt_f16_f32_e64 v150, v80
	v_add_co_u32 v142, vcc_lo, v144, v67
	s_wait_alu 0xfffd
	v_add_co_ci_u32_e64 v143, null, 0, v145, vcc_lo
	v_add_co_u32 v144, vcc_lo, v146, v67
	v_and_b32_e32 v150, 0xffff, v150
	s_wait_alu 0xfffd
	v_add_co_ci_u32_e64 v145, null, 0, v147, vcc_lo
	v_and_b32_e32 v147, 0xffff, v20
	v_lshrrev_b32_e32 v20, 16, v20
	v_mul_u32_u24_e32 v146, 0x10001, v150
	v_and_b32_e32 v152, 0xffff, v22
	v_lshrrev_b32_e32 v153, 16, v22
	v_mul_u32_u24_e32 v147, 0x10001, v147
	v_and_b32_e32 v150, 0xffff, v21
	v_pk_mul_f16 v76, v76, v146
	v_pk_mul_f16 v75, v75, v146
	v_mul_u32_u24_e32 v20, 0x10001, v20
	v_pk_mul_f16 v22, v32, v147
	v_pk_mul_f16 v32, v33, v147
	v_pk_fma_f16 v33, v34, v147, v76
	v_pk_fma_f16 v34, v35, v147, v75
	v_lshrrev_b32_e32 v21, 16, v21
	v_pk_fma_f16 v22, v77, v146, v22
	v_pk_fma_f16 v32, v78, v146, v32
	v_mul_u32_u24_e32 v35, 0x10001, v150
	v_pk_fma_f16 v30, v30, v20, v33
	v_pk_fma_f16 v31, v31, v20, v34
	v_pk_fma_f16 v22, v28, v20, v22
	v_pk_fma_f16 v20, v29, v20, v32
	v_mul_u32_u24_e32 v21, 0x10001, v21
	v_pk_fma_f16 v26, v26, v35, v30
	v_pk_fma_f16 v27, v27, v35, v31
	;; [unrolled: 1-line block ×4, first 2 shown]
	v_add_co_u32 v148, vcc_lo, v148, v67
	s_wait_alu 0xfffd
	v_add_co_ci_u32_e64 v149, null, 0, v149, vcc_lo
	v_lshrrev_b32_e32 v154, 16, v23
	v_and_b32_e32 v155, 0xffff, v23
	v_pk_fma_f16 v156, v18, v21, v26
	v_pk_fma_f16 v157, v19, v21, v27
	;; [unrolled: 1-line block ×4, first 2 shown]
	v_mul_u32_u24_e32 v152, 0x10001, v152
	v_mul_u32_u24_e32 v153, 0x10001, v153
	s_wait_loadcnt 0x3
	ds_store_b128 v70, v[88:91]
	s_wait_loadcnt 0x2
	ds_store_b128 v71, v[92:95]
	;; [unrolled: 2-line block ×4, first 2 shown]
	s_wait_dscnt 0x0
	s_barrier_signal -1
	s_barrier_wait -1
	global_inv scope:SCOPE_SE
	ds_load_2addr_b64 v[88:91], v58 offset1:32
	ds_load_b128 v[92:95], v68 offset:16
	ds_load_2addr_b64 v[96:99], v58 offset0:64 offset1:96
	ds_load_2addr_b64 v[100:103], v58 offset0:128 offset1:160
	;; [unrolled: 1-line block ×3, first 2 shown]
	ds_load_2addr_b64 v[108:111], v87 offset1:32
	ds_load_2addr_b64 v[112:115], v87 offset0:64 offset1:96
	ds_load_2addr_b64 v[116:119], v87 offset0:128 offset1:160
	;; [unrolled: 1-line block ×3, first 2 shown]
	s_wait_loadcnt_dscnt 0x0
	s_barrier_signal -1
	s_barrier_wait -1
	global_inv scope:SCOPE_SE
	s_clause 0x3
	global_load_b128 v[124:127], v[124:125], off
	global_load_b128 v[128:131], v[128:129], off
	;; [unrolled: 1-line block ×4, first 2 shown]
	v_pk_fma_f16 v12, v12, v152, v158
	v_pk_fma_f16 v14, v14, v152, v156
	;; [unrolled: 1-line block ×4, first 2 shown]
	v_mul_u32_u24_e32 v152, 0x10001, v155
	v_pk_fma_f16 v8, v8, v153, v12
	v_pk_fma_f16 v10, v10, v153, v14
	;; [unrolled: 1-line block ×4, first 2 shown]
	v_mul_u32_u24_e32 v12, 0x10001, v154
	v_pk_fma_f16 v4, v4, v152, v8
	v_pk_fma_f16 v6, v6, v152, v10
	;; [unrolled: 1-line block ×4, first 2 shown]
	v_and_b32_e32 v9, 0xffff, v93
	v_pk_fma_f16 v0, v0, v12, v4
	v_and_b32_e32 v4, 0xffff, v92
	v_pk_fma_f16 v2, v2, v12, v6
	v_pk_fma_f16 v3, v3, v12, v7
	;; [unrolled: 1-line block ×3, first 2 shown]
	v_lshrrev_b32_e32 v5, 16, v92
	v_mul_u32_u24_e32 v4, 0x10001, v4
	v_lshrrev_b32_e32 v6, 16, v93
	v_and_b32_e32 v10, 0xffff, v94
	v_lshrrev_b32_e32 v7, 16, v94
	v_mul_u32_u24_e32 v5, 0x10001, v5
	v_pk_fma_f16 v0, v88, v4, v0
	v_pk_fma_f16 v1, v89, v4, v1
	v_pk_fma_f16 v2, v90, v4, v2
	v_pk_fma_f16 v3, v91, v4, v3
	v_mul_u32_u24_e32 v4, 0x10001, v9
	v_pk_fma_f16 v0, v96, v5, v0
	v_pk_fma_f16 v1, v97, v5, v1
	v_pk_fma_f16 v2, v98, v5, v2
	v_pk_fma_f16 v3, v99, v5, v3
	;; [unrolled: 5-line block ×4, first 2 shown]
	v_and_b32_e32 v11, 0xffff, v95
	v_mul_u32_u24_e32 v5, 0x10001, v7
	v_pk_fma_f16 v0, v108, v4, v0
	v_pk_fma_f16 v1, v109, v4, v1
	;; [unrolled: 1-line block ×4, first 2 shown]
	v_lshrrev_b32_e32 v8, 16, v95
	v_mul_u32_u24_e32 v4, 0x10001, v11
	v_pk_fma_f16 v0, v112, v5, v0
	v_pk_fma_f16 v1, v113, v5, v1
	;; [unrolled: 1-line block ×4, first 2 shown]
	v_mul_u32_u24_e32 v5, 0x10001, v8
	v_pk_fma_f16 v0, v116, v4, v0
	v_pk_fma_f16 v1, v117, v4, v1
	;; [unrolled: 1-line block ×4, first 2 shown]
	s_wait_loadcnt 0x3
	ds_store_b128 v70, v[124:127]
	s_wait_loadcnt 0x2
	ds_store_b128 v71, v[128:131]
	;; [unrolled: 2-line block ×4, first 2 shown]
	s_wait_dscnt 0x0
	s_barrier_signal -1
	s_barrier_wait -1
	global_inv scope:SCOPE_SE
	ds_load_2addr_b64 v[16:19], v58 offset1:32
	ds_load_b128 v[20:23], v68 offset:32
	ds_load_2addr_b64 v[24:27], v58 offset0:64 offset1:96
	ds_load_2addr_b64 v[28:31], v58 offset0:128 offset1:160
	;; [unrolled: 1-line block ×3, first 2 shown]
	ds_load_2addr_b64 v[75:78], v87 offset1:32
	ds_load_2addr_b64 v[124:127], v87 offset0:64 offset1:96
	ds_load_2addr_b64 v[128:131], v87 offset0:128 offset1:160
	;; [unrolled: 1-line block ×3, first 2 shown]
	s_wait_loadcnt_dscnt 0x0
	s_barrier_signal -1
	s_barrier_wait -1
	global_inv scope:SCOPE_SE
	s_clause 0x3
	global_load_b128 v[136:139], v[140:141], off
	global_load_b128 v[140:143], v[142:143], off
	;; [unrolled: 1-line block ×4, first 2 shown]
	v_pk_fma_f16 v0, v120, v5, v0
	v_pk_fma_f16 v1, v121, v5, v1
	v_pk_fma_f16 v2, v122, v5, v2
	v_pk_fma_f16 v3, v123, v5, v3
	s_wait_loadcnt 0x3
	ds_store_b128 v70, v[136:139]
	s_wait_loadcnt 0x2
	ds_store_b128 v71, v[140:143]
	;; [unrolled: 2-line block ×4, first 2 shown]
	v_and_b32_e32 v4, 0xffff, v20
	v_lshrrev_b32_e32 v5, 16, v20
	v_and_b32_e32 v9, 0xffff, v21
	v_lshrrev_b32_e32 v6, 16, v21
	v_and_b32_e32 v10, 0xffff, v22
	v_mul_u32_u24_e32 v4, 0x10001, v4
	v_mul_u32_u24_e32 v5, 0x10001, v5
	;; [unrolled: 1-line block ×3, first 2 shown]
	v_lshrrev_b32_e32 v7, 16, v22
	v_and_b32_e32 v11, 0xffff, v23
	v_pk_fma_f16 v0, v16, v4, v0
	v_pk_fma_f16 v1, v17, v4, v1
	v_pk_fma_f16 v2, v18, v4, v2
	v_pk_fma_f16 v3, v19, v4, v3
	v_mul_u32_u24_e32 v4, 0x10001, v6
	v_pk_fma_f16 v0, v24, v5, v0
	v_pk_fma_f16 v1, v25, v5, v1
	v_pk_fma_f16 v2, v26, v5, v2
	v_pk_fma_f16 v3, v27, v5, v3
	v_mul_u32_u24_e32 v5, 0x10001, v10
	;; [unrolled: 5-line block ×3, first 2 shown]
	v_pk_fma_f16 v0, v32, v4, v0
	v_pk_fma_f16 v1, v33, v4, v1
	;; [unrolled: 1-line block ×4, first 2 shown]
	v_lshrrev_b32_e32 v8, 16, v23
	v_pk_fma_f16 v0, v75, v5, v0
	v_pk_fma_f16 v1, v76, v5, v1
	;; [unrolled: 1-line block ×3, first 2 shown]
	v_mul_u32_u24_e32 v4, 0x10001, v11
	v_pk_fma_f16 v3, v78, v5, v3
	v_pk_fma_f16 v0, v124, v6, v0
	;; [unrolled: 1-line block ×4, first 2 shown]
	v_mul_u32_u24_e32 v5, 0x10001, v8
	v_pk_fma_f16 v6, v127, v6, v3
	v_pk_fma_f16 v7, v128, v4, v0
	;; [unrolled: 1-line block ×4, first 2 shown]
	s_wait_dscnt 0x0
	s_barrier_signal -1
	s_barrier_wait -1
	global_inv scope:SCOPE_SE
	ds_load_b128 v[0:3], v68 offset:48
	v_pk_fma_f16 v4, v131, v4, v6
	v_pk_fma_f16 v75, v132, v5, v7
	;; [unrolled: 1-line block ×4, first 2 shown]
	s_delay_alu instid0(VALU_DEP_4)
	v_pk_fma_f16 v78, v135, v5, v4
	ds_load_2addr_b64 v[4:7], v58 offset1:32
	ds_load_2addr_b64 v[8:11], v58 offset0:64 offset1:96
	ds_load_2addr_b64 v[12:15], v58 offset0:128 offset1:160
	;; [unrolled: 1-line block ×3, first 2 shown]
	ds_load_2addr_b64 v[20:23], v87 offset1:32
	ds_load_2addr_b64 v[24:27], v87 offset0:64 offset1:96
	ds_load_2addr_b64 v[28:31], v87 offset0:128 offset1:160
	;; [unrolled: 1-line block ×3, first 2 shown]
	s_wait_loadcnt_dscnt 0x0
	s_barrier_signal -1
	s_barrier_wait -1
	global_inv scope:SCOPE_SE
	s_load_b32 s11, s[24:25], 0x4
	v_and_b32_e32 v79, 0xffff, v0
	v_lshrrev_b32_e32 v0, 16, v0
	v_lshrrev_b32_e32 v80, 16, v1
	v_and_b32_e32 v1, 0xffff, v1
	v_lshrrev_b32_e32 v87, 16, v2
	v_mul_u32_u24_e32 v79, 0x10001, v79
	v_mul_u32_u24_e32 v0, 0x10001, v0
	v_and_b32_e32 v2, 0xffff, v2
	v_mul_u32_u24_e32 v1, 0x10001, v1
	v_lshrrev_b32_e32 v88, 16, v3
	v_pk_fma_f16 v4, v4, v79, v75
	v_pk_fma_f16 v5, v5, v79, v76
	;; [unrolled: 1-line block ×4, first 2 shown]
	v_and_b32_e32 v3, 0xffff, v3
	v_pk_fma_f16 v4, v8, v0, v4
	v_pk_fma_f16 v5, v9, v0, v5
	v_pk_fma_f16 v6, v10, v0, v6
	v_pk_fma_f16 v0, v11, v0, v7
	v_mul_u32_u24_e32 v7, 0x10001, v80
	v_pk_fma_f16 v4, v12, v1, v4
	v_pk_fma_f16 v5, v13, v1, v5
	v_pk_fma_f16 v6, v14, v1, v6
	v_pk_fma_f16 v0, v15, v1, v0
	v_mul_u32_u24_e32 v1, 0x10001, v2
	;; [unrolled: 5-line block ×5, first 2 shown]
	v_pk_fma_f16 v2, v28, v1, v2
	v_pk_fma_f16 v3, v29, v1, v3
	;; [unrolled: 1-line block ×4, first 2 shown]
	s_wait_kmcnt 0x0
	s_lshl_b32 s11, s11, 5
	v_pk_fma_f16 v77, v32, v5, v2
	v_pk_fma_f16 v78, v33, v5, v3
	;; [unrolled: 1-line block ×4, first 2 shown]
	s_wait_alu 0xfffe
	s_add_co_i32 s10, s11, s10
	s_wait_alu 0xfffe
	s_cmp_ge_i32 s10, s28
	s_cbranch_scc1 .LBB69_15
; %bb.14:                               ;   in Loop: Header=BB69_9 Depth=1
	v_dual_mov_b32 v80, v55 :: v_dual_mov_b32 v79, v86
	s_branch .LBB69_9
.LBB69_15:
	v_mov_b32_e32 v3, v60
.LBB69_16:
	v_cmp_lt_i32_e32 vcc_lo, v82, v61
	s_cmp_lg_u64 s[12:13], 0
	s_cselect_b32 s3, -1, 0
	s_cmp_eq_u32 s4, 0
	s_wait_alu 0xfffd
	v_cndmask_b32_e32 v0, v3, v82, vcc_lo
	v_cmp_lt_i32_e32 vcc_lo, v81, v61
	s_cselect_b32 s5, -1, 0
	s_wait_alu 0xfffe
	s_and_b32 s3, s5, s3
	s_wait_alu 0xfffd
	v_cndmask_b32_e32 v1, v3, v81, vcc_lo
	v_cmp_lt_i32_e32 vcc_lo, v83, v61
	s_delay_alu instid0(VALU_DEP_2)
	v_lshlrev_b32_e32 v1, 2, v1
	v_lshlrev_b32_e32 v0, 2, v0
	s_wait_alu 0xfffd
	v_cndmask_b32_e32 v2, v3, v83, vcc_lo
	v_cmp_lt_i32_e32 vcc_lo, v84, v61
	ds_bpermute_b32 v0, v0, v86
	v_lshlrev_b32_e32 v2, 2, v2
	s_wait_dscnt 0x0
	v_add_f32_e32 v0, v86, v0
	ds_bpermute_b32 v1, v1, v0
	s_wait_dscnt 0x0
	v_add_f32_e32 v0, v0, v1
	ds_bpermute_b32 v1, v2, v0
	s_wait_alu 0xfffd
	v_cndmask_b32_e32 v2, v3, v84, vcc_lo
	v_cmp_lt_i32_e32 vcc_lo, v85, v61
	s_delay_alu instid0(VALU_DEP_2)
	v_lshlrev_b32_e32 v2, 2, v2
	s_wait_dscnt 0x0
	v_add_f32_e32 v0, v0, v1
	ds_bpermute_b32 v1, v2, v0
	s_wait_alu 0xfffd
	v_cndmask_b32_e32 v2, v3, v85, vcc_lo
	s_wait_alu 0xfffe
	s_and_b32 vcc_lo, exec_lo, s3
	s_wait_dscnt 0x0
	s_delay_alu instid0(VALU_DEP_1)
	v_dual_add_f32 v1, v0, v1 :: v_dual_lshlrev_b32 v2, 2, v2
	v_add_nc_u32_e32 v0, s33, v56
	ds_bpermute_b32 v2, v2, v1
	s_wait_dscnt 0x0
	v_add_f32_e32 v56, v1, v2
	s_wait_alu 0xfffe
	s_cbranch_vccz .LBB69_18
; %bb.17:
	v_ashrrev_i32_e32 v1, 31, v0
	s_delay_alu instid0(VALU_DEP_1) | instskip(NEXT) | instid1(VALU_DEP_1)
	v_lshlrev_b64_e32 v[1:2], 2, v[0:1]
	v_add_co_u32 v1, vcc_lo, s12, v1
	s_wait_alu 0xfffd
	s_delay_alu instid0(VALU_DEP_2) | instskip(SKIP_3) | instid1(VALU_DEP_1)
	v_add_co_ci_u32_e64 v2, null, s13, v2, vcc_lo
	global_load_b32 v1, v[1:2], off
	s_wait_loadcnt 0x0
	v_dual_max_num_f32 v2, v55, v55 :: v_dual_max_num_f32 v3, v1, v1
	v_max_num_f32_e32 v2, v2, v3
	s_delay_alu instid0(VALU_DEP_1) | instskip(NEXT) | instid1(VALU_DEP_1)
	v_sub_f32_e32 v1, v1, v2
	v_mul_f32_e32 v7, 0x3fb8aa3b, v1
	v_sub_f32_e32 v3, v55, v2
	v_mov_b32_e32 v55, v2
	s_delay_alu instid0(VALU_DEP_3) | instskip(NEXT) | instid1(VALU_DEP_3)
	v_rndne_f32_e32 v9, v7
	v_mul_f32_e32 v4, 0x3fb8aa3b, v3
	s_delay_alu instid0(VALU_DEP_1) | instskip(SKIP_1) | instid1(VALU_DEP_1)
	v_fma_f32 v5, 0x3fb8aa3b, v3, -v4
	v_rndne_f32_e32 v6, v4
	v_dual_fmac_f32 v5, 0x32a5705f, v3 :: v_dual_sub_f32 v4, v4, v6
	v_cvt_i32_f32_e32 v6, v6
	s_delay_alu instid0(VALU_DEP_2) | instskip(SKIP_2) | instid1(VALU_DEP_3)
	v_add_f32_e32 v4, v4, v5
	v_cmp_ngt_f32_e32 vcc_lo, 0xc2ce8ed0, v3
	v_sub_f32_e32 v5, v7, v9
	v_exp_f32_e32 v4, v4
	s_delay_alu instid0(TRANS32_DEP_1) | instskip(SKIP_2) | instid1(VALU_DEP_2)
	v_ldexp_f32 v4, v4, v6
	v_cvt_i32_f32_e32 v6, v9
	s_wait_alu 0xfffd
	v_cndmask_b32_e32 v4, 0, v4, vcc_lo
	v_fma_f32 v8, 0x3fb8aa3b, v1, -v7
	v_cmp_nlt_f32_e32 vcc_lo, 0x42b17218, v3
	s_wait_alu 0xfffd
	s_delay_alu instid0(VALU_DEP_3) | instskip(NEXT) | instid1(VALU_DEP_3)
	v_cndmask_b32_e32 v3, 0x7f800000, v4, vcc_lo
	v_fmac_f32_e32 v8, 0x32a5705f, v1
	v_cmp_ngt_f32_e32 vcc_lo, 0xc2ce8ed0, v1
	s_delay_alu instid0(VALU_DEP_2) | instskip(NEXT) | instid1(VALU_DEP_1)
	v_add_f32_e32 v5, v5, v8
	v_exp_f32_e32 v5, v5
	s_delay_alu instid0(TRANS32_DEP_1) | instskip(SKIP_1) | instid1(VALU_DEP_1)
	v_ldexp_f32 v5, v5, v6
	s_wait_alu 0xfffd
	v_cndmask_b32_e32 v4, 0, v5, vcc_lo
	v_cmp_nlt_f32_e32 vcc_lo, 0x42b17218, v1
	s_wait_alu 0xfffd
	s_delay_alu instid0(VALU_DEP_2) | instskip(NEXT) | instid1(VALU_DEP_1)
	v_cndmask_b32_e32 v1, 0x7f800000, v4, vcc_lo
	v_fmac_f32_e32 v1, v56, v3
	s_delay_alu instid0(VALU_DEP_1) | instskip(SKIP_1) | instid1(VALU_DEP_1)
	v_mov_b32_e32 v56, v1
	v_cvt_f16_f32_e32 v5, v3
	v_and_b32_e32 v4, 0xffff, v5
	s_delay_alu instid0(VALU_DEP_1) | instskip(NEXT) | instid1(VALU_DEP_1)
	v_mul_u32_u24_e32 v3, 0x10001, v4
	v_pk_mul_f16 v77, v77, v3
	v_pk_mul_f16 v78, v78, v3
	;; [unrolled: 1-line block ×4, first 2 shown]
.LBB69_18:
	s_delay_alu instid0(VALU_DEP_1)
	v_div_scale_f32 v3, null, v56, v56, 1.0
	s_load_b32 s1, s[0:1], 0xd4
	v_mad_co_u64_u32 v[1:2], null, s2, s22, v[36:37]
	v_rcp_f32_e32 v5, v3
	v_div_scale_f32 v4, vcc_lo, 1.0, v56, 1.0
	v_cvt_f32_f16_e32 v7, v78
	v_lshrrev_b32_e32 v9, 16, v77
	v_lshrrev_b32_e32 v6, 16, v78
	v_mad_co_u64_u32 v[0:1], null, v1, s23, v[0:1]
	v_lshrrev_b32_e32 v10, 16, v75
	s_delay_alu instid0(VALU_DEP_4) | instskip(NEXT) | instid1(TRANS32_DEP_1)
	v_cvt_f32_f16_e32 v16, v9
	v_fma_f32 v2, -v3, v5, 1.0
	v_cvt_f32_f16_e32 v6, v6
	v_lshrrev_b32_e32 v11, 16, v76
	v_cvt_f32_f16_e32 v13, v77
	v_cvt_f32_f16_e32 v14, v75
	v_dual_fmac_f32 v5, v2, v5 :: v_dual_mov_b32 v2, 0
	s_wait_kmcnt 0x0
	v_mad_co_u64_u32 v[0:1], null, s1, v0, s[4:5]
	s_cmp_lg_u32 s1, 1
	v_mul_f32_e32 v8, v4, v5
	s_cselect_b32 s1, -1, 0
	v_cvt_f32_f16_e32 v15, v76
	v_cvt_f32_f16_e32 v17, v11
	v_cmp_eq_u32_e64 s0, 0, v37
	v_fma_f32 v1, -v3, v8, v4
	s_wait_alu 0xfffe
	s_and_b32 s0, s0, s1
	s_delay_alu instid0(VALU_DEP_1) | instskip(SKIP_1) | instid1(VALU_DEP_2)
	v_fmac_f32_e32 v8, v1, v5
	v_lshl_add_u32 v1, v0, 8, v57
	v_fma_f32 v9, -v3, v8, v4
	s_delay_alu instid0(VALU_DEP_2) | instskip(SKIP_1) | instid1(VALU_DEP_2)
	v_lshlrev_b64_e32 v[3:4], 2, v[1:2]
	s_wait_alu 0xfffd
	v_div_fmas_f32 v5, v9, v5, v8
	v_cvt_f32_f16_e32 v8, v10
	s_delay_alu instid0(VALU_DEP_3) | instskip(SKIP_3) | instid1(VALU_DEP_1)
	v_add_co_u32 v9, vcc_lo, s16, v3
	s_wait_alu 0xfffd
	v_add_co_ci_u32_e64 v10, null, s17, v4, vcc_lo
	v_div_fixup_f32 v5, v5, v56, 1.0
	v_cndmask_b32_e64 v5, v5, 1.0, s1
	s_delay_alu instid0(VALU_DEP_1) | instskip(NEXT) | instid1(VALU_DEP_1)
	v_dual_mul_f32 v4, v5, v6 :: v_dual_add_nc_u32 v1, 0x80, v1
	v_lshlrev_b64_e32 v[1:2], 2, v[1:2]
	v_mul_f32_e32 v3, v5, v7
	v_mul_f32_e32 v8, v5, v8
	;; [unrolled: 1-line block ×4, first 2 shown]
	v_add_co_u32 v11, vcc_lo, s16, v1
	s_wait_alu 0xfffd
	v_add_co_ci_u32_e64 v12, null, s17, v2, vcc_lo
	v_mul_f32_e32 v2, v5, v16
	v_mul_f32_e32 v1, v5, v13
	;; [unrolled: 1-line block ×3, first 2 shown]
	s_clause 0x1
	global_store_b128 v[9:10], v[1:4], off
	global_store_b128 v[11:12], v[5:8], off
	s_wait_alu 0xfffe
	s_and_saveexec_b32 s1, s0
	s_cbranch_execz .LBB69_20
; %bb.19:
	v_ashrrev_i32_e32 v1, 31, v0
	s_delay_alu instid0(VALU_DEP_1) | instskip(NEXT) | instid1(VALU_DEP_1)
	v_lshlrev_b64_e32 v[0:1], 3, v[0:1]
	v_add_co_u32 v0, vcc_lo, s18, v0
	s_wait_alu 0xfffd
	s_delay_alu instid0(VALU_DEP_2)
	v_add_co_ci_u32_e64 v1, null, s19, v1, vcc_lo
	global_store_b64 v[0:1], v[55:56], off
.LBB69_20:
	s_nop 0
	s_sendmsg sendmsg(MSG_DEALLOC_VGPRS)
	s_endpgm
	.section	.rodata,"a",@progbits
	.p2align	6, 0x0
	.amdhsa_kernel _ZL15flash_attn_tileILi256ELi256ELi1ELi2ELb1EEvPKcS1_S1_S1_S1_PKiPfP15HIP_vector_typeIfLj2EEffffjfiS5_IjLj3EEiiiiiiiiiiiliiliiiiil
		.amdhsa_group_segment_fixed_size 5760
		.amdhsa_private_segment_fixed_size 0
		.amdhsa_kernarg_size 464
		.amdhsa_user_sgpr_count 2
		.amdhsa_user_sgpr_dispatch_ptr 0
		.amdhsa_user_sgpr_queue_ptr 0
		.amdhsa_user_sgpr_kernarg_segment_ptr 1
		.amdhsa_user_sgpr_dispatch_id 0
		.amdhsa_user_sgpr_private_segment_size 0
		.amdhsa_wavefront_size32 1
		.amdhsa_uses_dynamic_stack 0
		.amdhsa_enable_private_segment 0
		.amdhsa_system_sgpr_workgroup_id_x 1
		.amdhsa_system_sgpr_workgroup_id_y 1
		.amdhsa_system_sgpr_workgroup_id_z 1
		.amdhsa_system_sgpr_workgroup_info 0
		.amdhsa_system_vgpr_workitem_id 1
		.amdhsa_next_free_vgpr 160
		.amdhsa_next_free_sgpr 43
		.amdhsa_reserve_vcc 1
		.amdhsa_float_round_mode_32 0
		.amdhsa_float_round_mode_16_64 0
		.amdhsa_float_denorm_mode_32 3
		.amdhsa_float_denorm_mode_16_64 3
		.amdhsa_fp16_overflow 0
		.amdhsa_workgroup_processor_mode 1
		.amdhsa_memory_ordered 1
		.amdhsa_forward_progress 1
		.amdhsa_inst_pref_size 65
		.amdhsa_round_robin_scheduling 0
		.amdhsa_exception_fp_ieee_invalid_op 0
		.amdhsa_exception_fp_denorm_src 0
		.amdhsa_exception_fp_ieee_div_zero 0
		.amdhsa_exception_fp_ieee_overflow 0
		.amdhsa_exception_fp_ieee_underflow 0
		.amdhsa_exception_fp_ieee_inexact 0
		.amdhsa_exception_int_div_zero 0
	.end_amdhsa_kernel
	.section	.text._ZL15flash_attn_tileILi256ELi256ELi1ELi2ELb1EEvPKcS1_S1_S1_S1_PKiPfP15HIP_vector_typeIfLj2EEffffjfiS5_IjLj3EEiiiiiiiiiiiliiliiiiil,"axG",@progbits,_ZL15flash_attn_tileILi256ELi256ELi1ELi2ELb1EEvPKcS1_S1_S1_S1_PKiPfP15HIP_vector_typeIfLj2EEffffjfiS5_IjLj3EEiiiiiiiiiiiliiliiiiil,comdat
.Lfunc_end69:
	.size	_ZL15flash_attn_tileILi256ELi256ELi1ELi2ELb1EEvPKcS1_S1_S1_S1_PKiPfP15HIP_vector_typeIfLj2EEffffjfiS5_IjLj3EEiiiiiiiiiiiliiliiiiil, .Lfunc_end69-_ZL15flash_attn_tileILi256ELi256ELi1ELi2ELb1EEvPKcS1_S1_S1_S1_PKiPfP15HIP_vector_typeIfLj2EEffffjfiS5_IjLj3EEiiiiiiiiiiiliiliiiiil
                                        ; -- End function
	.set _ZL15flash_attn_tileILi256ELi256ELi1ELi2ELb1EEvPKcS1_S1_S1_S1_PKiPfP15HIP_vector_typeIfLj2EEffffjfiS5_IjLj3EEiiiiiiiiiiiliiliiiiil.num_vgpr, 160
	.set _ZL15flash_attn_tileILi256ELi256ELi1ELi2ELb1EEvPKcS1_S1_S1_S1_PKiPfP15HIP_vector_typeIfLj2EEffffjfiS5_IjLj3EEiiiiiiiiiiiliiliiiiil.num_agpr, 0
	.set _ZL15flash_attn_tileILi256ELi256ELi1ELi2ELb1EEvPKcS1_S1_S1_S1_PKiPfP15HIP_vector_typeIfLj2EEffffjfiS5_IjLj3EEiiiiiiiiiiiliiliiiiil.numbered_sgpr, 43
	.set _ZL15flash_attn_tileILi256ELi256ELi1ELi2ELb1EEvPKcS1_S1_S1_S1_PKiPfP15HIP_vector_typeIfLj2EEffffjfiS5_IjLj3EEiiiiiiiiiiiliiliiiiil.num_named_barrier, 0
	.set _ZL15flash_attn_tileILi256ELi256ELi1ELi2ELb1EEvPKcS1_S1_S1_S1_PKiPfP15HIP_vector_typeIfLj2EEffffjfiS5_IjLj3EEiiiiiiiiiiiliiliiiiil.private_seg_size, 0
	.set _ZL15flash_attn_tileILi256ELi256ELi1ELi2ELb1EEvPKcS1_S1_S1_S1_PKiPfP15HIP_vector_typeIfLj2EEffffjfiS5_IjLj3EEiiiiiiiiiiiliiliiiiil.uses_vcc, 1
	.set _ZL15flash_attn_tileILi256ELi256ELi1ELi2ELb1EEvPKcS1_S1_S1_S1_PKiPfP15HIP_vector_typeIfLj2EEffffjfiS5_IjLj3EEiiiiiiiiiiiliiliiiiil.uses_flat_scratch, 0
	.set _ZL15flash_attn_tileILi256ELi256ELi1ELi2ELb1EEvPKcS1_S1_S1_S1_PKiPfP15HIP_vector_typeIfLj2EEffffjfiS5_IjLj3EEiiiiiiiiiiiliiliiiiil.has_dyn_sized_stack, 0
	.set _ZL15flash_attn_tileILi256ELi256ELi1ELi2ELb1EEvPKcS1_S1_S1_S1_PKiPfP15HIP_vector_typeIfLj2EEffffjfiS5_IjLj3EEiiiiiiiiiiiliiliiiiil.has_recursion, 0
	.set _ZL15flash_attn_tileILi256ELi256ELi1ELi2ELb1EEvPKcS1_S1_S1_S1_PKiPfP15HIP_vector_typeIfLj2EEffffjfiS5_IjLj3EEiiiiiiiiiiiliiliiiiil.has_indirect_call, 0
	.section	.AMDGPU.csdata,"",@progbits
; Kernel info:
; codeLenInByte = 8284
; TotalNumSgprs: 45
; NumVgprs: 160
; ScratchSize: 0
; MemoryBound: 0
; FloatMode: 240
; IeeeMode: 1
; LDSByteSize: 5760 bytes/workgroup (compile time only)
; SGPRBlocks: 0
; VGPRBlocks: 19
; NumSGPRsForWavesPerEU: 45
; NumVGPRsForWavesPerEU: 160
; Occupancy: 9
; WaveLimiterHint : 1
; COMPUTE_PGM_RSRC2:SCRATCH_EN: 0
; COMPUTE_PGM_RSRC2:USER_SGPR: 2
; COMPUTE_PGM_RSRC2:TRAP_HANDLER: 0
; COMPUTE_PGM_RSRC2:TGID_X_EN: 1
; COMPUTE_PGM_RSRC2:TGID_Y_EN: 1
; COMPUTE_PGM_RSRC2:TGID_Z_EN: 1
; COMPUTE_PGM_RSRC2:TIDIG_COMP_CNT: 1
	.section	.text._ZL15flash_attn_tileILi256ELi256ELi32ELi1ELb1EEvPKcS1_S1_S1_S1_PKiPfP15HIP_vector_typeIfLj2EEffffjfiS5_IjLj3EEiiiiiiiiiiiliiliiiiil,"axG",@progbits,_ZL15flash_attn_tileILi256ELi256ELi32ELi1ELb1EEvPKcS1_S1_S1_S1_PKiPfP15HIP_vector_typeIfLj2EEffffjfiS5_IjLj3EEiiiiiiiiiiiliiliiiiil,comdat
	.globl	_ZL15flash_attn_tileILi256ELi256ELi32ELi1ELb1EEvPKcS1_S1_S1_S1_PKiPfP15HIP_vector_typeIfLj2EEffffjfiS5_IjLj3EEiiiiiiiiiiiliiliiiiil ; -- Begin function _ZL15flash_attn_tileILi256ELi256ELi32ELi1ELb1EEvPKcS1_S1_S1_S1_PKiPfP15HIP_vector_typeIfLj2EEffffjfiS5_IjLj3EEiiiiiiiiiiiliiliiiiil
	.p2align	8
	.type	_ZL15flash_attn_tileILi256ELi256ELi32ELi1ELb1EEvPKcS1_S1_S1_S1_PKiPfP15HIP_vector_typeIfLj2EEffffjfiS5_IjLj3EEiiiiiiiiiiiliiliiiiil,@function
_ZL15flash_attn_tileILi256ELi256ELi32ELi1ELb1EEvPKcS1_S1_S1_S1_PKiPfP15HIP_vector_typeIfLj2EEffffjfiS5_IjLj3EEiiiiiiiiiiiliiliiiiil: ; @_ZL15flash_attn_tileILi256ELi256ELi32ELi1ELb1EEvPKcS1_S1_S1_S1_PKiPfP15HIP_vector_typeIfLj2EEffffjfiS5_IjLj3EEiiiiiiiiiiiliiliiiiil
; %bb.0:
	s_clause 0x1
	s_load_b128 s[20:23], s[0:1], 0x5c
	s_load_b64 s[2:3], s[0:1], 0x80
	s_lshr_b32 s6, ttmp7, 16
	s_load_b64 s[30:31], s[0:1], 0xb8
	s_mov_b32 s41, 0
	s_mov_b64 s[38:39], 0
	s_wait_kmcnt 0x0
	s_cvt_f32_u32 s4, s23
	s_sub_co_i32 s5, 0, s23
	s_delay_alu instid0(SALU_CYCLE_2) | instskip(NEXT) | instid1(TRANS32_DEP_1)
	v_rcp_iflag_f32_e32 v1, s4
	v_readfirstlane_b32 s4, v1
	s_mul_f32 s4, s4, 0x4f7ffffe
	s_wait_alu 0xfffe
	s_delay_alu instid0(SALU_CYCLE_2) | instskip(SKIP_1) | instid1(SALU_CYCLE_2)
	s_cvt_u32_f32 s4, s4
	s_wait_alu 0xfffe
	s_mul_i32 s5, s5, s4
	s_wait_alu 0xfffe
	s_mul_hi_u32 s5, s4, s5
	s_wait_alu 0xfffe
	s_add_co_i32 s4, s4, s5
	s_wait_alu 0xfffe
	s_mul_hi_u32 s4, s6, s4
	s_wait_alu 0xfffe
	s_mul_i32 s5, s4, s23
	s_add_co_i32 s7, s4, 1
	s_wait_alu 0xfffe
	s_sub_co_i32 s5, s6, s5
	s_wait_alu 0xfffe
	s_sub_co_i32 s8, s5, s23
	s_cmp_ge_u32 s5, s23
	s_cselect_b32 s4, s7, s4
	s_cselect_b32 s5, s8, s5
	s_wait_alu 0xfffe
	s_add_co_i32 s7, s4, 1
	s_cmp_ge_u32 s5, s23
	s_cselect_b32 s36, s7, s4
	s_abs_i32 s4, s3
	s_abs_i32 s9, s23
	s_wait_alu 0xfffe
	s_cvt_f32_u32 s5, s4
	s_sub_co_i32 s7, 0, s4
	s_mul_i32 s8, s36, s23
	s_xor_b32 s3, s23, s3
	s_wait_alu 0xfffe
	v_rcp_iflag_f32_e32 v1, s5
	s_sub_co_i32 s34, s6, s8
	s_ashr_i32 s3, s3, 31
	s_delay_alu instid0(TRANS32_DEP_1) | instskip(SKIP_2) | instid1(SALU_CYCLE_2)
	v_readfirstlane_b32 s5, v1
	s_mul_f32 s5, s5, 0x4f7ffffe
	s_wait_alu 0xfffe
	s_cvt_u32_f32 s5, s5
	s_wait_alu 0xfffe
	s_delay_alu instid0(SALU_CYCLE_2) | instskip(NEXT) | instid1(SALU_CYCLE_1)
	s_mul_i32 s7, s7, s5
	s_mul_hi_u32 s7, s5, s7
	s_delay_alu instid0(SALU_CYCLE_1)
	s_add_co_i32 s5, s5, s7
	s_wait_alu 0xfffe
	s_mul_hi_u32 s5, s9, s5
	s_wait_alu 0xfffe
	s_mul_i32 s6, s5, s4
	s_add_co_i32 s7, s5, 1
	s_sub_co_i32 s6, s9, s6
	s_delay_alu instid0(SALU_CYCLE_1)
	s_sub_co_i32 s8, s6, s4
	s_cmp_ge_u32 s6, s4
	s_cselect_b32 s5, s7, s5
	s_cselect_b32 s6, s8, s6
	s_wait_alu 0xfffe
	s_add_co_i32 s7, s5, 1
	s_cmp_ge_u32 s6, s4
	s_cselect_b32 s4, s7, s5
	s_abs_i32 s40, s34
	s_wait_alu 0xfffe
	s_xor_b32 s4, s4, s3
	s_wait_alu 0xfffe
	s_sub_co_i32 s37, s4, s3
	s_delay_alu instid0(SALU_CYCLE_1) | instskip(NEXT) | instid1(SALU_CYCLE_1)
	s_abs_i32 s3, s37
	s_cvt_f32_u32 s4, s3
	s_sub_co_i32 s25, 0, s3
	s_wait_alu 0xfffe
	s_delay_alu instid0(SALU_CYCLE_1) | instskip(SKIP_1) | instid1(TRANS32_DEP_1)
	v_rcp_iflag_f32_e32 v1, s4
	s_load_b512 s[4:19], s[0:1], 0x0
	v_readfirstlane_b32 s24, v1
	s_mul_f32 s24, s24, 0x4f7ffffe
	s_delay_alu instid0(SALU_CYCLE_3) | instskip(NEXT) | instid1(SALU_CYCLE_3)
	s_cvt_u32_f32 s24, s24
	s_mul_i32 s25, s25, s24
	s_delay_alu instid0(SALU_CYCLE_1) | instskip(NEXT) | instid1(SALU_CYCLE_1)
	s_mul_hi_u32 s25, s24, s25
	s_add_co_i32 s42, s24, s25
	s_wait_kmcnt 0x0
	s_cmp_eq_u64 s[10:11], 0
	s_cbranch_scc1 .LBB70_2
; %bb.1:
	s_abs_i32 s26, s30
	s_delay_alu instid0(SALU_CYCLE_1) | instskip(NEXT) | instid1(SALU_CYCLE_3)
	s_cvt_f32_u32 s24, s26
	v_rcp_iflag_f32_e32 v1, s24
	s_delay_alu instid0(TRANS32_DEP_1) | instskip(SKIP_2) | instid1(SALU_CYCLE_2)
	v_readfirstlane_b32 s24, v1
	s_mul_f32 s24, s24, 0x4f7ffffe
	s_wait_alu 0xfffe
	s_cvt_u32_f32 s27, s24
	s_sub_co_i32 s24, 0, s26
	s_wait_alu 0xfffe
	s_delay_alu instid0(SALU_CYCLE_1) | instskip(SKIP_4) | instid1(SALU_CYCLE_1)
	s_mul_i32 s24, s24, s27
	s_wait_alu 0xfffe
	s_mul_hi_u32 s28, s27, s24
	s_load_b64 s[24:25], s[0:1], 0xc8
	s_add_co_i32 s27, s27, s28
	s_mul_hi_u32 s27, s36, s27
	s_delay_alu instid0(SALU_CYCLE_1) | instskip(NEXT) | instid1(SALU_CYCLE_1)
	s_mul_i32 s27, s27, s26
	s_sub_co_i32 s27, s36, s27
	s_delay_alu instid0(SALU_CYCLE_1) | instskip(SKIP_2) | instid1(SALU_CYCLE_1)
	s_sub_co_i32 s28, s27, s26
	s_cmp_ge_u32 s27, s26
	s_cselect_b32 s27, s28, s27
	s_sub_co_i32 s28, s27, s26
	s_cmp_ge_u32 s27, s26
	s_cselect_b32 s26, s28, s27
	s_delay_alu instid0(SALU_CYCLE_1)
	s_ashr_i32 s27, s26, 31
	s_wait_kmcnt 0x0
	s_mul_u64 s[24:25], s[24:25], s[26:27]
	s_wait_alu 0xfffe
	s_add_nc_u64 s[38:39], s[10:11], s[24:25]
.LBB70_2:
	s_clause 0x1
	s_load_b128 s[24:27], s[0:1], 0x40
	s_load_b64 s[10:11], s[0:1], 0x50
	v_mov_b32_e32 v40, 1.0
	s_mov_b32 s43, s41
	s_wait_kmcnt 0x0
	s_cmp_le_f32 s25, 0
	s_cbranch_scc1 .LBB70_4
; %bb.3:
	v_sub_co_u32 v1, s10, s34, s10
	s_and_b32 s28, s10, exec_lo
	s_cselect_b32 s26, s26, s27
	s_add_co_i32 s27, s34, 1
	v_readfirstlane_b32 s25, v1
	s_lshl_b32 s25, s25, 1
	s_wait_alu 0xfffe
	s_or_b32 s25, s25, 1
	s_and_b32 s10, s10, exec_lo
	s_wait_alu 0xfffe
	s_cselect_b32 s10, s27, s25
	s_cmp_neq_f32 s26, 1.0
	s_wait_alu 0xfffe
	s_cvt_f32_i32 s10, s10
	s_wait_alu 0xfffe
	s_delay_alu instid0(SALU_CYCLE_2)
	s_cselect_b32 s25, s10, 1.0
	s_wait_alu 0xfffe
	s_cmp_neq_f32 s25, 0
	s_cselect_b32 s10, s26, 1.0
	s_wait_alu 0xfffe
	v_frexp_mant_f32_e64 v1, |s10|
	s_delay_alu instid0(VALU_DEP_1) | instskip(SKIP_3) | instid1(SALU_CYCLE_1)
	v_readfirstlane_b32 s26, v1
	v_cvt_f64_f32_e64 v[1:2], |s10|
	s_cmp_lt_f32 s26, 0x3f2aaaab
	s_cselect_b32 s27, -1, 0
	s_and_b32 s28, s27, exec_lo
	s_cselect_b32 s28, 2.0, 1.0
	s_delay_alu instid0(SALU_CYCLE_1) | instskip(NEXT) | instid1(SALU_CYCLE_3)
	s_mul_f32 s26, s26, s28
	s_add_f32 s28, s26, 1.0
	s_add_f32 s30, s26, -1.0
	s_delay_alu instid0(SALU_CYCLE_2) | instskip(SKIP_1) | instid1(SALU_CYCLE_3)
	v_s_rcp_f32 s29, s28
	s_add_f32 s44, s28, -1.0
	s_sub_f32 s26, s26, s44
	s_delay_alu instid0(TRANS32_DEP_1) | instskip(NEXT) | instid1(SALU_CYCLE_3)
	s_mul_f32 s33, s30, s29
	s_mul_f32 s35, s28, s33
	s_wait_alu 0xfffe
	s_delay_alu instid0(SALU_CYCLE_2) | instskip(NEXT) | instid1(VALU_DEP_1)
	s_xor_b32 s45, s35, 0x80000000
	v_frexp_exp_i32_f64_e32 v1, v[1:2]
	s_fmac_f32 s45, s33, s28
	s_delay_alu instid0(SALU_CYCLE_3) | instskip(NEXT) | instid1(SALU_CYCLE_3)
	s_fmac_f32 s45, s33, s26
	s_add_f32 s26, s35, s45
	s_delay_alu instid0(SALU_CYCLE_3) | instskip(SKIP_2) | instid1(SALU_CYCLE_1)
	s_sub_f32 s28, s30, s26
	s_sub_f32 s35, s26, s35
	s_wait_alu 0xfffe
	s_sub_f32 s30, s30, s28
	s_delay_alu instid0(SALU_CYCLE_1) | instskip(NEXT) | instid1(SALU_CYCLE_2)
	s_sub_f32 s35, s35, s45
	s_sub_f32 s26, s30, s26
	s_wait_alu 0xfffe
	s_delay_alu instid0(SALU_CYCLE_2) | instskip(SKIP_1) | instid1(SALU_CYCLE_2)
	s_add_f32 s26, s35, s26
	s_mov_b32 s35, 0x3e76c4e1
	s_add_f32 s26, s28, s26
	s_delay_alu instid0(SALU_CYCLE_3) | instskip(NEXT) | instid1(SALU_CYCLE_3)
	s_mul_f32 s26, s29, s26
	s_add_f32 s28, s33, s26
	s_wait_alu 0xfffe
	s_delay_alu instid0(SALU_CYCLE_2) | instskip(SKIP_2) | instid1(SALU_CYCLE_1)
	s_sub_f32 s29, s28, s33
	s_mul_f32 s30, s28, s28
	s_wait_alu 0xfffe
	s_sub_f32 s26, s26, s29
	s_delay_alu instid0(SALU_CYCLE_1) | instskip(SKIP_4) | instid1(SALU_CYCLE_2)
	s_xor_b32 s29, s30, 0x80000000
	s_wait_alu 0xfffe
	s_fmac_f32 s29, s28, s28
	s_add_f32 s33, s26, s26
	s_wait_alu 0xfffe
	s_fmac_f32 s29, s28, s33
	s_wait_alu 0xfffe
	s_delay_alu instid0(SALU_CYCLE_2) | instskip(NEXT) | instid1(SALU_CYCLE_3)
	s_add_f32 s33, s30, s29
	s_fmaak_f32 s35, s33, s35, 0x3e91f4c4
	s_sub_f32 s30, s33, s30
	s_wait_alu 0xfffe
	s_delay_alu instid0(SALU_CYCLE_1) | instskip(NEXT) | instid1(SALU_CYCLE_1)
	s_fmaak_f32 s35, s33, s35, 0x3ecccdef
	s_sub_f32 s29, s29, s30
	s_mul_f32 s30, s28, s33
	s_wait_alu 0xfffe
	s_mul_f32 s44, s33, s35
	s_delay_alu instid0(SALU_CYCLE_1) | instskip(NEXT) | instid1(SALU_CYCLE_2)
	s_xor_b32 s46, s30, 0x80000000
	s_xor_b32 s45, s44, 0x80000000
	s_fmac_f32 s46, s33, s28
	s_fmac_f32 s45, s33, s35
	s_delay_alu instid0(SALU_CYCLE_2) | instskip(NEXT) | instid1(SALU_CYCLE_2)
	s_fmac_f32 s46, s33, s26
	s_fmac_f32 s45, s29, s35
	s_delay_alu instid0(SALU_CYCLE_2) | instskip(NEXT) | instid1(SALU_CYCLE_2)
	s_fmac_f32 s46, s29, s28
	s_add_f32 s35, s44, s45
	s_wait_alu 0xfffe
	s_delay_alu instid0(SALU_CYCLE_2) | instskip(SKIP_1) | instid1(SALU_CYCLE_2)
	s_sub_f32 s44, s35, s44
	s_add_f32 s47, s35, 0x3f2aaaaa
	s_sub_f32 s44, s45, s44
	s_delay_alu instid0(SALU_CYCLE_2) | instskip(NEXT) | instid1(SALU_CYCLE_2)
	s_add_f32 s45, s47, 0xbf2aaaaa
	s_add_f32 s33, s44, 0x31739010
	s_delay_alu instid0(SALU_CYCLE_2) | instskip(SKIP_1) | instid1(SALU_CYCLE_2)
	s_sub_f32 s35, s35, s45
	s_wait_alu 0xfffe
	s_add_f32 s29, s33, s35
	s_add_f32 s33, s30, s46
	s_wait_alu 0xfffe
	s_delay_alu instid0(SALU_CYCLE_1) | instskip(NEXT) | instid1(SALU_CYCLE_1)
	s_add_f32 s35, s47, s29
	s_sub_f32 s30, s33, s30
	s_wait_alu 0xfffe
	s_delay_alu instid0(SALU_CYCLE_1) | instskip(SKIP_2) | instid1(SALU_CYCLE_1)
	s_mul_f32 s44, s33, s35
	s_sub_f32 s45, s47, s35
	s_sub_f32 s30, s46, s30
	s_xor_b32 s47, s44, 0x80000000
	s_delay_alu instid0(SALU_CYCLE_1)
	s_add_f32 s29, s29, s45
	s_fmac_f32 s47, s33, s35
	v_readfirstlane_b32 s45, v1
	v_ldexp_f32 v1, s28, 1
	s_cmp_lg_u32 s27, 0
	s_wait_alu 0xfffe
	s_fmac_f32 s47, s33, s29
	s_sub_co_ci_u32 s27, s45, 0
	v_readfirstlane_b32 s28, v1
	s_delay_alu instid0(SALU_CYCLE_1) | instskip(SKIP_2) | instid1(SALU_CYCLE_1)
	s_fmac_f32 s47, s30, s35
	s_cvt_f32_i32 s27, s27
	v_ldexp_f32 v1, s26, 1
	s_add_f32 s29, s44, s47
	s_delay_alu instid0(SALU_CYCLE_1) | instskip(NEXT) | instid1(VALU_DEP_1)
	s_mul_f32 s26, s27, 0x3f317218
	v_readfirstlane_b32 s35, v1
	s_wait_alu 0xfffe
	s_add_f32 s30, s28, s29
	s_sub_f32 s33, s29, s44
	s_xor_b32 s44, s26, 0x80000000
	s_delay_alu instid0(SALU_CYCLE_1) | instskip(NEXT) | instid1(SALU_CYCLE_1)
	s_sub_f32 s28, s30, s28
	s_sub_f32 s33, s47, s33
	s_fmamk_f32 s44, s27, 0x3f317218, s44
	s_wait_alu 0xfffe
	s_sub_f32 s28, s29, s28
	s_add_f32 s29, s35, s33
	s_fmamk_f32 s27, s27, 0xb102e308, s44
	s_wait_alu 0xfffe
	s_delay_alu instid0(SALU_CYCLE_1) | instskip(NEXT) | instid1(SALU_CYCLE_1)
	s_add_f32 s28, s29, s28
	s_add_f32 s29, s26, s27
	s_wait_alu 0xfffe
	s_delay_alu instid0(SALU_CYCLE_1) | instskip(NEXT) | instid1(SALU_CYCLE_1)
	s_add_f32 s33, s30, s28
	s_sub_f32 s26, s29, s26
	s_delay_alu instid0(SALU_CYCLE_2)
	s_add_f32 s35, s29, s33
	s_sub_f32 s30, s33, s30
	s_wait_alu 0xfffe
	s_sub_f32 s26, s27, s26
	s_sub_f32 s44, s35, s29
	;; [unrolled: 1-line block ×3, first 2 shown]
	s_delay_alu instid0(SALU_CYCLE_2)
	s_sub_f32 s45, s35, s44
	s_sub_f32 s28, s33, s44
	s_wait_alu 0xfffe
	s_add_f32 s30, s26, s27
	s_sub_f32 s29, s29, s45
	s_wait_alu 0xfffe
	s_delay_alu instid0(SALU_CYCLE_2) | instskip(SKIP_2) | instid1(SALU_CYCLE_1)
	s_add_f32 s28, s28, s29
	s_sub_f32 s29, s30, s26
	s_wait_alu 0xfffe
	s_add_f32 s28, s30, s28
	s_delay_alu instid0(SALU_CYCLE_1) | instskip(SKIP_4) | instid1(SALU_CYCLE_2)
	s_sub_f32 s30, s30, s29
	s_sub_f32 s27, s27, s29
	s_wait_alu 0xfffe
	s_add_f32 s33, s35, s28
	s_sub_f32 s26, s26, s30
	s_sub_f32 s29, s33, s35
	s_wait_alu 0xfffe
	s_delay_alu instid0(SALU_CYCLE_1) | instskip(NEXT) | instid1(SALU_CYCLE_1)
	s_add_f32 s26, s27, s26
	s_sub_f32 s27, s28, s29
	s_wait_alu 0xfffe
	s_delay_alu instid0(SALU_CYCLE_2) | instskip(SKIP_1) | instid1(SALU_CYCLE_2)
	s_add_f32 s26, s26, s27
	s_wait_alu 0xfffe
	s_add_f32 s27, s33, s26
	s_wait_alu 0xfffe
	s_delay_alu instid0(SALU_CYCLE_2) | instskip(SKIP_2) | instid1(SALU_CYCLE_1)
	s_mul_f32 s28, s25, s27
	s_sub_f32 s29, s27, s33
	s_wait_alu 0xfffe
	s_xor_b32 s30, s28, 0x80000000
	s_delay_alu instid0(SALU_CYCLE_1) | instskip(SKIP_2) | instid1(SALU_CYCLE_2)
	s_sub_f32 s26, s26, s29
	s_fmac_f32 s30, s25, s27
	s_wait_alu 0xfffe
	s_fmac_f32 s30, s25, s26
	v_cmp_class_f32_e64 s26, s28, 0x204
	s_delay_alu instid0(SALU_CYCLE_2) | instskip(SKIP_2) | instid1(SALU_CYCLE_1)
	s_add_f32 s27, s28, s30
	s_and_b32 s26, s26, exec_lo
	s_wait_alu 0xfffe
	s_sub_f32 s26, s27, s28
	s_cselect_b32 s27, s28, s27
	s_wait_alu 0xfffe
	s_and_b32 s28, s27, 0x7fffffff
	s_sub_f32 s26, s30, s26
	s_wait_alu 0xfffe
	s_cmp_neq_f32 s28, 0x7f800000
	s_delay_alu instid0(SALU_CYCLE_1)
	s_cselect_b32 s26, s26, 0
	s_cmp_eq_f32 s27, 0x42b17218
	s_cselect_b32 s28, 0x37000000, 0
	s_wait_alu 0xfffe
	s_sub_f32 s27, s27, s28
	s_add_f32 s26, s28, s26
	s_wait_alu 0xfffe
	s_delay_alu instid0(SALU_CYCLE_1) | instskip(SKIP_1) | instid1(SALU_CYCLE_2)
	s_mul_f32 s29, s27, 0x3fb8aa3b
	s_wait_alu 0xfffe
	s_xor_b32 s30, s29, 0x80000000
	s_rndne_f32 s33, s29
	s_fmamk_f32 s30, s27, 0x3fb8aa3b, s30
	s_cmp_nlt_f32 s27, 0xc2ce8ed0
	s_delay_alu instid0(SALU_CYCLE_1) | instskip(NEXT) | instid1(SALU_CYCLE_1)
	s_sub_f32 s29, s29, s33
	s_fmamk_f32 s30, s27, 0x32a5705f, s30
	s_cselect_b32 vcc_lo, -1, 0
	s_cmp_ngt_f32 s27, 0x42b17218
	s_trunc_f32 s27, s25
	s_wait_alu 0xfffe
	s_add_f32 s29, s29, s30
	s_cvt_i32_f32 s30, s33
	s_wait_alu 0xfffe
	s_delay_alu instid0(SALU_CYCLE_1) | instskip(SKIP_1) | instid1(TRANS32_DEP_1)
	v_s_exp_f32 s29, s29
	s_wait_alu 0xf1ff
	v_ldexp_f32 v1, s29, s30
	s_mul_f32 s29, s25, 0.5
	s_delay_alu instid0(VALU_DEP_1)
	v_cndmask_b32_e32 v1, 0, v1, vcc_lo
	s_cselect_b32 vcc_lo, -1, 0
	s_cmp_eq_f32 s27, s25
	s_wait_alu 0xfffe
	s_trunc_f32 s30, s29
	v_cndmask_b32_e32 v1, 0x7f800000, v1, vcc_lo
	s_cselect_b32 s33, -1, 0
	s_wait_alu 0xfffe
	s_cmp_neq_f32 s30, s29
	s_delay_alu instid0(VALU_DEP_1)
	v_fma_f32 v2, s26, v1, v1
	v_cmp_class_f32_e64 vcc_lo, v1, 0x204
	s_cselect_b32 s28, -1, 0
	s_wait_alu 0xfffe
	s_and_b32 s26, s33, s28
	s_wait_alu 0xfffd
	v_cndmask_b32_e32 v1, v2, v1, vcc_lo
	s_wait_alu 0xfffe
	s_and_b32 s28, s26, exec_lo
	s_cselect_b32 s28, s10, 1.0
	s_cmp_eq_f32 s27, s25
	v_cmp_class_f32_e64 s27, s10, 0x204
	s_wait_alu 0xfffe
	v_bfi_b32 v1, 0x7fffffff, v1, s28
	s_cselect_b32 vcc_lo, -1, 0
	s_cmp_lt_f32 s10, 0
	s_wait_alu 0xfffe
	s_delay_alu instid0(VALU_DEP_1) | instskip(SKIP_3) | instid1(VALU_DEP_1)
	v_cndmask_b32_e32 v2, 0x7fc00000, v1, vcc_lo
	s_cselect_b32 vcc_lo, -1, 0
	s_cmp_eq_f32 s10, 0
	s_wait_alu 0xfffe
	v_cndmask_b32_e32 v1, v1, v2, vcc_lo
	s_cselect_b32 s28, -1, 0
	s_wait_alu 0xfffe
	s_or_b32 vcc_lo, s28, s27
	s_cmp_lt_f32 s25, 0
	s_cselect_b32 s25, -1, 0
	s_wait_alu 0xfffe
	s_xor_b32 s25, s25, s28
	s_wait_alu 0xfffe
	s_and_b32 s25, s25, exec_lo
	s_cselect_b32 s25, 0, 0x7f800000
	s_and_b32 s26, s26, exec_lo
	s_cselect_b32 s26, s10, 0
	s_cmp_o_f32 s10, s10
	s_wait_alu 0xfffe
	v_mov_b32_e32 v2, s26
	s_delay_alu instid0(VALU_DEP_1) | instskip(NEXT) | instid1(VALU_DEP_1)
	v_bfi_b32 v2, 0x7fffffff, s25, v2
	v_cndmask_b32_e32 v1, v1, v2, vcc_lo
	s_cselect_b32 vcc_lo, -1, 0
	s_wait_alu 0xfffe
	s_delay_alu instid0(VALU_DEP_1)
	v_cndmask_b32_e32 v40, 0x7fc00000, v1, vcc_lo
.LBB70_4:
	v_bfe_u32 v39, v0, 10, 10
	s_lshl_b32 s33, ttmp9, 5
	s_load_b96 s[28:30], s[0:1], 0x70
	v_and_b32_e32 v35, 0x3ff, v0
	s_ashr_i32 s35, s34, 31
	v_lshlrev_b32_e32 v33, 2, v39
	v_mov_b32_e32 v41, 0
	v_lshlrev_b32_e32 v65, 11, v39
	v_lshlrev_b32_e32 v6, 4, v35
	;; [unrolled: 1-line block ×3, first 2 shown]
	v_or_b32_e32 v30, 1, v33
	v_add_nc_u32_e32 v34, s33, v33
	v_or_b32_e32 v29, 2, v33
	v_lshlrev_b32_e32 v28, 2, v35
	s_delay_alu instid0(VALU_DEP_4) | instskip(NEXT) | instid1(VALU_DEP_4)
	v_add_nc_u32_e32 v32, s33, v30
	v_mul_hi_u32 v1, v34, s20
	s_delay_alu instid0(VALU_DEP_4) | instskip(NEXT) | instid1(VALU_DEP_3)
	v_add_nc_u32_e32 v31, s33, v29
	v_mul_hi_u32 v2, v32, s20
	s_wait_kmcnt 0x0
	s_mul_i32 s44, s34, s29
	s_ashr_i32 s29, s28, 31
	s_delay_alu instid0(VALU_DEP_3)
	v_add_nc_u32_e32 v1, v34, v1
	s_wait_alu 0xfffe
	s_lshr_b64 s[46:47], s[28:29], 2
	s_lshr_b32 s10, s29, 2
	s_mul_i32 s26, s36, s30
	v_add_nc_u32_e32 v2, v32, v2
	v_lshrrev_b32_e32 v0, s21, v1
	v_mul_hi_u32 v1, v31, s20
	s_wait_alu 0xfffe
	s_ashr_i32 s27, s26, 31
	s_ashr_i32 s45, s44, 31
	v_lshrrev_b32_e32 v2, s21, v2
	v_mul_lo_u32 v0, v0, s22
	s_wait_alu 0xfffe
	s_add_nc_u64 s[4:5], s[4:5], s[26:27]
	s_wait_alu 0xfffe
	s_add_nc_u64 s[4:5], s[4:5], s[44:45]
	v_mul_lo_u32 v2, v2, s22
	v_add_nc_u32_e32 v1, v31, v1
	s_wait_alu 0xfffe
	v_add_co_u32 v24, s4, s4, v6
	v_sub_nc_u32_e32 v58, v34, v0
	s_wait_alu 0xf1ff
	v_add_co_ci_u32_e64 v25, null, s5, 0, s4
	v_lshrrev_b32_e32 v4, s21, v1
	v_sub_nc_u32_e32 v7, v32, v2
	v_mad_co_u64_u32 v[0:1], null, s46, v58, 0
	s_mul_u64 s[4:5], s[40:41], s[42:43]
	v_mul_lo_u32 v2, v4, s22
	v_mad_co_u64_u32 v[4:5], null, s46, v7, 0
	s_delay_alu instid0(VALU_DEP_2) | instskip(SKIP_1) | instid1(VALU_DEP_3)
	v_sub_nc_u32_e32 v10, v31, v2
	v_mad_co_u64_u32 v[1:2], null, s10, v58, v[1:2]
	v_mov_b32_e32 v2, v5
	v_or_b32_e32 v26, 3, v33
	s_delay_alu instid0(VALU_DEP_4) | instskip(NEXT) | instid1(VALU_DEP_2)
	v_mad_co_u64_u32 v[8:9], null, s46, v10, 0
	v_add_nc_u32_e32 v27, s33, v26
	v_lshlrev_b64_e32 v[0:1], 2, v[0:1]
	s_delay_alu instid0(VALU_DEP_2) | instskip(NEXT) | instid1(VALU_DEP_2)
	v_mul_hi_u32 v3, v27, s20
	v_add_co_u32 v6, vcc_lo, v24, v0
	s_delay_alu instid0(VALU_DEP_2) | instskip(NEXT) | instid1(VALU_DEP_1)
	v_add_nc_u32_e32 v3, v27, v3
	v_lshrrev_b32_e32 v3, s21, v3
	s_delay_alu instid0(VALU_DEP_1) | instskip(NEXT) | instid1(VALU_DEP_1)
	v_mul_lo_u32 v3, v3, s22
	v_sub_nc_u32_e32 v11, v27, v3
	v_mad_co_u64_u32 v[2:3], null, s10, v7, v[2:3]
	v_mov_b32_e32 v3, v9
	s_wait_alu 0xfffd
	v_add_co_ci_u32_e64 v7, null, v25, v1, vcc_lo
	v_mad_co_u64_u32 v[12:13], null, s46, v11, 0
	s_delay_alu instid0(VALU_DEP_3)
	v_mad_co_u64_u32 v[9:10], null, s10, v10, v[3:4]
	v_mov_b32_e32 v5, v2
	global_load_b128 v[0:3], v[6:7], off
	v_mov_b32_e32 v10, v13
	v_lshlrev_b64_e32 v[13:14], 2, v[4:5]
	v_lshlrev_b64_e32 v[17:18], 2, v[8:9]
	s_delay_alu instid0(VALU_DEP_3) | instskip(NEXT) | instid1(VALU_DEP_3)
	v_mad_co_u64_u32 v[10:11], null, s10, v11, v[10:11]
	v_add_co_u32 v15, vcc_lo, v24, v13
	s_wait_alu 0xfffd
	s_delay_alu instid0(VALU_DEP_4) | instskip(NEXT) | instid1(VALU_DEP_4)
	v_add_co_ci_u32_e64 v16, null, v25, v14, vcc_lo
	v_add_co_u32 v20, vcc_lo, v24, v17
	s_delay_alu instid0(VALU_DEP_4)
	v_mov_b32_e32 v13, v10
	s_clause 0x1
	global_load_b128 v[8:11], v[15:16], off
	global_load_b128 v[4:7], v[6:7], off offset:512
	s_wait_alu 0xfffd
	v_add_co_ci_u32_e64 v21, null, v25, v18, vcc_lo
	v_lshlrev_b64_e32 v[22:23], 2, v[12:13]
	s_clause 0x1
	global_load_b128 v[12:15], v[15:16], off offset:512
	global_load_b128 v[16:19], v[20:21], off
	s_ashr_i32 s10, s37, 31
	s_mov_b32 s37, 0
	s_cmp_eq_u64 s[14:15], 0
	v_add_co_u32 v24, vcc_lo, v24, v22
	s_wait_alu 0xfffd
	v_add_co_ci_u32_e64 v25, null, v25, v23, vcc_lo
	s_clause 0x2
	global_load_b128 v[20:23], v[20:21], off offset:512
	global_load_b128 v[42:45], v[24:25], off
	global_load_b128 v[46:49], v[24:25], off offset:512
	v_add_nc_u32_e32 v24, 0x4400, v38
	s_delay_alu instid0(VALU_DEP_1)
	v_add_nc_u32_e32 v25, v24, v65
	v_lshl_add_u32 v36, v30, 9, v24
	v_lshl_add_u32 v37, v29, 9, v24
	;; [unrolled: 1-line block ×3, first 2 shown]
	s_wait_loadcnt 0x7
	v_fma_mixlo_f16 v0, s24, v0, 0
	v_fma_mixlo_f16 v1, s24, v1, 0
	;; [unrolled: 1-line block ×4, first 2 shown]
	s_delay_alu instid0(VALU_DEP_4) | instskip(NEXT) | instid1(VALU_DEP_4)
	v_and_b32_e32 v0, 0xffff, v0
	v_lshlrev_b32_e32 v1, 16, v1
	s_delay_alu instid0(VALU_DEP_4) | instskip(NEXT) | instid1(VALU_DEP_4)
	v_and_b32_e32 v2, 0xffff, v2
	v_lshlrev_b32_e32 v3, 16, v3
	s_delay_alu instid0(VALU_DEP_3) | instskip(NEXT) | instid1(VALU_DEP_2)
	v_or_b32_e32 v0, v1, v0
	v_or3_b32 v1, v3, v2, 0
	s_delay_alu instid0(VALU_DEP_2)
	v_or3_b32 v0, 0, 0, v0
	s_wait_loadcnt 0x6
	v_fma_mixlo_f16 v8, s24, v8, 0
	s_wait_loadcnt 0x5
	v_fma_mixlo_f16 v4, s24, v4, 0
	v_fma_mixlo_f16 v5, s24, v5, 0
	;; [unrolled: 1-line block ×5, first 2 shown]
	v_and_b32_e32 v4, 0xffff, v4
	v_lshlrev_b32_e32 v5, 16, v5
	v_and_b32_e32 v6, 0xffff, v6
	v_lshlrev_b32_e32 v7, 16, v7
	v_fma_mixlo_f16 v10, s24, v10, 0
	v_fma_mixlo_f16 v11, s24, v11, 0
	s_wait_loadcnt 0x4
	v_fma_mixlo_f16 v12, s24, v12, 0
	v_fma_mixlo_f16 v13, s24, v13, 0
	;; [unrolled: 1-line block ×4, first 2 shown]
	s_wait_loadcnt 0x3
	v_fma_mixlo_f16 v16, s24, v16, 0
	v_fma_mixlo_f16 v17, s24, v17, 0
	s_wait_loadcnt 0x2
	v_fma_mixlo_f16 v20, s24, v20, 0
	v_fma_mixlo_f16 v21, s24, v21, 0
	;; [unrolled: 1-line block ×4, first 2 shown]
	s_wait_loadcnt 0x1
	v_fma_mixlo_f16 v42, s24, v42, 0
	v_fma_mixlo_f16 v43, s24, v43, 0
	s_wait_loadcnt 0x0
	v_fma_mixlo_f16 v46, s24, v46, 0
	v_fma_mixlo_f16 v47, s24, v47, 0
	v_or_b32_e32 v2, v5, v4
	v_or3_b32 v3, v7, v6, 0
	v_lshlrev_b32_e32 v4, 16, v9
	v_and_b32_e32 v5, 0xffff, v8
	v_lshlrev_b32_e32 v6, 16, v11
	v_and_b32_e32 v7, 0xffff, v10
	;; [unrolled: 2-line block ×3, first 2 shown]
	v_fma_mixlo_f16 v22, s24, v22, 0
	v_fma_mixlo_f16 v23, s24, v23, 0
	v_lshlrev_b32_e32 v10, 16, v15
	v_and_b32_e32 v11, 0xffff, v14
	v_lshlrev_b32_e32 v12, 16, v17
	v_and_b32_e32 v13, 0xffff, v16
	;; [unrolled: 2-line block ×3, first 2 shown]
	v_fma_mixlo_f16 v44, s24, v44, 0
	v_fma_mixlo_f16 v45, s24, v45, 0
	v_fma_mixlo_f16 v48, s24, v48, 0
	v_fma_mixlo_f16 v49, s24, v49, 0
	v_lshlrev_b32_e32 v14, 16, v19
	v_and_b32_e32 v15, 0xffff, v18
	v_lshlrev_b32_e32 v20, 16, v43
	v_and_b32_e32 v21, 0xffff, v42
	;; [unrolled: 2-line block ×3, first 2 shown]
	v_or_b32_e32 v4, v4, v5
	v_or3_b32 v5, v6, v7, 0
	v_or_b32_e32 v6, v8, v9
	v_lshlrev_b32_e32 v18, 16, v23
	v_and_b32_e32 v19, 0xffff, v22
	v_or3_b32 v7, v10, v11, 0
	v_or_b32_e32 v8, v12, v13
	v_or_b32_e32 v10, v16, v17
	v_lshlrev_b32_e32 v22, 16, v45
	v_and_b32_e32 v23, 0xffff, v44
	v_lshlrev_b32_e32 v44, 16, v49
	v_and_b32_e32 v45, 0xffff, v48
	v_or3_b32 v9, v14, v15, 0
	v_or_b32_e32 v12, v20, v21
	v_or_b32_e32 v14, v42, v43
	v_or3_b32 v2, 0, 0, v2
	v_or3_b32 v4, 0, 0, v4
	;; [unrolled: 1-line block ×10, first 2 shown]
	ds_store_2addr_b64 v25, v[0:1], v[2:3] offset1:32
	ds_store_2addr_b64 v36, v[4:5], v[6:7] offset1:32
	;; [unrolled: 1-line block ×4, first 2 shown]
	s_wait_dscnt 0x0
	s_barrier_signal -1
	s_barrier_wait -1
	global_inv scope:SCOPE_SE
	s_cbranch_scc1 .LBB70_6
; %bb.5:
	s_load_b32 s2, s[0:1], 0xd0
	s_mov_b32 s25, s37
	s_wait_kmcnt 0x0
	s_mul_i32 s2, s2, s36
	s_delay_alu instid0(SALU_CYCLE_1)
	s_add_co_i32 s24, s2, ttmp9
	s_wait_alu 0xfffe
	s_lshl_b64 s[24:25], s[24:25], 2
	s_wait_alu 0xfffe
	s_add_nc_u64 s[14:15], s[14:15], s[24:25]
	s_load_b32 s2, s[14:15], 0x0
.LBB70_6:
	s_clause 0x2
	s_load_b64 s[14:15], s[0:1], 0x8c
	s_load_b128 s[24:27], s[0:1], 0x98
	s_load_b64 s[42:43], s[0:1], 0xa8
	s_xor_b32 s4, s35, s10
	s_mul_i32 s10, s5, s3
	s_ashr_i32 s30, s31, 1
	s_wait_alu 0xfffe
	s_sub_co_i32 s10, s40, s10
	s_add_co_i32 s29, s5, 1
	s_wait_alu 0xfffe
	s_sub_co_i32 s31, s10, s3
	v_lshrrev_b32_e32 v68, 4, v35
	v_and_b32_e32 v67, 60, v28
	v_mul_u32_u24_e32 v66, 0x110, v35
	v_or_b32_e32 v57, 1, v34
	v_or_b32_e32 v46, 2, v34
	;; [unrolled: 1-line block ×3, first 2 shown]
	v_lshlrev_b32_e32 v37, 9, v39
	v_mbcnt_lo_u32_b32 v36, -1, 0
	s_wait_kmcnt 0x0
	s_ashr_i32 s28, s14, 2
	s_ashr_i32 s14, s26, 2
	s_cmp_ge_u32 s10, s3
	s_mul_u64 s[24:25], s[24:25], s[36:37]
	s_cselect_b32 s5, s29, s5
	s_wait_alu 0xfffe
	s_cselect_b32 s10, s31, s10
	s_add_nc_u64 s[6:7], s[6:7], s[24:25]
	s_add_co_i32 s24, s5, 1
	s_wait_alu 0xfffe
	s_cmp_ge_u32 s10, s3
	v_mul_lo_u32 v8, s14, v39
	s_cselect_b32 s3, s24, s5
	s_mul_u64 s[40:41], s[42:43], s[36:37]
	s_xor_b32 s3, s3, s4
	s_and_b32 s10, ttmp7, 0xffff
	s_sub_co_i32 s25, s3, s4
	s_add_nc_u64 s[8:9], s[8:9], s[40:41]
	s_wait_alu 0xfffe
	s_mul_i32 s4, s25, s15
	s_mul_i32 s26, s25, s27
	s_sub_co_i32 s3, s2, 64
	s_lshl_b32 s24, s10, 6
	s_wait_alu 0xfffe
	s_ashr_i32 s5, s4, 31
	s_ashr_i32 s27, s26, 31
	s_wait_alu 0xfffe
	s_add_nc_u64 s[4:5], s[6:7], s[4:5]
	s_cmp_ge_i32 s24, s3
	s_add_nc_u64 s[26:27], s[8:9], s[26:27]
	s_cbranch_scc1 .LBB70_62
; %bb.7:
	v_lshl_add_u32 v1, v39, 1, v68
	v_dual_mov_b32 v89, 0xfeffffff :: v_dual_lshlrev_b32 v2, 2, v67
	v_mul_hi_u32 v5, s20, v45
	v_mul_hi_u32 v3, s20, v57
	s_delay_alu instid0(VALU_DEP_4)
	v_mul_lo_u32 v0, s28, v1
	v_mul_hi_u32 v4, s20, v46
	s_lshl_b32 s6, s28, 4
	v_mad_u32_u24 v69, 0x110, v1, v2
	v_mov_b32_e32 v48, 0
	s_ashr_i32 s29, s28, 31
	v_dual_mov_b32 v54, 0 :: v_dual_add_nc_u32 v5, v45, v5
	v_dual_mov_b32 v53, 0 :: v_dual_add_nc_u32 v2, s6, v0
	v_add_nc_u32_e32 v1, v57, v3
	v_dual_mov_b32 v50, 0 :: v_dual_add_nc_u32 v3, v46, v4
	s_delay_alu instid0(VALU_DEP_3) | instskip(SKIP_3) | instid1(VALU_DEP_2)
	v_dual_mov_b32 v47, 0 :: v_dual_add_nc_u32 v4, s6, v2
	s_cmp_lg_u64 s[38:39], 0
	v_lshrrev_b32_e32 v9, s21, v5
	s_cselect_b32 s8, -1, 0
	v_dual_mov_b32 v59, 0 :: v_dual_add_nc_u32 v6, s6, v4
	s_lshl_b32 s6, s14, 3
	v_lshrrev_b32_e32 v7, s21, v1
	v_lshrrev_b32_e32 v3, s21, v3
	s_wait_alu 0xfffe
	v_dual_mov_b32 v61, 0 :: v_dual_add_nc_u32 v20, s6, v8
	v_mul_lo_u32 v9, v9, s22
	v_mul_lo_u32 v10, v7, s22
	;; [unrolled: 1-line block ×3, first 2 shown]
	s_delay_alu instid0(VALU_DEP_4)
	v_dual_mov_b32 v49, 0 :: v_dual_add_nc_u32 v22, s6, v20
	v_ashrrev_i32_e32 v1, 31, v0
	v_ashrrev_i32_e32 v3, 31, v2
	;; [unrolled: 1-line block ×3, first 2 shown]
	v_sub_nc_u32_e32 v9, v45, v9
	v_dual_mov_b32 v91, 0xfeffffff :: v_dual_add_nc_u32 v24, s6, v22
	v_sub_nc_u32_e32 v10, v57, v10
	v_sub_nc_u32_e32 v11, v46, v11
	v_ashrrev_i32_e32 v7, 31, v6
	v_mul_lo_u32 v78, v9, s30
	v_ashrrev_i32_e32 v9, 31, v8
	v_ashrrev_i32_e32 v21, 31, v20
	;; [unrolled: 1-line block ×4, first 2 shown]
	v_lshl_add_u32 v77, v28, 2, v37
	v_mul_lo_u32 v74, v58, s30
	v_mul_lo_u32 v75, v10, s30
	;; [unrolled: 1-line block ×3, first 2 shown]
	v_lshlrev_b64_e32 v[10:11], 2, v[0:1]
	v_lshlrev_b64_e32 v[12:13], 2, v[2:3]
	;; [unrolled: 1-line block ×8, first 2 shown]
	v_dual_mov_b32 v51, 0 :: v_dual_add_nc_u32 v70, 0x1100, v69
	v_dual_mov_b32 v52, 0 :: v_dual_add_nc_u32 v71, 0x2200, v69
	;; [unrolled: 1-line block ×8, first 2 shown]
	v_dual_mov_b32 v56, 0 :: v_dual_lshlrev_b32 v83, 2, v67
	v_mbcnt_lo_u32_b32 v9, -1, 0
	v_dual_mov_b32 v90, 0xfeffffff :: v_dual_mov_b32 v85, 0
	v_mov_b32_e32 v88, 0xfeffffff
	v_mov_b32_e32 v86, 0
	;; [unrolled: 1-line block ×3, first 2 shown]
	s_ashr_i32 s15, s14, 31
	s_add_nc_u64 s[6:7], s[0:1], 0xd0
	s_mov_b32 s9, 0xbbbac73d
.LBB70_8:                               ; =>This Inner Loop Header: Depth=1
	s_ashr_i32 s25, s24, 31
	s_wait_alu 0xfffe
	s_mul_u64 s[40:41], s[24:25], s[28:29]
	s_wait_alu 0xfffe
	s_lshl_b64 s[40:41], s[40:41], 2
	s_wait_alu 0xfffe
	s_add_nc_u64 s[40:41], s[4:5], s[40:41]
	s_wait_alu 0xfffe
	v_add_co_u32 v0, vcc_lo, s40, v10
	s_wait_alu 0xfffd
	v_add_co_ci_u32_e64 v1, null, s41, v11, vcc_lo
	v_add_co_u32 v2, vcc_lo, s40, v12
	s_wait_alu 0xfffd
	v_add_co_ci_u32_e64 v3, null, s41, v13, vcc_lo
	;; [unrolled: 3-line block ×8, first 2 shown]
	s_clause 0x3
	global_load_b128 v[41:44], v[0:1], off
	global_load_b128 v[92:95], v[2:3], off
	;; [unrolled: 1-line block ×4, first 2 shown]
	s_wait_loadcnt 0x3
	ds_store_b128 v69, v[41:44]
	s_wait_loadcnt 0x2
	ds_store_b128 v70, v[92:95]
	;; [unrolled: 2-line block ×4, first 2 shown]
	s_wait_dscnt 0x0
	s_barrier_signal -1
	s_barrier_wait -1
	global_inv scope:SCOPE_SE
	ds_load_b128 v[96:99], v66
	ds_load_b128 v[100:103], v73
	ds_load_b128 v[104:107], v73 offset:512
	ds_load_b128 v[108:111], v73 offset:1024
	v_dual_mov_b32 v94, 0 :: v_dual_mov_b32 v43, 0
	ds_load_b128 v[112:115], v73 offset:1536
	ds_load_b128 v[116:119], v66 offset:8704
	s_wait_dscnt 0x4
	;;#ASMSTART
	v_dot2_f32_f16 v94, v96, v100, v94
	;;#ASMEND
	;;#ASMSTART
	v_dot2_f32_f16 v94, v97, v101, v94
	;;#ASMEND
	v_dual_mov_b32 v92, 0 :: v_dual_mov_b32 v41, 0
	;;#ASMSTART
	v_dot2_f32_f16 v94, v98, v102, v94
	;;#ASMEND
	;;#ASMSTART
	v_dot2_f32_f16 v94, v99, v103, v94
	;;#ASMEND
	s_wait_dscnt 0x3
	;;#ASMSTART
	v_dot2_f32_f16 v92, v96, v104, v92
	;;#ASMEND
	;;#ASMSTART
	v_dot2_f32_f16 v92, v97, v105, v92
	;;#ASMEND
	;;#ASMSTART
	v_dot2_f32_f16 v92, v98, v106, v92
	;;#ASMEND
	;;#ASMSTART
	v_dot2_f32_f16 v92, v99, v107, v92
	;;#ASMEND
	s_wait_dscnt 0x2
	;;#ASMSTART
	v_dot2_f32_f16 v43, v96, v108, v43
	;;#ASMEND
	;;#ASMSTART
	v_dot2_f32_f16 v43, v97, v109, v43
	;;#ASMEND
	;; [unrolled: 13-line block ×3, first 2 shown]
	v_dual_mov_b32 v95, 0 :: v_dual_mov_b32 v44, 0
	;;#ASMSTART
	v_dot2_f32_f16 v41, v98, v114, v41
	;;#ASMEND
	;;#ASMSTART
	v_dot2_f32_f16 v41, v99, v115, v41
	;;#ASMEND
	s_wait_dscnt 0x0
	;;#ASMSTART
	v_dot2_f32_f16 v95, v116, v100, v95
	;;#ASMEND
	;;#ASMSTART
	v_dot2_f32_f16 v95, v117, v101, v95
	;;#ASMEND
	v_dual_mov_b32 v93, 0 :: v_dual_mov_b32 v42, 0
	;;#ASMSTART
	v_dot2_f32_f16 v95, v118, v102, v95
	;;#ASMEND
	;;#ASMSTART
	v_dot2_f32_f16 v95, v119, v103, v95
	;;#ASMEND
	;; [unrolled: 3-line block ×14, first 2 shown]
	ds_load_b128 v[96:99], v66 offset:16
	ds_load_b128 v[100:103], v73 offset:16
	;; [unrolled: 1-line block ×6, first 2 shown]
	s_wait_dscnt 0x4
	;;#ASMSTART
	v_dot2_f32_f16 v94, v96, v100, v94
	;;#ASMEND
	;;#ASMSTART
	v_dot2_f32_f16 v94, v97, v101, v94
	;;#ASMEND
	;;#ASMSTART
	v_dot2_f32_f16 v94, v98, v102, v94
	;;#ASMEND
	;;#ASMSTART
	v_dot2_f32_f16 v94, v99, v103, v94
	;;#ASMEND
	s_wait_dscnt 0x3
	;;#ASMSTART
	v_dot2_f32_f16 v92, v96, v104, v92
	;;#ASMEND
	;;#ASMSTART
	v_dot2_f32_f16 v92, v97, v105, v92
	;;#ASMEND
	;;#ASMSTART
	v_dot2_f32_f16 v92, v98, v106, v92
	;;#ASMEND
	;;#ASMSTART
	v_dot2_f32_f16 v92, v99, v107, v92
	;;#ASMEND
	;; [unrolled: 13-line block ×5, first 2 shown]
	;;#ASMSTART
	v_dot2_f32_f16 v93, v116, v104, v93
	;;#ASMEND
	;;#ASMSTART
	v_dot2_f32_f16 v93, v117, v105, v93
	;;#ASMEND
	;; [unrolled: 3-line block ×12, first 2 shown]
	ds_load_b128 v[96:99], v66 offset:32
	ds_load_b128 v[100:103], v73 offset:32
	;; [unrolled: 1-line block ×6, first 2 shown]
	s_wait_dscnt 0x4
	;;#ASMSTART
	v_dot2_f32_f16 v94, v96, v100, v94
	;;#ASMEND
	;;#ASMSTART
	v_dot2_f32_f16 v94, v97, v101, v94
	;;#ASMEND
	;;#ASMSTART
	v_dot2_f32_f16 v94, v98, v102, v94
	;;#ASMEND
	;;#ASMSTART
	v_dot2_f32_f16 v94, v99, v103, v94
	;;#ASMEND
	s_wait_dscnt 0x3
	;;#ASMSTART
	v_dot2_f32_f16 v92, v96, v104, v92
	;;#ASMEND
	;;#ASMSTART
	v_dot2_f32_f16 v92, v97, v105, v92
	;;#ASMEND
	;;#ASMSTART
	v_dot2_f32_f16 v92, v98, v106, v92
	;;#ASMEND
	;;#ASMSTART
	v_dot2_f32_f16 v92, v99, v107, v92
	;;#ASMEND
	;; [unrolled: 13-line block ×5, first 2 shown]
	;;#ASMSTART
	v_dot2_f32_f16 v93, v116, v104, v93
	;;#ASMEND
	;;#ASMSTART
	v_dot2_f32_f16 v93, v117, v105, v93
	;;#ASMEND
	;; [unrolled: 3-line block ×12, first 2 shown]
	ds_load_b128 v[96:99], v66 offset:48
	ds_load_b128 v[100:103], v73 offset:48
	ds_load_b128 v[104:107], v73 offset:560
	ds_load_b128 v[108:111], v73 offset:1072
	ds_load_b128 v[112:115], v73 offset:1584
	ds_load_b128 v[116:119], v66 offset:8752
	s_wait_dscnt 0x4
	;;#ASMSTART
	v_dot2_f32_f16 v94, v96, v100, v94
	;;#ASMEND
	;;#ASMSTART
	v_dot2_f32_f16 v94, v97, v101, v94
	;;#ASMEND
	;;#ASMSTART
	v_dot2_f32_f16 v94, v98, v102, v94
	;;#ASMEND
	;;#ASMSTART
	v_dot2_f32_f16 v94, v99, v103, v94
	;;#ASMEND
	s_wait_dscnt 0x3
	;;#ASMSTART
	v_dot2_f32_f16 v92, v96, v104, v92
	;;#ASMEND
	;;#ASMSTART
	v_dot2_f32_f16 v92, v97, v105, v92
	;;#ASMEND
	;;#ASMSTART
	v_dot2_f32_f16 v92, v98, v106, v92
	;;#ASMEND
	;;#ASMSTART
	v_dot2_f32_f16 v92, v99, v107, v92
	;;#ASMEND
	;; [unrolled: 13-line block ×5, first 2 shown]
	;;#ASMSTART
	v_dot2_f32_f16 v93, v116, v104, v93
	;;#ASMEND
	;;#ASMSTART
	v_dot2_f32_f16 v93, v117, v105, v93
	;;#ASMEND
	;; [unrolled: 3-line block ×12, first 2 shown]
	ds_load_b128 v[96:99], v66 offset:64
	ds_load_b128 v[100:103], v73 offset:64
	;; [unrolled: 1-line block ×6, first 2 shown]
	s_wait_dscnt 0x4
	;;#ASMSTART
	v_dot2_f32_f16 v94, v96, v100, v94
	;;#ASMEND
	;;#ASMSTART
	v_dot2_f32_f16 v94, v97, v101, v94
	;;#ASMEND
	;;#ASMSTART
	v_dot2_f32_f16 v94, v98, v102, v94
	;;#ASMEND
	;;#ASMSTART
	v_dot2_f32_f16 v94, v99, v103, v94
	;;#ASMEND
	s_wait_dscnt 0x3
	;;#ASMSTART
	v_dot2_f32_f16 v92, v96, v104, v92
	;;#ASMEND
	;;#ASMSTART
	v_dot2_f32_f16 v92, v97, v105, v92
	;;#ASMEND
	;;#ASMSTART
	v_dot2_f32_f16 v92, v98, v106, v92
	;;#ASMEND
	;;#ASMSTART
	v_dot2_f32_f16 v92, v99, v107, v92
	;;#ASMEND
	;; [unrolled: 13-line block ×5, first 2 shown]
	;;#ASMSTART
	v_dot2_f32_f16 v93, v116, v104, v93
	;;#ASMEND
	;;#ASMSTART
	v_dot2_f32_f16 v93, v117, v105, v93
	;;#ASMEND
	;; [unrolled: 3-line block ×12, first 2 shown]
	ds_load_b128 v[96:99], v66 offset:80
	ds_load_b128 v[100:103], v73 offset:80
	;; [unrolled: 1-line block ×6, first 2 shown]
	s_wait_dscnt 0x4
	;;#ASMSTART
	v_dot2_f32_f16 v94, v96, v100, v94
	;;#ASMEND
	;;#ASMSTART
	v_dot2_f32_f16 v94, v97, v101, v94
	;;#ASMEND
	;;#ASMSTART
	v_dot2_f32_f16 v94, v98, v102, v94
	;;#ASMEND
	;;#ASMSTART
	v_dot2_f32_f16 v94, v99, v103, v94
	;;#ASMEND
	s_wait_dscnt 0x3
	;;#ASMSTART
	v_dot2_f32_f16 v92, v96, v104, v92
	;;#ASMEND
	;;#ASMSTART
	v_dot2_f32_f16 v92, v97, v105, v92
	;;#ASMEND
	;;#ASMSTART
	v_dot2_f32_f16 v92, v98, v106, v92
	;;#ASMEND
	;;#ASMSTART
	v_dot2_f32_f16 v92, v99, v107, v92
	;;#ASMEND
	;; [unrolled: 13-line block ×5, first 2 shown]
	;;#ASMSTART
	v_dot2_f32_f16 v93, v116, v104, v93
	;;#ASMEND
	;;#ASMSTART
	v_dot2_f32_f16 v93, v117, v105, v93
	;;#ASMEND
	;; [unrolled: 3-line block ×12, first 2 shown]
	ds_load_b128 v[96:99], v66 offset:96
	ds_load_b128 v[100:103], v73 offset:96
	;; [unrolled: 1-line block ×6, first 2 shown]
	s_wait_dscnt 0x4
	;;#ASMSTART
	v_dot2_f32_f16 v94, v96, v100, v94
	;;#ASMEND
	;;#ASMSTART
	v_dot2_f32_f16 v94, v97, v101, v94
	;;#ASMEND
	;;#ASMSTART
	v_dot2_f32_f16 v94, v98, v102, v94
	;;#ASMEND
	;;#ASMSTART
	v_dot2_f32_f16 v94, v99, v103, v94
	;;#ASMEND
	s_wait_dscnt 0x3
	;;#ASMSTART
	v_dot2_f32_f16 v92, v96, v104, v92
	;;#ASMEND
	;;#ASMSTART
	v_dot2_f32_f16 v92, v97, v105, v92
	;;#ASMEND
	;;#ASMSTART
	v_dot2_f32_f16 v92, v98, v106, v92
	;;#ASMEND
	;;#ASMSTART
	v_dot2_f32_f16 v92, v99, v107, v92
	;;#ASMEND
	;; [unrolled: 13-line block ×5, first 2 shown]
	;;#ASMSTART
	v_dot2_f32_f16 v93, v116, v104, v93
	;;#ASMEND
	;;#ASMSTART
	v_dot2_f32_f16 v93, v117, v105, v93
	;;#ASMEND
	;; [unrolled: 3-line block ×12, first 2 shown]
	ds_load_b128 v[96:99], v66 offset:112
	ds_load_b128 v[100:103], v73 offset:112
	;; [unrolled: 1-line block ×6, first 2 shown]
	s_wait_dscnt 0x4
	;;#ASMSTART
	v_dot2_f32_f16 v94, v96, v100, v94
	;;#ASMEND
	;;#ASMSTART
	v_dot2_f32_f16 v94, v97, v101, v94
	;;#ASMEND
	;;#ASMSTART
	v_dot2_f32_f16 v94, v98, v102, v94
	;;#ASMEND
	;;#ASMSTART
	v_dot2_f32_f16 v94, v99, v103, v94
	;;#ASMEND
	s_wait_dscnt 0x3
	;;#ASMSTART
	v_dot2_f32_f16 v92, v96, v104, v92
	;;#ASMEND
	;;#ASMSTART
	v_dot2_f32_f16 v92, v97, v105, v92
	;;#ASMEND
	;;#ASMSTART
	v_dot2_f32_f16 v92, v98, v106, v92
	;;#ASMEND
	;;#ASMSTART
	v_dot2_f32_f16 v92, v99, v107, v92
	;;#ASMEND
	;; [unrolled: 13-line block ×5, first 2 shown]
	;;#ASMSTART
	v_dot2_f32_f16 v93, v116, v104, v93
	;;#ASMEND
	;;#ASMSTART
	v_dot2_f32_f16 v93, v117, v105, v93
	;;#ASMEND
	;; [unrolled: 3-line block ×12, first 2 shown]
	ds_load_b128 v[96:99], v66 offset:128
	ds_load_b128 v[100:103], v73 offset:128
	;; [unrolled: 1-line block ×6, first 2 shown]
	s_wait_dscnt 0x4
	;;#ASMSTART
	v_dot2_f32_f16 v94, v96, v100, v94
	;;#ASMEND
	;;#ASMSTART
	v_dot2_f32_f16 v94, v97, v101, v94
	;;#ASMEND
	;;#ASMSTART
	v_dot2_f32_f16 v94, v98, v102, v94
	;;#ASMEND
	;;#ASMSTART
	v_dot2_f32_f16 v94, v99, v103, v94
	;;#ASMEND
	s_wait_dscnt 0x3
	;;#ASMSTART
	v_dot2_f32_f16 v92, v96, v104, v92
	;;#ASMEND
	;;#ASMSTART
	v_dot2_f32_f16 v92, v97, v105, v92
	;;#ASMEND
	;;#ASMSTART
	v_dot2_f32_f16 v92, v98, v106, v92
	;;#ASMEND
	;;#ASMSTART
	v_dot2_f32_f16 v92, v99, v107, v92
	;;#ASMEND
	;; [unrolled: 13-line block ×5, first 2 shown]
	;;#ASMSTART
	v_dot2_f32_f16 v93, v116, v104, v93
	;;#ASMEND
	;;#ASMSTART
	v_dot2_f32_f16 v93, v117, v105, v93
	;;#ASMEND
	;;#ASMSTART
	v_dot2_f32_f16 v93, v118, v106, v93
	;;#ASMEND
	;;#ASMSTART
	v_dot2_f32_f16 v93, v119, v107, v93
	;;#ASMEND
	;;#ASMSTART
	v_dot2_f32_f16 v44, v116, v108, v44
	;;#ASMEND
	;;#ASMSTART
	v_dot2_f32_f16 v44, v117, v109, v44
	;;#ASMEND
	;;#ASMSTART
	v_dot2_f32_f16 v44, v118, v110, v44
	;;#ASMEND
	;;#ASMSTART
	v_dot2_f32_f16 v44, v119, v111, v44
	;;#ASMEND
	;;#ASMSTART
	v_dot2_f32_f16 v42, v116, v112, v42
	;;#ASMEND
	;;#ASMSTART
	v_dot2_f32_f16 v42, v117, v113, v42
	;;#ASMEND
	;;#ASMSTART
	v_dot2_f32_f16 v42, v118, v114, v42
	;;#ASMEND
	;;#ASMSTART
	v_dot2_f32_f16 v42, v119, v115, v42
	;;#ASMEND
	ds_load_b128 v[96:99], v66 offset:144
	ds_load_b128 v[100:103], v73 offset:144
	;; [unrolled: 1-line block ×6, first 2 shown]
	s_wait_dscnt 0x4
	;;#ASMSTART
	v_dot2_f32_f16 v94, v96, v100, v94
	;;#ASMEND
	;;#ASMSTART
	v_dot2_f32_f16 v94, v97, v101, v94
	;;#ASMEND
	;;#ASMSTART
	v_dot2_f32_f16 v94, v98, v102, v94
	;;#ASMEND
	;;#ASMSTART
	v_dot2_f32_f16 v94, v99, v103, v94
	;;#ASMEND
	s_wait_dscnt 0x3
	;;#ASMSTART
	v_dot2_f32_f16 v92, v96, v104, v92
	;;#ASMEND
	;;#ASMSTART
	v_dot2_f32_f16 v92, v97, v105, v92
	;;#ASMEND
	;;#ASMSTART
	v_dot2_f32_f16 v92, v98, v106, v92
	;;#ASMEND
	;;#ASMSTART
	v_dot2_f32_f16 v92, v99, v107, v92
	;;#ASMEND
	;; [unrolled: 13-line block ×5, first 2 shown]
	;;#ASMSTART
	v_dot2_f32_f16 v93, v116, v104, v93
	;;#ASMEND
	;;#ASMSTART
	v_dot2_f32_f16 v93, v117, v105, v93
	;;#ASMEND
	;;#ASMSTART
	v_dot2_f32_f16 v93, v118, v106, v93
	;;#ASMEND
	;;#ASMSTART
	v_dot2_f32_f16 v93, v119, v107, v93
	;;#ASMEND
	;;#ASMSTART
	v_dot2_f32_f16 v44, v116, v108, v44
	;;#ASMEND
	;;#ASMSTART
	v_dot2_f32_f16 v44, v117, v109, v44
	;;#ASMEND
	;;#ASMSTART
	v_dot2_f32_f16 v44, v118, v110, v44
	;;#ASMEND
	;;#ASMSTART
	v_dot2_f32_f16 v44, v119, v111, v44
	;;#ASMEND
	;;#ASMSTART
	v_dot2_f32_f16 v42, v116, v112, v42
	;;#ASMEND
	;;#ASMSTART
	v_dot2_f32_f16 v42, v117, v113, v42
	;;#ASMEND
	;;#ASMSTART
	v_dot2_f32_f16 v42, v118, v114, v42
	;;#ASMEND
	;;#ASMSTART
	v_dot2_f32_f16 v42, v119, v115, v42
	;;#ASMEND
	ds_load_b128 v[96:99], v66 offset:160
	ds_load_b128 v[100:103], v73 offset:160
	;; [unrolled: 1-line block ×6, first 2 shown]
	s_wait_dscnt 0x4
	;;#ASMSTART
	v_dot2_f32_f16 v94, v96, v100, v94
	;;#ASMEND
	;;#ASMSTART
	v_dot2_f32_f16 v94, v97, v101, v94
	;;#ASMEND
	;;#ASMSTART
	v_dot2_f32_f16 v94, v98, v102, v94
	;;#ASMEND
	;;#ASMSTART
	v_dot2_f32_f16 v94, v99, v103, v94
	;;#ASMEND
	s_wait_dscnt 0x3
	;;#ASMSTART
	v_dot2_f32_f16 v92, v96, v104, v92
	;;#ASMEND
	;;#ASMSTART
	v_dot2_f32_f16 v92, v97, v105, v92
	;;#ASMEND
	;;#ASMSTART
	v_dot2_f32_f16 v92, v98, v106, v92
	;;#ASMEND
	;;#ASMSTART
	v_dot2_f32_f16 v92, v99, v107, v92
	;;#ASMEND
	;; [unrolled: 13-line block ×5, first 2 shown]
	;;#ASMSTART
	v_dot2_f32_f16 v93, v116, v104, v93
	;;#ASMEND
	;;#ASMSTART
	v_dot2_f32_f16 v93, v117, v105, v93
	;;#ASMEND
	;; [unrolled: 3-line block ×12, first 2 shown]
	ds_load_b128 v[96:99], v66 offset:176
	ds_load_b128 v[100:103], v73 offset:176
	;; [unrolled: 1-line block ×6, first 2 shown]
	s_wait_dscnt 0x4
	;;#ASMSTART
	v_dot2_f32_f16 v94, v96, v100, v94
	;;#ASMEND
	;;#ASMSTART
	v_dot2_f32_f16 v94, v97, v101, v94
	;;#ASMEND
	;;#ASMSTART
	v_dot2_f32_f16 v94, v98, v102, v94
	;;#ASMEND
	;;#ASMSTART
	v_dot2_f32_f16 v94, v99, v103, v94
	;;#ASMEND
	s_wait_dscnt 0x3
	;;#ASMSTART
	v_dot2_f32_f16 v92, v96, v104, v92
	;;#ASMEND
	;;#ASMSTART
	v_dot2_f32_f16 v92, v97, v105, v92
	;;#ASMEND
	;;#ASMSTART
	v_dot2_f32_f16 v92, v98, v106, v92
	;;#ASMEND
	;;#ASMSTART
	v_dot2_f32_f16 v92, v99, v107, v92
	;;#ASMEND
	;; [unrolled: 13-line block ×5, first 2 shown]
	;;#ASMSTART
	v_dot2_f32_f16 v93, v116, v104, v93
	;;#ASMEND
	;;#ASMSTART
	v_dot2_f32_f16 v93, v117, v105, v93
	;;#ASMEND
	;;#ASMSTART
	v_dot2_f32_f16 v93, v118, v106, v93
	;;#ASMEND
	;;#ASMSTART
	v_dot2_f32_f16 v93, v119, v107, v93
	;;#ASMEND
	;;#ASMSTART
	v_dot2_f32_f16 v44, v116, v108, v44
	;;#ASMEND
	;;#ASMSTART
	v_dot2_f32_f16 v44, v117, v109, v44
	;;#ASMEND
	;;#ASMSTART
	v_dot2_f32_f16 v44, v118, v110, v44
	;;#ASMEND
	;;#ASMSTART
	v_dot2_f32_f16 v44, v119, v111, v44
	;;#ASMEND
	;;#ASMSTART
	v_dot2_f32_f16 v42, v116, v112, v42
	;;#ASMEND
	;;#ASMSTART
	v_dot2_f32_f16 v42, v117, v113, v42
	;;#ASMEND
	;;#ASMSTART
	v_dot2_f32_f16 v42, v118, v114, v42
	;;#ASMEND
	;;#ASMSTART
	v_dot2_f32_f16 v42, v119, v115, v42
	;;#ASMEND
	ds_load_b128 v[96:99], v66 offset:192
	ds_load_b128 v[100:103], v73 offset:192
	;; [unrolled: 1-line block ×6, first 2 shown]
	s_wait_dscnt 0x4
	;;#ASMSTART
	v_dot2_f32_f16 v94, v96, v100, v94
	;;#ASMEND
	;;#ASMSTART
	v_dot2_f32_f16 v94, v97, v101, v94
	;;#ASMEND
	;;#ASMSTART
	v_dot2_f32_f16 v94, v98, v102, v94
	;;#ASMEND
	;;#ASMSTART
	v_dot2_f32_f16 v94, v99, v103, v94
	;;#ASMEND
	s_wait_dscnt 0x3
	;;#ASMSTART
	v_dot2_f32_f16 v92, v96, v104, v92
	;;#ASMEND
	;;#ASMSTART
	v_dot2_f32_f16 v92, v97, v105, v92
	;;#ASMEND
	;;#ASMSTART
	v_dot2_f32_f16 v92, v98, v106, v92
	;;#ASMEND
	;;#ASMSTART
	v_dot2_f32_f16 v92, v99, v107, v92
	;;#ASMEND
	;; [unrolled: 13-line block ×5, first 2 shown]
	;;#ASMSTART
	v_dot2_f32_f16 v93, v116, v104, v93
	;;#ASMEND
	;;#ASMSTART
	v_dot2_f32_f16 v93, v117, v105, v93
	;;#ASMEND
	;; [unrolled: 3-line block ×12, first 2 shown]
	ds_load_b128 v[96:99], v66 offset:208
	ds_load_b128 v[100:103], v73 offset:208
	;; [unrolled: 1-line block ×6, first 2 shown]
	s_wait_dscnt 0x4
	;;#ASMSTART
	v_dot2_f32_f16 v94, v96, v100, v94
	;;#ASMEND
	;;#ASMSTART
	v_dot2_f32_f16 v94, v97, v101, v94
	;;#ASMEND
	;;#ASMSTART
	v_dot2_f32_f16 v94, v98, v102, v94
	;;#ASMEND
	;;#ASMSTART
	v_dot2_f32_f16 v94, v99, v103, v94
	;;#ASMEND
	s_wait_dscnt 0x3
	;;#ASMSTART
	v_dot2_f32_f16 v92, v96, v104, v92
	;;#ASMEND
	;;#ASMSTART
	v_dot2_f32_f16 v92, v97, v105, v92
	;;#ASMEND
	;;#ASMSTART
	v_dot2_f32_f16 v92, v98, v106, v92
	;;#ASMEND
	;;#ASMSTART
	v_dot2_f32_f16 v92, v99, v107, v92
	;;#ASMEND
	;; [unrolled: 13-line block ×5, first 2 shown]
	;;#ASMSTART
	v_dot2_f32_f16 v93, v116, v104, v93
	;;#ASMEND
	;;#ASMSTART
	v_dot2_f32_f16 v93, v117, v105, v93
	;;#ASMEND
	;; [unrolled: 3-line block ×12, first 2 shown]
	ds_load_b128 v[96:99], v66 offset:224
	ds_load_b128 v[100:103], v73 offset:224
	;; [unrolled: 1-line block ×6, first 2 shown]
	s_wait_dscnt 0x4
	;;#ASMSTART
	v_dot2_f32_f16 v94, v96, v100, v94
	;;#ASMEND
	;;#ASMSTART
	v_dot2_f32_f16 v94, v97, v101, v94
	;;#ASMEND
	;;#ASMSTART
	v_dot2_f32_f16 v94, v98, v102, v94
	;;#ASMEND
	;;#ASMSTART
	v_dot2_f32_f16 v94, v99, v103, v94
	;;#ASMEND
	s_wait_dscnt 0x3
	;;#ASMSTART
	v_dot2_f32_f16 v92, v96, v104, v92
	;;#ASMEND
	;;#ASMSTART
	v_dot2_f32_f16 v92, v97, v105, v92
	;;#ASMEND
	;;#ASMSTART
	v_dot2_f32_f16 v92, v98, v106, v92
	;;#ASMEND
	;;#ASMSTART
	v_dot2_f32_f16 v92, v99, v107, v92
	;;#ASMEND
	;; [unrolled: 13-line block ×5, first 2 shown]
	;;#ASMSTART
	v_dot2_f32_f16 v93, v116, v104, v93
	;;#ASMEND
	;;#ASMSTART
	v_dot2_f32_f16 v93, v117, v105, v93
	;;#ASMEND
	;; [unrolled: 3-line block ×12, first 2 shown]
	ds_load_b128 v[96:99], v66 offset:240
	ds_load_b128 v[100:103], v73 offset:240
	;; [unrolled: 1-line block ×6, first 2 shown]
	s_wait_dscnt 0x4
	;;#ASMSTART
	v_dot2_f32_f16 v94, v96, v100, v94
	;;#ASMEND
	;;#ASMSTART
	v_dot2_f32_f16 v94, v97, v101, v94
	;;#ASMEND
	;;#ASMSTART
	v_dot2_f32_f16 v94, v98, v102, v94
	;;#ASMEND
	;;#ASMSTART
	v_dot2_f32_f16 v94, v99, v103, v94
	;;#ASMEND
	s_wait_dscnt 0x3
	;;#ASMSTART
	v_dot2_f32_f16 v92, v96, v104, v92
	;;#ASMEND
	;;#ASMSTART
	v_dot2_f32_f16 v92, v97, v105, v92
	;;#ASMEND
	;;#ASMSTART
	v_dot2_f32_f16 v92, v98, v106, v92
	;;#ASMEND
	;;#ASMSTART
	v_dot2_f32_f16 v92, v99, v107, v92
	;;#ASMEND
	;; [unrolled: 13-line block ×5, first 2 shown]
	;;#ASMSTART
	v_dot2_f32_f16 v93, v116, v104, v93
	;;#ASMEND
	;;#ASMSTART
	v_dot2_f32_f16 v93, v117, v105, v93
	;;#ASMEND
	;; [unrolled: 3-line block ×12, first 2 shown]
	s_wait_loadcnt 0x0
	s_barrier_signal -1
	s_barrier_wait -1
	global_inv scope:SCOPE_SE
	s_clause 0x3
	global_load_b128 v[96:99], v[0:1], off offset:256
	global_load_b128 v[0:3], v[2:3], off offset:256
	;; [unrolled: 1-line block ×4, first 2 shown]
	s_wait_loadcnt 0x3
	ds_store_b128 v69, v[96:99]
	s_wait_loadcnt 0x2
	ds_store_b128 v70, v[0:3]
	;; [unrolled: 2-line block ×4, first 2 shown]
	s_wait_dscnt 0x0
	s_barrier_signal -1
	s_barrier_wait -1
	global_inv scope:SCOPE_SE
	ds_load_b128 v[0:3], v66
	ds_load_b128 v[4:7], v73 offset:256
	ds_load_b128 v[96:99], v73 offset:768
	;; [unrolled: 1-line block ×5, first 2 shown]
	s_wait_dscnt 0x4
	;;#ASMSTART
	v_dot2_f32_f16 v94, v0, v4, v94
	;;#ASMEND
	;;#ASMSTART
	v_dot2_f32_f16 v94, v1, v5, v94
	;;#ASMEND
	;;#ASMSTART
	v_dot2_f32_f16 v94, v2, v6, v94
	;;#ASMEND
	;;#ASMSTART
	v_dot2_f32_f16 v94, v3, v7, v94
	;;#ASMEND
	s_wait_dscnt 0x3
	;;#ASMSTART
	v_dot2_f32_f16 v92, v0, v96, v92
	;;#ASMEND
	;;#ASMSTART
	v_dot2_f32_f16 v92, v1, v97, v92
	;;#ASMEND
	;;#ASMSTART
	v_dot2_f32_f16 v92, v2, v98, v92
	;;#ASMEND
	;;#ASMSTART
	v_dot2_f32_f16 v92, v3, v99, v92
	;;#ASMEND
	;; [unrolled: 13-line block ×5, first 2 shown]
	;;#ASMSTART
	v_dot2_f32_f16 v93, v108, v96, v93
	;;#ASMEND
	;;#ASMSTART
	v_dot2_f32_f16 v93, v109, v97, v93
	;;#ASMEND
	;;#ASMSTART
	v_dot2_f32_f16 v93, v110, v98, v93
	;;#ASMEND
	;;#ASMSTART
	v_dot2_f32_f16 v93, v111, v99, v93
	;;#ASMEND
	;;#ASMSTART
	v_dot2_f32_f16 v44, v108, v100, v44
	;;#ASMEND
	;;#ASMSTART
	v_dot2_f32_f16 v44, v109, v101, v44
	;;#ASMEND
	;;#ASMSTART
	v_dot2_f32_f16 v44, v110, v102, v44
	;;#ASMEND
	;;#ASMSTART
	v_dot2_f32_f16 v44, v111, v103, v44
	;;#ASMEND
	;;#ASMSTART
	v_dot2_f32_f16 v42, v108, v104, v42
	;;#ASMEND
	;;#ASMSTART
	v_dot2_f32_f16 v42, v109, v105, v42
	;;#ASMEND
	;;#ASMSTART
	v_dot2_f32_f16 v42, v110, v106, v42
	;;#ASMEND
	;;#ASMSTART
	v_dot2_f32_f16 v42, v111, v107, v42
	;;#ASMEND
	ds_load_b128 v[0:3], v66 offset:16
	ds_load_b128 v[4:7], v73 offset:272
	;; [unrolled: 1-line block ×6, first 2 shown]
	s_wait_dscnt 0x4
	;;#ASMSTART
	v_dot2_f32_f16 v94, v0, v4, v94
	;;#ASMEND
	;;#ASMSTART
	v_dot2_f32_f16 v94, v1, v5, v94
	;;#ASMEND
	;;#ASMSTART
	v_dot2_f32_f16 v94, v2, v6, v94
	;;#ASMEND
	;;#ASMSTART
	v_dot2_f32_f16 v94, v3, v7, v94
	;;#ASMEND
	s_wait_dscnt 0x3
	;;#ASMSTART
	v_dot2_f32_f16 v92, v0, v96, v92
	;;#ASMEND
	;;#ASMSTART
	v_dot2_f32_f16 v92, v1, v97, v92
	;;#ASMEND
	;;#ASMSTART
	v_dot2_f32_f16 v92, v2, v98, v92
	;;#ASMEND
	;;#ASMSTART
	v_dot2_f32_f16 v92, v3, v99, v92
	;;#ASMEND
	;; [unrolled: 13-line block ×5, first 2 shown]
	;;#ASMSTART
	v_dot2_f32_f16 v93, v108, v96, v93
	;;#ASMEND
	;;#ASMSTART
	v_dot2_f32_f16 v93, v109, v97, v93
	;;#ASMEND
	;; [unrolled: 3-line block ×12, first 2 shown]
	ds_load_b128 v[0:3], v66 offset:32
	ds_load_b128 v[4:7], v73 offset:288
	ds_load_b128 v[96:99], v73 offset:800
	ds_load_b128 v[100:103], v73 offset:1312
	ds_load_b128 v[104:107], v73 offset:1824
	ds_load_b128 v[108:111], v66 offset:8736
	s_wait_dscnt 0x4
	;;#ASMSTART
	v_dot2_f32_f16 v94, v0, v4, v94
	;;#ASMEND
	;;#ASMSTART
	v_dot2_f32_f16 v94, v1, v5, v94
	;;#ASMEND
	;;#ASMSTART
	v_dot2_f32_f16 v94, v2, v6, v94
	;;#ASMEND
	;;#ASMSTART
	v_dot2_f32_f16 v94, v3, v7, v94
	;;#ASMEND
	s_wait_dscnt 0x3
	;;#ASMSTART
	v_dot2_f32_f16 v92, v0, v96, v92
	;;#ASMEND
	;;#ASMSTART
	v_dot2_f32_f16 v92, v1, v97, v92
	;;#ASMEND
	;;#ASMSTART
	v_dot2_f32_f16 v92, v2, v98, v92
	;;#ASMEND
	;;#ASMSTART
	v_dot2_f32_f16 v92, v3, v99, v92
	;;#ASMEND
	;; [unrolled: 13-line block ×5, first 2 shown]
	;;#ASMSTART
	v_dot2_f32_f16 v93, v108, v96, v93
	;;#ASMEND
	;;#ASMSTART
	v_dot2_f32_f16 v93, v109, v97, v93
	;;#ASMEND
	;;#ASMSTART
	v_dot2_f32_f16 v93, v110, v98, v93
	;;#ASMEND
	;;#ASMSTART
	v_dot2_f32_f16 v93, v111, v99, v93
	;;#ASMEND
	;;#ASMSTART
	v_dot2_f32_f16 v44, v108, v100, v44
	;;#ASMEND
	;;#ASMSTART
	v_dot2_f32_f16 v44, v109, v101, v44
	;;#ASMEND
	;;#ASMSTART
	v_dot2_f32_f16 v44, v110, v102, v44
	;;#ASMEND
	;;#ASMSTART
	v_dot2_f32_f16 v44, v111, v103, v44
	;;#ASMEND
	;;#ASMSTART
	v_dot2_f32_f16 v42, v108, v104, v42
	;;#ASMEND
	;;#ASMSTART
	v_dot2_f32_f16 v42, v109, v105, v42
	;;#ASMEND
	;;#ASMSTART
	v_dot2_f32_f16 v42, v110, v106, v42
	;;#ASMEND
	;;#ASMSTART
	v_dot2_f32_f16 v42, v111, v107, v42
	;;#ASMEND
	ds_load_b128 v[0:3], v66 offset:48
	ds_load_b128 v[4:7], v73 offset:304
	;; [unrolled: 1-line block ×6, first 2 shown]
	s_wait_dscnt 0x4
	;;#ASMSTART
	v_dot2_f32_f16 v94, v0, v4, v94
	;;#ASMEND
	;;#ASMSTART
	v_dot2_f32_f16 v94, v1, v5, v94
	;;#ASMEND
	;;#ASMSTART
	v_dot2_f32_f16 v94, v2, v6, v94
	;;#ASMEND
	;;#ASMSTART
	v_dot2_f32_f16 v94, v3, v7, v94
	;;#ASMEND
	s_wait_dscnt 0x3
	;;#ASMSTART
	v_dot2_f32_f16 v92, v0, v96, v92
	;;#ASMEND
	;;#ASMSTART
	v_dot2_f32_f16 v92, v1, v97, v92
	;;#ASMEND
	;;#ASMSTART
	v_dot2_f32_f16 v92, v2, v98, v92
	;;#ASMEND
	;;#ASMSTART
	v_dot2_f32_f16 v92, v3, v99, v92
	;;#ASMEND
	;; [unrolled: 13-line block ×5, first 2 shown]
	;;#ASMSTART
	v_dot2_f32_f16 v93, v108, v96, v93
	;;#ASMEND
	;;#ASMSTART
	v_dot2_f32_f16 v93, v109, v97, v93
	;;#ASMEND
	;; [unrolled: 3-line block ×12, first 2 shown]
	ds_load_b128 v[0:3], v66 offset:64
	ds_load_b128 v[4:7], v73 offset:320
	;; [unrolled: 1-line block ×6, first 2 shown]
	s_wait_dscnt 0x4
	;;#ASMSTART
	v_dot2_f32_f16 v94, v0, v4, v94
	;;#ASMEND
	;;#ASMSTART
	v_dot2_f32_f16 v94, v1, v5, v94
	;;#ASMEND
	;;#ASMSTART
	v_dot2_f32_f16 v94, v2, v6, v94
	;;#ASMEND
	;;#ASMSTART
	v_dot2_f32_f16 v94, v3, v7, v94
	;;#ASMEND
	s_wait_dscnt 0x3
	;;#ASMSTART
	v_dot2_f32_f16 v92, v0, v96, v92
	;;#ASMEND
	;;#ASMSTART
	v_dot2_f32_f16 v92, v1, v97, v92
	;;#ASMEND
	;;#ASMSTART
	v_dot2_f32_f16 v92, v2, v98, v92
	;;#ASMEND
	;;#ASMSTART
	v_dot2_f32_f16 v92, v3, v99, v92
	;;#ASMEND
	;; [unrolled: 13-line block ×5, first 2 shown]
	;;#ASMSTART
	v_dot2_f32_f16 v93, v108, v96, v93
	;;#ASMEND
	;;#ASMSTART
	v_dot2_f32_f16 v93, v109, v97, v93
	;;#ASMEND
	;; [unrolled: 3-line block ×12, first 2 shown]
	ds_load_b128 v[0:3], v66 offset:80
	ds_load_b128 v[4:7], v73 offset:336
	;; [unrolled: 1-line block ×6, first 2 shown]
	s_wait_dscnt 0x4
	;;#ASMSTART
	v_dot2_f32_f16 v94, v0, v4, v94
	;;#ASMEND
	;;#ASMSTART
	v_dot2_f32_f16 v94, v1, v5, v94
	;;#ASMEND
	;;#ASMSTART
	v_dot2_f32_f16 v94, v2, v6, v94
	;;#ASMEND
	;;#ASMSTART
	v_dot2_f32_f16 v94, v3, v7, v94
	;;#ASMEND
	s_wait_dscnt 0x3
	;;#ASMSTART
	v_dot2_f32_f16 v92, v0, v96, v92
	;;#ASMEND
	;;#ASMSTART
	v_dot2_f32_f16 v92, v1, v97, v92
	;;#ASMEND
	;;#ASMSTART
	v_dot2_f32_f16 v92, v2, v98, v92
	;;#ASMEND
	;;#ASMSTART
	v_dot2_f32_f16 v92, v3, v99, v92
	;;#ASMEND
	s_wait_dscnt 0x2
	;;#ASMSTART
	v_dot2_f32_f16 v43, v0, v100, v43
	;;#ASMEND
	;;#ASMSTART
	v_dot2_f32_f16 v43, v1, v101, v43
	;;#ASMEND
	;;#ASMSTART
	v_dot2_f32_f16 v43, v2, v102, v43
	;;#ASMEND
	;;#ASMSTART
	v_dot2_f32_f16 v43, v3, v103, v43
	;;#ASMEND
	s_wait_dscnt 0x1
	;;#ASMSTART
	v_dot2_f32_f16 v41, v0, v104, v41
	;;#ASMEND
	;;#ASMSTART
	v_dot2_f32_f16 v41, v1, v105, v41
	;;#ASMEND
	;;#ASMSTART
	v_dot2_f32_f16 v41, v2, v106, v41
	;;#ASMEND
	;;#ASMSTART
	v_dot2_f32_f16 v41, v3, v107, v41
	;;#ASMEND
	s_wait_dscnt 0x0
	;;#ASMSTART
	v_dot2_f32_f16 v95, v108, v4, v95
	;;#ASMEND
	;;#ASMSTART
	v_dot2_f32_f16 v95, v109, v5, v95
	;;#ASMEND
	;;#ASMSTART
	v_dot2_f32_f16 v95, v110, v6, v95
	;;#ASMEND
	;;#ASMSTART
	v_dot2_f32_f16 v95, v111, v7, v95
	;;#ASMEND
	;;#ASMSTART
	v_dot2_f32_f16 v93, v108, v96, v93
	;;#ASMEND
	;;#ASMSTART
	v_dot2_f32_f16 v93, v109, v97, v93
	;;#ASMEND
	;; [unrolled: 3-line block ×12, first 2 shown]
	ds_load_b128 v[0:3], v66 offset:96
	ds_load_b128 v[4:7], v73 offset:352
	;; [unrolled: 1-line block ×6, first 2 shown]
	s_wait_dscnt 0x4
	;;#ASMSTART
	v_dot2_f32_f16 v94, v0, v4, v94
	;;#ASMEND
	;;#ASMSTART
	v_dot2_f32_f16 v94, v1, v5, v94
	;;#ASMEND
	;;#ASMSTART
	v_dot2_f32_f16 v94, v2, v6, v94
	;;#ASMEND
	;;#ASMSTART
	v_dot2_f32_f16 v94, v3, v7, v94
	;;#ASMEND
	s_wait_dscnt 0x3
	;;#ASMSTART
	v_dot2_f32_f16 v92, v0, v96, v92
	;;#ASMEND
	;;#ASMSTART
	v_dot2_f32_f16 v92, v1, v97, v92
	;;#ASMEND
	;;#ASMSTART
	v_dot2_f32_f16 v92, v2, v98, v92
	;;#ASMEND
	;;#ASMSTART
	v_dot2_f32_f16 v92, v3, v99, v92
	;;#ASMEND
	;; [unrolled: 13-line block ×5, first 2 shown]
	;;#ASMSTART
	v_dot2_f32_f16 v93, v108, v96, v93
	;;#ASMEND
	;;#ASMSTART
	v_dot2_f32_f16 v93, v109, v97, v93
	;;#ASMEND
	;;#ASMSTART
	v_dot2_f32_f16 v93, v110, v98, v93
	;;#ASMEND
	;;#ASMSTART
	v_dot2_f32_f16 v93, v111, v99, v93
	;;#ASMEND
	;;#ASMSTART
	v_dot2_f32_f16 v44, v108, v100, v44
	;;#ASMEND
	;;#ASMSTART
	v_dot2_f32_f16 v44, v109, v101, v44
	;;#ASMEND
	;;#ASMSTART
	v_dot2_f32_f16 v44, v110, v102, v44
	;;#ASMEND
	;;#ASMSTART
	v_dot2_f32_f16 v44, v111, v103, v44
	;;#ASMEND
	;;#ASMSTART
	v_dot2_f32_f16 v42, v108, v104, v42
	;;#ASMEND
	;;#ASMSTART
	v_dot2_f32_f16 v42, v109, v105, v42
	;;#ASMEND
	;;#ASMSTART
	v_dot2_f32_f16 v42, v110, v106, v42
	;;#ASMEND
	;;#ASMSTART
	v_dot2_f32_f16 v42, v111, v107, v42
	;;#ASMEND
	ds_load_b128 v[0:3], v66 offset:112
	ds_load_b128 v[4:7], v73 offset:368
	;; [unrolled: 1-line block ×6, first 2 shown]
	s_wait_dscnt 0x4
	;;#ASMSTART
	v_dot2_f32_f16 v94, v0, v4, v94
	;;#ASMEND
	;;#ASMSTART
	v_dot2_f32_f16 v94, v1, v5, v94
	;;#ASMEND
	;;#ASMSTART
	v_dot2_f32_f16 v94, v2, v6, v94
	;;#ASMEND
	;;#ASMSTART
	v_dot2_f32_f16 v94, v3, v7, v94
	;;#ASMEND
	s_wait_dscnt 0x3
	;;#ASMSTART
	v_dot2_f32_f16 v92, v0, v96, v92
	;;#ASMEND
	;;#ASMSTART
	v_dot2_f32_f16 v92, v1, v97, v92
	;;#ASMEND
	;;#ASMSTART
	v_dot2_f32_f16 v92, v2, v98, v92
	;;#ASMEND
	;;#ASMSTART
	v_dot2_f32_f16 v92, v3, v99, v92
	;;#ASMEND
	;; [unrolled: 13-line block ×5, first 2 shown]
	;;#ASMSTART
	v_dot2_f32_f16 v93, v108, v96, v93
	;;#ASMEND
	;;#ASMSTART
	v_dot2_f32_f16 v93, v109, v97, v93
	;;#ASMEND
	;; [unrolled: 3-line block ×12, first 2 shown]
	ds_load_b128 v[0:3], v66 offset:128
	ds_load_b128 v[4:7], v73 offset:384
	;; [unrolled: 1-line block ×6, first 2 shown]
	s_wait_dscnt 0x4
	;;#ASMSTART
	v_dot2_f32_f16 v94, v0, v4, v94
	;;#ASMEND
	;;#ASMSTART
	v_dot2_f32_f16 v94, v1, v5, v94
	;;#ASMEND
	;;#ASMSTART
	v_dot2_f32_f16 v94, v2, v6, v94
	;;#ASMEND
	;;#ASMSTART
	v_dot2_f32_f16 v94, v3, v7, v94
	;;#ASMEND
	s_wait_dscnt 0x3
	;;#ASMSTART
	v_dot2_f32_f16 v92, v0, v96, v92
	;;#ASMEND
	;;#ASMSTART
	v_dot2_f32_f16 v92, v1, v97, v92
	;;#ASMEND
	;;#ASMSTART
	v_dot2_f32_f16 v92, v2, v98, v92
	;;#ASMEND
	;;#ASMSTART
	v_dot2_f32_f16 v92, v3, v99, v92
	;;#ASMEND
	;; [unrolled: 13-line block ×5, first 2 shown]
	;;#ASMSTART
	v_dot2_f32_f16 v93, v108, v96, v93
	;;#ASMEND
	;;#ASMSTART
	v_dot2_f32_f16 v93, v109, v97, v93
	;;#ASMEND
	;; [unrolled: 3-line block ×12, first 2 shown]
	ds_load_b128 v[0:3], v66 offset:144
	ds_load_b128 v[4:7], v73 offset:400
	;; [unrolled: 1-line block ×6, first 2 shown]
	s_wait_dscnt 0x4
	;;#ASMSTART
	v_dot2_f32_f16 v94, v0, v4, v94
	;;#ASMEND
	;;#ASMSTART
	v_dot2_f32_f16 v94, v1, v5, v94
	;;#ASMEND
	;;#ASMSTART
	v_dot2_f32_f16 v94, v2, v6, v94
	;;#ASMEND
	;;#ASMSTART
	v_dot2_f32_f16 v94, v3, v7, v94
	;;#ASMEND
	s_wait_dscnt 0x3
	;;#ASMSTART
	v_dot2_f32_f16 v92, v0, v96, v92
	;;#ASMEND
	;;#ASMSTART
	v_dot2_f32_f16 v92, v1, v97, v92
	;;#ASMEND
	;;#ASMSTART
	v_dot2_f32_f16 v92, v2, v98, v92
	;;#ASMEND
	;;#ASMSTART
	v_dot2_f32_f16 v92, v3, v99, v92
	;;#ASMEND
	;; [unrolled: 13-line block ×5, first 2 shown]
	;;#ASMSTART
	v_dot2_f32_f16 v93, v108, v96, v93
	;;#ASMEND
	;;#ASMSTART
	v_dot2_f32_f16 v93, v109, v97, v93
	;;#ASMEND
	;; [unrolled: 3-line block ×12, first 2 shown]
	ds_load_b128 v[0:3], v66 offset:160
	ds_load_b128 v[4:7], v73 offset:416
	;; [unrolled: 1-line block ×6, first 2 shown]
	s_wait_dscnt 0x4
	;;#ASMSTART
	v_dot2_f32_f16 v94, v0, v4, v94
	;;#ASMEND
	;;#ASMSTART
	v_dot2_f32_f16 v94, v1, v5, v94
	;;#ASMEND
	;;#ASMSTART
	v_dot2_f32_f16 v94, v2, v6, v94
	;;#ASMEND
	;;#ASMSTART
	v_dot2_f32_f16 v94, v3, v7, v94
	;;#ASMEND
	s_wait_dscnt 0x3
	;;#ASMSTART
	v_dot2_f32_f16 v92, v0, v96, v92
	;;#ASMEND
	;;#ASMSTART
	v_dot2_f32_f16 v92, v1, v97, v92
	;;#ASMEND
	;;#ASMSTART
	v_dot2_f32_f16 v92, v2, v98, v92
	;;#ASMEND
	;;#ASMSTART
	v_dot2_f32_f16 v92, v3, v99, v92
	;;#ASMEND
	;; [unrolled: 13-line block ×5, first 2 shown]
	;;#ASMSTART
	v_dot2_f32_f16 v93, v108, v96, v93
	;;#ASMEND
	;;#ASMSTART
	v_dot2_f32_f16 v93, v109, v97, v93
	;;#ASMEND
	;; [unrolled: 3-line block ×12, first 2 shown]
	ds_load_b128 v[0:3], v66 offset:176
	ds_load_b128 v[4:7], v73 offset:432
	;; [unrolled: 1-line block ×6, first 2 shown]
	s_wait_dscnt 0x4
	;;#ASMSTART
	v_dot2_f32_f16 v94, v0, v4, v94
	;;#ASMEND
	;;#ASMSTART
	v_dot2_f32_f16 v94, v1, v5, v94
	;;#ASMEND
	;;#ASMSTART
	v_dot2_f32_f16 v94, v2, v6, v94
	;;#ASMEND
	;;#ASMSTART
	v_dot2_f32_f16 v94, v3, v7, v94
	;;#ASMEND
	s_wait_dscnt 0x3
	;;#ASMSTART
	v_dot2_f32_f16 v92, v0, v96, v92
	;;#ASMEND
	;;#ASMSTART
	v_dot2_f32_f16 v92, v1, v97, v92
	;;#ASMEND
	;;#ASMSTART
	v_dot2_f32_f16 v92, v2, v98, v92
	;;#ASMEND
	;;#ASMSTART
	v_dot2_f32_f16 v92, v3, v99, v92
	;;#ASMEND
	;; [unrolled: 13-line block ×5, first 2 shown]
	;;#ASMSTART
	v_dot2_f32_f16 v93, v108, v96, v93
	;;#ASMEND
	;;#ASMSTART
	v_dot2_f32_f16 v93, v109, v97, v93
	;;#ASMEND
	;; [unrolled: 3-line block ×12, first 2 shown]
	ds_load_b128 v[0:3], v66 offset:192
	ds_load_b128 v[4:7], v73 offset:448
	;; [unrolled: 1-line block ×6, first 2 shown]
	s_wait_dscnt 0x4
	;;#ASMSTART
	v_dot2_f32_f16 v94, v0, v4, v94
	;;#ASMEND
	;;#ASMSTART
	v_dot2_f32_f16 v94, v1, v5, v94
	;;#ASMEND
	;;#ASMSTART
	v_dot2_f32_f16 v94, v2, v6, v94
	;;#ASMEND
	;;#ASMSTART
	v_dot2_f32_f16 v94, v3, v7, v94
	;;#ASMEND
	s_wait_dscnt 0x3
	;;#ASMSTART
	v_dot2_f32_f16 v92, v0, v96, v92
	;;#ASMEND
	;;#ASMSTART
	v_dot2_f32_f16 v92, v1, v97, v92
	;;#ASMEND
	;;#ASMSTART
	v_dot2_f32_f16 v92, v2, v98, v92
	;;#ASMEND
	;;#ASMSTART
	v_dot2_f32_f16 v92, v3, v99, v92
	;;#ASMEND
	s_wait_dscnt 0x2
	;;#ASMSTART
	v_dot2_f32_f16 v43, v0, v100, v43
	;;#ASMEND
	;;#ASMSTART
	v_dot2_f32_f16 v43, v1, v101, v43
	;;#ASMEND
	;;#ASMSTART
	v_dot2_f32_f16 v43, v2, v102, v43
	;;#ASMEND
	;;#ASMSTART
	v_dot2_f32_f16 v43, v3, v103, v43
	;;#ASMEND
	s_wait_dscnt 0x1
	;;#ASMSTART
	v_dot2_f32_f16 v41, v0, v104, v41
	;;#ASMEND
	;;#ASMSTART
	v_dot2_f32_f16 v41, v1, v105, v41
	;;#ASMEND
	;;#ASMSTART
	v_dot2_f32_f16 v41, v2, v106, v41
	;;#ASMEND
	;;#ASMSTART
	v_dot2_f32_f16 v41, v3, v107, v41
	;;#ASMEND
	s_wait_dscnt 0x0
	;;#ASMSTART
	v_dot2_f32_f16 v95, v108, v4, v95
	;;#ASMEND
	;;#ASMSTART
	v_dot2_f32_f16 v95, v109, v5, v95
	;;#ASMEND
	;;#ASMSTART
	v_dot2_f32_f16 v95, v110, v6, v95
	;;#ASMEND
	;;#ASMSTART
	v_dot2_f32_f16 v95, v111, v7, v95
	;;#ASMEND
	;;#ASMSTART
	v_dot2_f32_f16 v93, v108, v96, v93
	;;#ASMEND
	;;#ASMSTART
	v_dot2_f32_f16 v93, v109, v97, v93
	;;#ASMEND
	;; [unrolled: 3-line block ×12, first 2 shown]
	ds_load_b128 v[0:3], v66 offset:208
	ds_load_b128 v[4:7], v73 offset:464
	;; [unrolled: 1-line block ×6, first 2 shown]
	s_wait_dscnt 0x4
	;;#ASMSTART
	v_dot2_f32_f16 v94, v0, v4, v94
	;;#ASMEND
	;;#ASMSTART
	v_dot2_f32_f16 v94, v1, v5, v94
	;;#ASMEND
	;;#ASMSTART
	v_dot2_f32_f16 v94, v2, v6, v94
	;;#ASMEND
	;;#ASMSTART
	v_dot2_f32_f16 v94, v3, v7, v94
	;;#ASMEND
	s_wait_dscnt 0x3
	;;#ASMSTART
	v_dot2_f32_f16 v92, v0, v96, v92
	;;#ASMEND
	;;#ASMSTART
	v_dot2_f32_f16 v92, v1, v97, v92
	;;#ASMEND
	;;#ASMSTART
	v_dot2_f32_f16 v92, v2, v98, v92
	;;#ASMEND
	;;#ASMSTART
	v_dot2_f32_f16 v92, v3, v99, v92
	;;#ASMEND
	;; [unrolled: 13-line block ×5, first 2 shown]
	;;#ASMSTART
	v_dot2_f32_f16 v93, v108, v96, v93
	;;#ASMEND
	;;#ASMSTART
	v_dot2_f32_f16 v93, v109, v97, v93
	;;#ASMEND
	;; [unrolled: 3-line block ×12, first 2 shown]
	ds_load_b128 v[0:3], v66 offset:224
	ds_load_b128 v[4:7], v73 offset:480
	ds_load_b128 v[96:99], v73 offset:992
	ds_load_b128 v[100:103], v73 offset:1504
	ds_load_b128 v[104:107], v73 offset:2016
	ds_load_b128 v[108:111], v66 offset:8928
	s_wait_dscnt 0x4
	;;#ASMSTART
	v_dot2_f32_f16 v94, v0, v4, v94
	;;#ASMEND
	;;#ASMSTART
	v_dot2_f32_f16 v94, v1, v5, v94
	;;#ASMEND
	;;#ASMSTART
	v_dot2_f32_f16 v94, v2, v6, v94
	;;#ASMEND
	;;#ASMSTART
	v_dot2_f32_f16 v94, v3, v7, v94
	;;#ASMEND
	s_wait_dscnt 0x3
	;;#ASMSTART
	v_dot2_f32_f16 v92, v0, v96, v92
	;;#ASMEND
	;;#ASMSTART
	v_dot2_f32_f16 v92, v1, v97, v92
	;;#ASMEND
	;;#ASMSTART
	v_dot2_f32_f16 v92, v2, v98, v92
	;;#ASMEND
	;;#ASMSTART
	v_dot2_f32_f16 v92, v3, v99, v92
	;;#ASMEND
	;; [unrolled: 13-line block ×5, first 2 shown]
	;;#ASMSTART
	v_dot2_f32_f16 v93, v108, v96, v93
	;;#ASMEND
	;;#ASMSTART
	v_dot2_f32_f16 v93, v109, v97, v93
	;;#ASMEND
	;; [unrolled: 3-line block ×12, first 2 shown]
	ds_load_b128 v[0:3], v66 offset:240
	ds_load_b128 v[4:7], v73 offset:496
	;; [unrolled: 1-line block ×6, first 2 shown]
	s_wait_dscnt 0x4
	;;#ASMSTART
	v_dot2_f32_f16 v94, v0, v4, v94
	;;#ASMEND
	;;#ASMSTART
	v_dot2_f32_f16 v94, v1, v5, v94
	;;#ASMEND
	;;#ASMSTART
	v_dot2_f32_f16 v94, v2, v6, v94
	;;#ASMEND
	;;#ASMSTART
	v_dot2_f32_f16 v94, v3, v7, v94
	;;#ASMEND
	s_wait_dscnt 0x3
	;;#ASMSTART
	v_dot2_f32_f16 v92, v0, v96, v92
	;;#ASMEND
	;;#ASMSTART
	v_dot2_f32_f16 v92, v1, v97, v92
	;;#ASMEND
	;;#ASMSTART
	v_dot2_f32_f16 v92, v2, v98, v92
	;;#ASMEND
	;;#ASMSTART
	v_dot2_f32_f16 v92, v3, v99, v92
	;;#ASMEND
	;; [unrolled: 13-line block ×5, first 2 shown]
	;;#ASMSTART
	v_dot2_f32_f16 v93, v108, v96, v93
	;;#ASMEND
	;;#ASMSTART
	v_dot2_f32_f16 v93, v109, v97, v93
	;;#ASMEND
	;; [unrolled: 3-line block ×5, first 2 shown]
	v_cmp_ngt_f32_e64 s31, 0x3f200000, |v94|
	;;#ASMSTART
	v_dot2_f32_f16 v44, v109, v101, v44
	;;#ASMEND
	;;#ASMSTART
	v_dot2_f32_f16 v44, v110, v102, v44
	;;#ASMEND
	;; [unrolled: 3-line block ×7, first 2 shown]
                                        ; implicit-def: $vgpr2
	s_and_saveexec_b32 s37, s31
	s_delay_alu instid0(SALU_CYCLE_1)
	s_xor_b32 s31, exec_lo, s37
	s_cbranch_execz .LBB70_10
; %bb.9:                                ;   in Loop: Header=BB70_8 Depth=1
	v_add_f32_e64 v0, |v94|, |v94|
	s_delay_alu instid0(VALU_DEP_1) | instskip(SKIP_1) | instid1(VALU_DEP_2)
	v_mul_f32_e32 v1, 0x3fb8aa3b, v0
	v_cmp_ngt_f32_e32 vcc_lo, 0xc2ce8ed0, v0
	v_rndne_f32_e32 v2, v1
	v_fma_f32 v3, 0x3fb8aa3b, v0, -v1
	s_delay_alu instid0(VALU_DEP_2) | instskip(NEXT) | instid1(VALU_DEP_2)
	v_sub_f32_e32 v1, v1, v2
	v_fmac_f32_e32 v3, 0x32a5705f, v0
	v_cvt_i32_f32_e32 v2, v2
	s_delay_alu instid0(VALU_DEP_2) | instskip(NEXT) | instid1(VALU_DEP_1)
	v_add_f32_e32 v1, v1, v3
	v_exp_f32_e32 v1, v1
	s_delay_alu instid0(TRANS32_DEP_1) | instskip(SKIP_1) | instid1(VALU_DEP_1)
	v_ldexp_f32 v1, v1, v2
	s_wait_alu 0xfffd
	v_cndmask_b32_e32 v1, 0, v1, vcc_lo
	v_cmp_nlt_f32_e32 vcc_lo, 0x42b17218, v0
	s_wait_alu 0xfffd
	s_delay_alu instid0(VALU_DEP_2) | instskip(NEXT) | instid1(VALU_DEP_1)
	v_cndmask_b32_e32 v0, 0x7f800000, v1, vcc_lo
	v_add_f32_e32 v0, 1.0, v0
	s_delay_alu instid0(VALU_DEP_1) | instskip(NEXT) | instid1(TRANS32_DEP_1)
	v_rcp_f32_e32 v0, v0
	v_fma_f32 v2, v0, -2.0, 1.0
.LBB70_10:                              ;   in Loop: Header=BB70_8 Depth=1
	s_wait_alu 0xfffe
	s_and_not1_saveexec_b32 s31, s31
	s_cbranch_execz .LBB70_12
; %bb.11:                               ;   in Loop: Header=BB70_8 Depth=1
	v_mul_f32_e32 v0, v94, v94
	s_delay_alu instid0(VALU_DEP_1) | instskip(NEXT) | instid1(VALU_DEP_1)
	v_fmaak_f32 v1, s9, v0, 0x3ca908c9
	v_fmaak_f32 v1, v0, v1, 0xbd5c1c4e
	s_delay_alu instid0(VALU_DEP_1) | instskip(NEXT) | instid1(VALU_DEP_1)
	v_fmaak_f32 v1, v0, v1, 0x3e088382
	v_fmaak_f32 v1, v0, v1, 0xbeaaaa99
	s_delay_alu instid0(VALU_DEP_1) | instskip(NEXT) | instid1(VALU_DEP_1)
	v_mul_f32_e64 v1, |v94|, v1
	v_fma_f32 v2, v0, v1, |v94|
.LBB70_12:                              ;   in Loop: Header=BB70_8 Depth=1
	s_wait_alu 0xfffe
	s_or_b32 exec_lo, exec_lo, s31
	v_add_nc_u32_e32 v101, s24, v35
	s_and_not1_b32 vcc_lo, exec_lo, s8
	s_delay_alu instid0(VALU_DEP_1) | instskip(NEXT) | instid1(VALU_DEP_1)
	v_add_nc_u32_e32 v0, v101, v74
	v_ashrrev_i32_e32 v1, 31, v0
	s_wait_alu 0xfffe
	s_cbranch_vccnz .LBB70_58
; %bb.13:                               ;   in Loop: Header=BB70_8 Depth=1
	s_delay_alu instid0(VALU_DEP_1) | instskip(NEXT) | instid1(VALU_DEP_1)
	v_lshlrev_b64_e32 v[3:4], 1, v[0:1]
	v_add_co_u32 v3, vcc_lo, s38, v3
	s_wait_alu 0xfffd
	s_delay_alu instid0(VALU_DEP_2) | instskip(SKIP_3) | instid1(VALU_DEP_1)
	v_add_co_ci_u32_e64 v4, null, s39, v4, vcc_lo
	global_load_u16 v3, v[3:4], off
	s_wait_loadcnt 0x0
	v_cvt_f32_f16_e32 v3, v3
	v_mul_f32_e32 v3, v40, v3
	v_cmp_ngt_f32_e64 s31, 0x3f200000, |v95|
                                        ; implicit-def: $vgpr4
	s_and_saveexec_b32 s37, s31
	s_delay_alu instid0(SALU_CYCLE_1)
	s_xor_b32 s31, exec_lo, s37
	s_cbranch_execz .LBB70_15
.LBB70_14:                              ;   in Loop: Header=BB70_8 Depth=1
	v_add_f32_e64 v4, |v95|, |v95|
	s_delay_alu instid0(VALU_DEP_1) | instskip(SKIP_1) | instid1(VALU_DEP_2)
	v_mul_f32_e32 v5, 0x3fb8aa3b, v4
	v_cmp_ngt_f32_e32 vcc_lo, 0xc2ce8ed0, v4
	v_rndne_f32_e32 v6, v5
	v_fma_f32 v7, 0x3fb8aa3b, v4, -v5
	s_delay_alu instid0(VALU_DEP_2) | instskip(NEXT) | instid1(VALU_DEP_2)
	v_sub_f32_e32 v5, v5, v6
	v_fmac_f32_e32 v7, 0x32a5705f, v4
	v_cvt_i32_f32_e32 v6, v6
	s_delay_alu instid0(VALU_DEP_2) | instskip(NEXT) | instid1(VALU_DEP_1)
	v_add_f32_e32 v5, v5, v7
	v_exp_f32_e32 v5, v5
	s_delay_alu instid0(TRANS32_DEP_1) | instskip(SKIP_1) | instid1(VALU_DEP_1)
	v_ldexp_f32 v5, v5, v6
	s_wait_alu 0xfffd
	v_cndmask_b32_e32 v5, 0, v5, vcc_lo
	v_cmp_nlt_f32_e32 vcc_lo, 0x42b17218, v4
	s_wait_alu 0xfffd
	s_delay_alu instid0(VALU_DEP_2) | instskip(NEXT) | instid1(VALU_DEP_1)
	v_cndmask_b32_e32 v4, 0x7f800000, v5, vcc_lo
	v_add_f32_e32 v4, 1.0, v4
	s_delay_alu instid0(VALU_DEP_1) | instskip(NEXT) | instid1(TRANS32_DEP_1)
	v_rcp_f32_e32 v4, v4
	v_fma_f32 v4, v4, -2.0, 1.0
.LBB70_15:                              ;   in Loop: Header=BB70_8 Depth=1
	s_wait_alu 0xfffe
	s_and_not1_saveexec_b32 s31, s31
	s_cbranch_execz .LBB70_18
; %bb.16:                               ;   in Loop: Header=BB70_8 Depth=1
	v_mul_f32_e32 v4, v95, v95
	s_delay_alu instid0(VALU_DEP_1) | instskip(NEXT) | instid1(VALU_DEP_1)
	v_fmaak_f32 v5, s9, v4, 0x3ca908c9
	v_fmaak_f32 v5, v4, v5, 0xbd5c1c4e
	s_delay_alu instid0(VALU_DEP_1) | instskip(NEXT) | instid1(VALU_DEP_1)
	v_fmaak_f32 v5, v4, v5, 0x3e088382
	v_fmaak_f32 v5, v4, v5, 0xbeaaaa99
	s_delay_alu instid0(VALU_DEP_1) | instskip(NEXT) | instid1(VALU_DEP_1)
	v_mul_f32_e64 v5, |v95|, v5
	v_fma_f32 v4, v4, v5, |v95|
	s_wait_alu 0xfffe
	s_or_b32 exec_lo, exec_lo, s31
	s_delay_alu instid0(SALU_CYCLE_1)
	s_and_not1_b32 vcc_lo, exec_lo, s8
	s_wait_alu 0xfffe
	s_cbranch_vccz .LBB70_19
.LBB70_17:                              ;   in Loop: Header=BB70_8 Depth=1
	v_mov_b32_e32 v7, 0
	s_branch .LBB70_20
.LBB70_18:                              ;   in Loop: Header=BB70_8 Depth=1
	s_wait_alu 0xfffe
	s_or_b32 exec_lo, exec_lo, s31
	s_delay_alu instid0(SALU_CYCLE_1)
	s_and_not1_b32 vcc_lo, exec_lo, s8
	s_wait_alu 0xfffe
	s_cbranch_vccnz .LBB70_17
.LBB70_19:                              ;   in Loop: Header=BB70_8 Depth=1
	v_lshlrev_b64_e32 v[0:1], 1, v[0:1]
	s_delay_alu instid0(VALU_DEP_1) | instskip(SKIP_1) | instid1(VALU_DEP_2)
	v_add_co_u32 v0, vcc_lo, s38, v0
	s_wait_alu 0xfffd
	v_add_co_ci_u32_e64 v1, null, s39, v1, vcc_lo
	global_load_u16 v0, v[0:1], off offset:64
	s_wait_loadcnt 0x0
	v_cvt_f32_f16_e32 v0, v0
	s_delay_alu instid0(VALU_DEP_1)
	v_mul_f32_e32 v7, v40, v0
.LBB70_20:                              ;   in Loop: Header=BB70_8 Depth=1
	v_bfi_b32 v0, 0x7fffffff, v2, v94
	v_bfi_b32 v1, 0x7fffffff, v4, v95
	v_xor_b32_e32 v2, 16, v9
	v_cmp_ngt_f32_e64 s31, 0x3f200000, |v92|
                                        ; implicit-def: $vgpr99
	s_delay_alu instid0(VALU_DEP_3) | instskip(NEXT) | instid1(VALU_DEP_3)
	v_fmac_f32_e32 v7, s11, v1
	v_cmp_gt_i32_e32 vcc_lo, 32, v2
	s_wait_alu 0xfffd
	v_dual_fmac_f32 v3, s11, v0 :: v_dual_cndmask_b32 v0, v9, v2
	s_delay_alu instid0(VALU_DEP_1) | instskip(NEXT) | instid1(VALU_DEP_2)
	v_add_f32_e32 v1, 0x40051340, v3
	v_dual_add_f32 v2, 0x40051340, v7 :: v_dual_lshlrev_b32 v95, 2, v0
	s_delay_alu instid0(VALU_DEP_1)
	v_max3_num_f32 v0, v89, v1, v2
	v_xor_b32_e32 v2, 8, v9
	ds_bpermute_b32 v1, v95, v0
	v_cmp_gt_i32_e32 vcc_lo, 32, v2
	s_wait_alu 0xfffd
	v_cndmask_b32_e32 v2, v9, v2, vcc_lo
	s_delay_alu instid0(VALU_DEP_1) | instskip(SKIP_1) | instid1(VALU_DEP_1)
	v_lshlrev_b32_e32 v94, 2, v2
	v_xor_b32_e32 v2, 4, v9
	v_cmp_gt_i32_e32 vcc_lo, 32, v2
	s_wait_alu 0xfffd
	v_cndmask_b32_e32 v2, v9, v2, vcc_lo
	s_wait_dscnt 0x0
	s_delay_alu instid0(VALU_DEP_1) | instskip(SKIP_1) | instid1(VALU_DEP_1)
	v_dual_max_num_f32 v1, v1, v1 :: v_dual_lshlrev_b32 v6, 2, v2
	v_xor_b32_e32 v2, 2, v9
	v_cmp_gt_i32_e32 vcc_lo, 32, v2
	s_wait_alu 0xfffd
	v_cndmask_b32_e32 v2, v9, v2, vcc_lo
	s_delay_alu instid0(VALU_DEP_1) | instskip(SKIP_2) | instid1(VALU_DEP_1)
	v_dual_max_num_f32 v0, v0, v1 :: v_dual_lshlrev_b32 v5, 2, v2
	ds_bpermute_b32 v1, v94, v0
	v_xor_b32_e32 v2, 1, v9
	v_cmp_gt_i32_e32 vcc_lo, 32, v2
	s_wait_alu 0xfffd
	v_cndmask_b32_e32 v2, v9, v2, vcc_lo
	s_wait_dscnt 0x0
	s_delay_alu instid0(VALU_DEP_1) | instskip(NEXT) | instid1(VALU_DEP_1)
	v_dual_max_num_f32 v1, v1, v1 :: v_dual_lshlrev_b32 v4, 2, v2
	v_max_num_f32_e32 v0, v0, v1
	ds_bpermute_b32 v1, v6, v0
	s_wait_dscnt 0x0
	v_max_num_f32_e32 v1, v1, v1
	s_delay_alu instid0(VALU_DEP_1) | instskip(SKIP_3) | instid1(VALU_DEP_1)
	v_max_num_f32_e32 v0, v0, v1
	ds_bpermute_b32 v1, v5, v0
	s_wait_dscnt 0x0
	v_max_num_f32_e32 v1, v1, v1
	v_max_num_f32_e32 v2, v0, v1
	ds_bpermute_b32 v96, v4, v2
	s_and_saveexec_b32 s37, s31
	s_delay_alu instid0(SALU_CYCLE_1)
	s_xor_b32 s31, exec_lo, s37
	s_cbranch_execz .LBB70_22
; %bb.21:                               ;   in Loop: Header=BB70_8 Depth=1
	v_add_f32_e64 v0, |v92|, |v92|
	s_delay_alu instid0(VALU_DEP_1) | instskip(SKIP_1) | instid1(VALU_DEP_2)
	v_mul_f32_e32 v1, 0x3fb8aa3b, v0
	v_cmp_ngt_f32_e32 vcc_lo, 0xc2ce8ed0, v0
	v_rndne_f32_e32 v97, v1
	v_fma_f32 v98, 0x3fb8aa3b, v0, -v1
	s_delay_alu instid0(VALU_DEP_1) | instskip(SKIP_1) | instid1(VALU_DEP_2)
	v_dual_sub_f32 v1, v1, v97 :: v_dual_fmac_f32 v98, 0x32a5705f, v0
	v_cvt_i32_f32_e32 v97, v97
	v_add_f32_e32 v1, v1, v98
	s_delay_alu instid0(VALU_DEP_1) | instskip(NEXT) | instid1(TRANS32_DEP_1)
	v_exp_f32_e32 v1, v1
	v_ldexp_f32 v1, v1, v97
	s_wait_alu 0xfffd
	s_delay_alu instid0(VALU_DEP_1) | instskip(SKIP_2) | instid1(VALU_DEP_2)
	v_cndmask_b32_e32 v1, 0, v1, vcc_lo
	v_cmp_nlt_f32_e32 vcc_lo, 0x42b17218, v0
	s_wait_alu 0xfffd
	v_cndmask_b32_e32 v0, 0x7f800000, v1, vcc_lo
	s_delay_alu instid0(VALU_DEP_1) | instskip(NEXT) | instid1(VALU_DEP_1)
	v_add_f32_e32 v0, 1.0, v0
	v_rcp_f32_e32 v0, v0
	s_delay_alu instid0(TRANS32_DEP_1)
	v_fma_f32 v99, v0, -2.0, 1.0
.LBB70_22:                              ;   in Loop: Header=BB70_8 Depth=1
	s_wait_alu 0xfffe
	s_and_not1_saveexec_b32 s31, s31
	s_cbranch_execz .LBB70_24
; %bb.23:                               ;   in Loop: Header=BB70_8 Depth=1
	v_mul_f32_e32 v0, v92, v92
	s_delay_alu instid0(VALU_DEP_1) | instskip(NEXT) | instid1(VALU_DEP_1)
	v_fmaak_f32 v1, s9, v0, 0x3ca908c9
	v_fmaak_f32 v1, v0, v1, 0xbd5c1c4e
	s_delay_alu instid0(VALU_DEP_1) | instskip(NEXT) | instid1(VALU_DEP_1)
	v_fmaak_f32 v1, v0, v1, 0x3e088382
	v_fmaak_f32 v1, v0, v1, 0xbeaaaa99
	s_delay_alu instid0(VALU_DEP_1) | instskip(NEXT) | instid1(VALU_DEP_1)
	v_mul_f32_e64 v1, |v92|, v1
	v_fma_f32 v99, v0, v1, |v92|
.LBB70_24:                              ;   in Loop: Header=BB70_8 Depth=1
	s_wait_alu 0xfffe
	s_or_b32 exec_lo, exec_lo, s31
	v_add_nc_u32_e32 v0, v101, v75
	s_and_not1_b32 vcc_lo, exec_lo, s8
	s_delay_alu instid0(VALU_DEP_1)
	v_ashrrev_i32_e32 v1, 31, v0
	s_wait_alu 0xfffe
	s_cbranch_vccnz .LBB70_59
; %bb.25:                               ;   in Loop: Header=BB70_8 Depth=1
	s_delay_alu instid0(VALU_DEP_1) | instskip(NEXT) | instid1(VALU_DEP_1)
	v_lshlrev_b64_e32 v[97:98], 1, v[0:1]
	v_add_co_u32 v97, vcc_lo, s38, v97
	s_wait_alu 0xfffd
	s_delay_alu instid0(VALU_DEP_2) | instskip(SKIP_3) | instid1(VALU_DEP_1)
	v_add_co_ci_u32_e64 v98, null, s39, v98, vcc_lo
	global_load_u16 v97, v[97:98], off
	s_wait_loadcnt 0x0
	v_cvt_f32_f16_e32 v97, v97
	v_mul_f32_e32 v97, v40, v97
	v_cmp_ngt_f32_e64 s31, 0x3f200000, |v93|
                                        ; implicit-def: $vgpr100
	s_and_saveexec_b32 s37, s31
	s_delay_alu instid0(SALU_CYCLE_1)
	s_xor_b32 s31, exec_lo, s37
	s_cbranch_execz .LBB70_27
.LBB70_26:                              ;   in Loop: Header=BB70_8 Depth=1
	v_add_f32_e64 v98, |v93|, |v93|
	s_delay_alu instid0(VALU_DEP_1) | instskip(SKIP_1) | instid1(VALU_DEP_2)
	v_mul_f32_e32 v100, 0x3fb8aa3b, v98
	v_cmp_ngt_f32_e32 vcc_lo, 0xc2ce8ed0, v98
	v_rndne_f32_e32 v102, v100
	v_fma_f32 v103, 0x3fb8aa3b, v98, -v100
	s_delay_alu instid0(VALU_DEP_2) | instskip(NEXT) | instid1(VALU_DEP_2)
	v_sub_f32_e32 v100, v100, v102
	v_fmac_f32_e32 v103, 0x32a5705f, v98
	v_cvt_i32_f32_e32 v102, v102
	s_delay_alu instid0(VALU_DEP_2) | instskip(NEXT) | instid1(VALU_DEP_1)
	v_add_f32_e32 v100, v100, v103
	v_exp_f32_e32 v100, v100
	s_delay_alu instid0(TRANS32_DEP_1) | instskip(SKIP_1) | instid1(VALU_DEP_1)
	v_ldexp_f32 v100, v100, v102
	s_wait_alu 0xfffd
	v_cndmask_b32_e32 v100, 0, v100, vcc_lo
	v_cmp_nlt_f32_e32 vcc_lo, 0x42b17218, v98
	s_wait_alu 0xfffd
	s_delay_alu instid0(VALU_DEP_2) | instskip(NEXT) | instid1(VALU_DEP_1)
	v_cndmask_b32_e32 v98, 0x7f800000, v100, vcc_lo
	v_add_f32_e32 v98, 1.0, v98
	s_delay_alu instid0(VALU_DEP_1) | instskip(NEXT) | instid1(TRANS32_DEP_1)
	v_rcp_f32_e32 v98, v98
	v_fma_f32 v100, v98, -2.0, 1.0
.LBB70_27:                              ;   in Loop: Header=BB70_8 Depth=1
	s_wait_alu 0xfffe
	s_and_not1_saveexec_b32 s31, s31
	s_cbranch_execz .LBB70_30
; %bb.28:                               ;   in Loop: Header=BB70_8 Depth=1
	v_mul_f32_e32 v98, v93, v93
	s_delay_alu instid0(VALU_DEP_1) | instskip(NEXT) | instid1(VALU_DEP_1)
	v_fmaak_f32 v100, s9, v98, 0x3ca908c9
	v_fmaak_f32 v100, v98, v100, 0xbd5c1c4e
	s_delay_alu instid0(VALU_DEP_1) | instskip(NEXT) | instid1(VALU_DEP_1)
	v_fmaak_f32 v100, v98, v100, 0x3e088382
	v_fmaak_f32 v100, v98, v100, 0xbeaaaa99
	s_delay_alu instid0(VALU_DEP_1) | instskip(NEXT) | instid1(VALU_DEP_1)
	v_mul_f32_e64 v100, |v93|, v100
	v_fma_f32 v100, v98, v100, |v93|
	s_wait_alu 0xfffe
	s_or_b32 exec_lo, exec_lo, s31
	s_delay_alu instid0(SALU_CYCLE_1)
	s_and_not1_b32 vcc_lo, exec_lo, s8
	s_wait_alu 0xfffe
	s_cbranch_vccz .LBB70_31
.LBB70_29:                              ;   in Loop: Header=BB70_8 Depth=1
	v_mov_b32_e32 v98, 0
	s_branch .LBB70_32
.LBB70_30:                              ;   in Loop: Header=BB70_8 Depth=1
	s_wait_alu 0xfffe
	s_or_b32 exec_lo, exec_lo, s31
	s_delay_alu instid0(SALU_CYCLE_1)
	s_and_not1_b32 vcc_lo, exec_lo, s8
	s_wait_alu 0xfffe
	s_cbranch_vccnz .LBB70_29
.LBB70_31:                              ;   in Loop: Header=BB70_8 Depth=1
	v_lshlrev_b64_e32 v[0:1], 1, v[0:1]
	s_delay_alu instid0(VALU_DEP_1) | instskip(SKIP_1) | instid1(VALU_DEP_2)
	v_add_co_u32 v0, vcc_lo, s38, v0
	s_wait_alu 0xfffd
	v_add_co_ci_u32_e64 v1, null, s39, v1, vcc_lo
	global_load_u16 v0, v[0:1], off offset:64
	s_wait_loadcnt 0x0
	v_cvt_f32_f16_e32 v0, v0
	s_delay_alu instid0(VALU_DEP_1)
	v_mul_f32_e32 v98, v40, v0
.LBB70_32:                              ;   in Loop: Header=BB70_8 Depth=1
	v_bfi_b32 v0, 0x7fffffff, v99, v92
	v_bfi_b32 v1, 0x7fffffff, v100, v93
	v_cmp_ngt_f32_e64 s31, 0x3f200000, |v43|
                                        ; implicit-def: $vgpr92
	s_delay_alu instid0(VALU_DEP_2) | instskip(NEXT) | instid1(VALU_DEP_1)
	v_dual_fmac_f32 v97, s11, v0 :: v_dual_fmac_f32 v98, s11, v1
	v_dual_add_f32 v0, 0x40051340, v97 :: v_dual_add_f32 v1, 0x40051340, v98
	s_delay_alu instid0(VALU_DEP_1) | instskip(SKIP_3) | instid1(VALU_DEP_1)
	v_max3_num_f32 v0, v91, v0, v1
	ds_bpermute_b32 v1, v95, v0
	s_wait_dscnt 0x0
	v_max_num_f32_e32 v1, v1, v1
	v_max_num_f32_e32 v0, v0, v1
	ds_bpermute_b32 v1, v94, v0
	s_wait_dscnt 0x0
	v_max_num_f32_e32 v1, v1, v1
	s_delay_alu instid0(VALU_DEP_1) | instskip(SKIP_3) | instid1(VALU_DEP_1)
	v_max_num_f32_e32 v0, v0, v1
	ds_bpermute_b32 v1, v6, v0
	s_wait_dscnt 0x0
	v_max_num_f32_e32 v1, v1, v1
	v_max_num_f32_e32 v0, v0, v1
	ds_bpermute_b32 v1, v5, v0
	s_wait_dscnt 0x0
	v_max_num_f32_e32 v1, v1, v1
	s_delay_alu instid0(VALU_DEP_1) | instskip(SKIP_2) | instid1(SALU_CYCLE_1)
	v_max_num_f32_e32 v93, v0, v1
	ds_bpermute_b32 v99, v4, v93
	s_and_saveexec_b32 s37, s31
	s_xor_b32 s31, exec_lo, s37
	s_cbranch_execz .LBB70_34
; %bb.33:                               ;   in Loop: Header=BB70_8 Depth=1
	v_add_f32_e64 v0, |v43|, |v43|
	s_delay_alu instid0(VALU_DEP_1) | instskip(SKIP_1) | instid1(VALU_DEP_2)
	v_mul_f32_e32 v1, 0x3fb8aa3b, v0
	v_cmp_ngt_f32_e32 vcc_lo, 0xc2ce8ed0, v0
	v_rndne_f32_e32 v92, v1
	v_fma_f32 v100, 0x3fb8aa3b, v0, -v1
	s_delay_alu instid0(VALU_DEP_2) | instskip(NEXT) | instid1(VALU_DEP_2)
	v_sub_f32_e32 v1, v1, v92
	v_fmac_f32_e32 v100, 0x32a5705f, v0
	v_cvt_i32_f32_e32 v92, v92
	s_delay_alu instid0(VALU_DEP_2) | instskip(NEXT) | instid1(VALU_DEP_1)
	v_add_f32_e32 v1, v1, v100
	v_exp_f32_e32 v1, v1
	s_delay_alu instid0(TRANS32_DEP_1) | instskip(SKIP_1) | instid1(VALU_DEP_1)
	v_ldexp_f32 v1, v1, v92
	s_wait_alu 0xfffd
	v_cndmask_b32_e32 v1, 0, v1, vcc_lo
	v_cmp_nlt_f32_e32 vcc_lo, 0x42b17218, v0
	s_wait_alu 0xfffd
	s_delay_alu instid0(VALU_DEP_2) | instskip(NEXT) | instid1(VALU_DEP_1)
	v_cndmask_b32_e32 v0, 0x7f800000, v1, vcc_lo
	v_add_f32_e32 v0, 1.0, v0
	s_delay_alu instid0(VALU_DEP_1) | instskip(NEXT) | instid1(TRANS32_DEP_1)
	v_rcp_f32_e32 v0, v0
	v_fma_f32 v92, v0, -2.0, 1.0
.LBB70_34:                              ;   in Loop: Header=BB70_8 Depth=1
	s_wait_alu 0xfffe
	s_and_not1_saveexec_b32 s31, s31
	s_cbranch_execz .LBB70_36
; %bb.35:                               ;   in Loop: Header=BB70_8 Depth=1
	v_mul_f32_e32 v0, v43, v43
	s_delay_alu instid0(VALU_DEP_1) | instskip(NEXT) | instid1(VALU_DEP_1)
	v_fmaak_f32 v1, s9, v0, 0x3ca908c9
	v_fmaak_f32 v1, v0, v1, 0xbd5c1c4e
	s_delay_alu instid0(VALU_DEP_1) | instskip(NEXT) | instid1(VALU_DEP_1)
	v_fmaak_f32 v1, v0, v1, 0x3e088382
	v_fmaak_f32 v1, v0, v1, 0xbeaaaa99
	s_delay_alu instid0(VALU_DEP_1) | instskip(NEXT) | instid1(VALU_DEP_1)
	v_mul_f32_e64 v1, |v43|, v1
	v_fma_f32 v92, v0, v1, |v43|
.LBB70_36:                              ;   in Loop: Header=BB70_8 Depth=1
	s_wait_alu 0xfffe
	s_or_b32 exec_lo, exec_lo, s31
	v_add_nc_u32_e32 v0, v101, v76
	s_and_not1_b32 vcc_lo, exec_lo, s8
	s_delay_alu instid0(VALU_DEP_1)
	v_ashrrev_i32_e32 v1, 31, v0
	s_wait_alu 0xfffe
	s_cbranch_vccnz .LBB70_60
; %bb.37:                               ;   in Loop: Header=BB70_8 Depth=1
	s_delay_alu instid0(VALU_DEP_1) | instskip(NEXT) | instid1(VALU_DEP_1)
	v_lshlrev_b64_e32 v[102:103], 1, v[0:1]
	v_add_co_u32 v102, vcc_lo, s38, v102
	s_wait_alu 0xfffd
	s_delay_alu instid0(VALU_DEP_2) | instskip(SKIP_3) | instid1(VALU_DEP_1)
	v_add_co_ci_u32_e64 v103, null, s39, v103, vcc_lo
	global_load_u16 v100, v[102:103], off
	s_wait_loadcnt 0x0
	v_cvt_f32_f16_e32 v100, v100
	v_mul_f32_e32 v100, v40, v100
	v_cmp_ngt_f32_e64 s31, 0x3f200000, |v44|
                                        ; implicit-def: $vgpr103
	s_and_saveexec_b32 s37, s31
	s_delay_alu instid0(SALU_CYCLE_1)
	s_xor_b32 s31, exec_lo, s37
	s_cbranch_execz .LBB70_39
.LBB70_38:                              ;   in Loop: Header=BB70_8 Depth=1
	v_add_f32_e64 v102, |v44|, |v44|
	s_delay_alu instid0(VALU_DEP_1) | instskip(SKIP_1) | instid1(VALU_DEP_2)
	v_mul_f32_e32 v103, 0x3fb8aa3b, v102
	v_cmp_ngt_f32_e32 vcc_lo, 0xc2ce8ed0, v102
	v_rndne_f32_e32 v104, v103
	v_fma_f32 v105, 0x3fb8aa3b, v102, -v103
	s_delay_alu instid0(VALU_DEP_2) | instskip(NEXT) | instid1(VALU_DEP_2)
	v_sub_f32_e32 v103, v103, v104
	v_fmac_f32_e32 v105, 0x32a5705f, v102
	v_cvt_i32_f32_e32 v104, v104
	s_delay_alu instid0(VALU_DEP_2) | instskip(NEXT) | instid1(VALU_DEP_1)
	v_add_f32_e32 v103, v103, v105
	v_exp_f32_e32 v103, v103
	s_delay_alu instid0(TRANS32_DEP_1) | instskip(SKIP_1) | instid1(VALU_DEP_1)
	v_ldexp_f32 v103, v103, v104
	s_wait_alu 0xfffd
	v_cndmask_b32_e32 v103, 0, v103, vcc_lo
	v_cmp_nlt_f32_e32 vcc_lo, 0x42b17218, v102
	s_wait_alu 0xfffd
	s_delay_alu instid0(VALU_DEP_2) | instskip(NEXT) | instid1(VALU_DEP_1)
	v_cndmask_b32_e32 v102, 0x7f800000, v103, vcc_lo
	v_add_f32_e32 v102, 1.0, v102
	s_delay_alu instid0(VALU_DEP_1) | instskip(NEXT) | instid1(TRANS32_DEP_1)
	v_rcp_f32_e32 v102, v102
	v_fma_f32 v103, v102, -2.0, 1.0
.LBB70_39:                              ;   in Loop: Header=BB70_8 Depth=1
	s_wait_alu 0xfffe
	s_and_not1_saveexec_b32 s31, s31
	s_cbranch_execz .LBB70_42
; %bb.40:                               ;   in Loop: Header=BB70_8 Depth=1
	v_mul_f32_e32 v102, v44, v44
	s_delay_alu instid0(VALU_DEP_1) | instskip(NEXT) | instid1(VALU_DEP_1)
	v_fmaak_f32 v103, s9, v102, 0x3ca908c9
	v_fmaak_f32 v103, v102, v103, 0xbd5c1c4e
	s_delay_alu instid0(VALU_DEP_1) | instskip(NEXT) | instid1(VALU_DEP_1)
	v_fmaak_f32 v103, v102, v103, 0x3e088382
	v_fmaak_f32 v103, v102, v103, 0xbeaaaa99
	s_delay_alu instid0(VALU_DEP_1) | instskip(NEXT) | instid1(VALU_DEP_1)
	v_mul_f32_e64 v103, |v44|, v103
	v_fma_f32 v103, v102, v103, |v44|
	s_wait_alu 0xfffe
	s_or_b32 exec_lo, exec_lo, s31
	s_delay_alu instid0(SALU_CYCLE_1)
	s_and_not1_b32 vcc_lo, exec_lo, s8
	s_wait_alu 0xfffe
	s_cbranch_vccz .LBB70_43
.LBB70_41:                              ;   in Loop: Header=BB70_8 Depth=1
	v_mov_b32_e32 v102, 0
	s_branch .LBB70_44
.LBB70_42:                              ;   in Loop: Header=BB70_8 Depth=1
	s_wait_alu 0xfffe
	s_or_b32 exec_lo, exec_lo, s31
	s_delay_alu instid0(SALU_CYCLE_1)
	s_and_not1_b32 vcc_lo, exec_lo, s8
	s_wait_alu 0xfffe
	s_cbranch_vccnz .LBB70_41
.LBB70_43:                              ;   in Loop: Header=BB70_8 Depth=1
	v_lshlrev_b64_e32 v[0:1], 1, v[0:1]
	s_delay_alu instid0(VALU_DEP_1) | instskip(SKIP_1) | instid1(VALU_DEP_2)
	v_add_co_u32 v0, vcc_lo, s38, v0
	s_wait_alu 0xfffd
	v_add_co_ci_u32_e64 v1, null, s39, v1, vcc_lo
	global_load_u16 v0, v[0:1], off offset:64
	s_wait_loadcnt 0x0
	v_cvt_f32_f16_e32 v0, v0
	s_delay_alu instid0(VALU_DEP_1)
	v_mul_f32_e32 v102, v40, v0
.LBB70_44:                              ;   in Loop: Header=BB70_8 Depth=1
	v_bfi_b32 v0, 0x7fffffff, v92, v43
	v_bfi_b32 v1, 0x7fffffff, v103, v44
	v_cmp_ngt_f32_e64 s31, 0x3f200000, |v41|
                                        ; implicit-def: $vgpr104
	s_delay_alu instid0(VALU_DEP_2) | instskip(NEXT) | instid1(VALU_DEP_1)
	v_fmac_f32_e32 v102, s11, v1
	v_dual_fmac_f32 v100, s11, v0 :: v_dual_add_f32 v1, 0x40051340, v102
	s_delay_alu instid0(VALU_DEP_1) | instskip(NEXT) | instid1(VALU_DEP_1)
	v_add_f32_e32 v0, 0x40051340, v100
	v_max3_num_f32 v0, v90, v0, v1
	ds_bpermute_b32 v1, v95, v0
	s_wait_dscnt 0x0
	v_max_num_f32_e32 v1, v1, v1
	s_delay_alu instid0(VALU_DEP_1) | instskip(SKIP_3) | instid1(VALU_DEP_1)
	v_max_num_f32_e32 v0, v0, v1
	ds_bpermute_b32 v1, v94, v0
	s_wait_dscnt 0x0
	v_max_num_f32_e32 v1, v1, v1
	v_max_num_f32_e32 v0, v0, v1
	ds_bpermute_b32 v1, v6, v0
	s_wait_dscnt 0x0
	v_max_num_f32_e32 v1, v1, v1
	s_delay_alu instid0(VALU_DEP_1) | instskip(SKIP_3) | instid1(VALU_DEP_1)
	v_max_num_f32_e32 v0, v0, v1
	ds_bpermute_b32 v1, v5, v0
	s_wait_dscnt 0x0
	v_max_num_f32_e32 v1, v1, v1
	v_max_num_f32_e32 v43, v0, v1
	ds_bpermute_b32 v44, v4, v43
	s_and_saveexec_b32 s37, s31
	s_delay_alu instid0(SALU_CYCLE_1)
	s_xor_b32 s31, exec_lo, s37
	s_cbranch_execz .LBB70_46
; %bb.45:                               ;   in Loop: Header=BB70_8 Depth=1
	v_add_f32_e64 v0, |v41|, |v41|
	s_delay_alu instid0(VALU_DEP_1) | instskip(SKIP_1) | instid1(VALU_DEP_2)
	v_mul_f32_e32 v1, 0x3fb8aa3b, v0
	v_cmp_ngt_f32_e32 vcc_lo, 0xc2ce8ed0, v0
	v_rndne_f32_e32 v92, v1
	v_fma_f32 v103, 0x3fb8aa3b, v0, -v1
	s_delay_alu instid0(VALU_DEP_2) | instskip(NEXT) | instid1(VALU_DEP_2)
	v_sub_f32_e32 v1, v1, v92
	v_fmac_f32_e32 v103, 0x32a5705f, v0
	v_cvt_i32_f32_e32 v92, v92
	s_delay_alu instid0(VALU_DEP_2) | instskip(NEXT) | instid1(VALU_DEP_1)
	v_add_f32_e32 v1, v1, v103
	v_exp_f32_e32 v1, v1
	s_delay_alu instid0(TRANS32_DEP_1) | instskip(SKIP_1) | instid1(VALU_DEP_1)
	v_ldexp_f32 v1, v1, v92
	s_wait_alu 0xfffd
	v_cndmask_b32_e32 v1, 0, v1, vcc_lo
	v_cmp_nlt_f32_e32 vcc_lo, 0x42b17218, v0
	s_wait_alu 0xfffd
	s_delay_alu instid0(VALU_DEP_2) | instskip(NEXT) | instid1(VALU_DEP_1)
	v_cndmask_b32_e32 v0, 0x7f800000, v1, vcc_lo
	v_add_f32_e32 v0, 1.0, v0
	s_delay_alu instid0(VALU_DEP_1) | instskip(NEXT) | instid1(TRANS32_DEP_1)
	v_rcp_f32_e32 v0, v0
	v_fma_f32 v104, v0, -2.0, 1.0
.LBB70_46:                              ;   in Loop: Header=BB70_8 Depth=1
	s_wait_alu 0xfffe
	s_and_not1_saveexec_b32 s31, s31
	s_cbranch_execz .LBB70_48
; %bb.47:                               ;   in Loop: Header=BB70_8 Depth=1
	v_mul_f32_e32 v0, v41, v41
	s_delay_alu instid0(VALU_DEP_1) | instskip(NEXT) | instid1(VALU_DEP_1)
	v_fmaak_f32 v1, s9, v0, 0x3ca908c9
	v_fmaak_f32 v1, v0, v1, 0xbd5c1c4e
	s_delay_alu instid0(VALU_DEP_1) | instskip(NEXT) | instid1(VALU_DEP_1)
	v_fmaak_f32 v1, v0, v1, 0x3e088382
	v_fmaak_f32 v1, v0, v1, 0xbeaaaa99
	s_delay_alu instid0(VALU_DEP_1) | instskip(NEXT) | instid1(VALU_DEP_1)
	v_mul_f32_e64 v1, |v41|, v1
	v_fma_f32 v104, v0, v1, |v41|
.LBB70_48:                              ;   in Loop: Header=BB70_8 Depth=1
	s_wait_alu 0xfffe
	s_or_b32 exec_lo, exec_lo, s31
	v_add_nc_u32_e32 v0, v101, v78
	s_and_not1_b32 vcc_lo, exec_lo, s8
	s_delay_alu instid0(VALU_DEP_1)
	v_ashrrev_i32_e32 v1, 31, v0
	s_wait_alu 0xfffe
	s_cbranch_vccnz .LBB70_61
; %bb.49:                               ;   in Loop: Header=BB70_8 Depth=1
	s_delay_alu instid0(VALU_DEP_1) | instskip(NEXT) | instid1(VALU_DEP_1)
	v_lshlrev_b64_e32 v[105:106], 1, v[0:1]
	v_add_co_u32 v105, vcc_lo, s38, v105
	s_wait_alu 0xfffd
	s_delay_alu instid0(VALU_DEP_2) | instskip(SKIP_3) | instid1(VALU_DEP_1)
	v_add_co_ci_u32_e64 v106, null, s39, v106, vcc_lo
	global_load_u16 v92, v[105:106], off
	s_wait_loadcnt 0x0
	v_cvt_f32_f16_e32 v92, v92
	v_mul_f32_e32 v101, v40, v92
	v_cmp_ngt_f32_e64 s31, 0x3f200000, |v42|
                                        ; implicit-def: $vgpr105
	s_and_saveexec_b32 s37, s31
	s_delay_alu instid0(SALU_CYCLE_1)
	s_xor_b32 s31, exec_lo, s37
	s_cbranch_execz .LBB70_51
.LBB70_50:                              ;   in Loop: Header=BB70_8 Depth=1
	v_add_f32_e64 v92, |v42|, |v42|
	s_delay_alu instid0(VALU_DEP_1) | instskip(SKIP_1) | instid1(VALU_DEP_2)
	v_mul_f32_e32 v103, 0x3fb8aa3b, v92
	v_cmp_ngt_f32_e32 vcc_lo, 0xc2ce8ed0, v92
	v_rndne_f32_e32 v105, v103
	v_fma_f32 v106, 0x3fb8aa3b, v92, -v103
	s_delay_alu instid0(VALU_DEP_1) | instskip(SKIP_1) | instid1(VALU_DEP_2)
	v_dual_sub_f32 v103, v103, v105 :: v_dual_fmac_f32 v106, 0x32a5705f, v92
	v_cvt_i32_f32_e32 v105, v105
	v_add_f32_e32 v103, v103, v106
	s_delay_alu instid0(VALU_DEP_1) | instskip(NEXT) | instid1(TRANS32_DEP_1)
	v_exp_f32_e32 v103, v103
	v_ldexp_f32 v103, v103, v105
	s_wait_alu 0xfffd
	s_delay_alu instid0(VALU_DEP_1) | instskip(SKIP_2) | instid1(VALU_DEP_2)
	v_cndmask_b32_e32 v103, 0, v103, vcc_lo
	v_cmp_nlt_f32_e32 vcc_lo, 0x42b17218, v92
	s_wait_alu 0xfffd
	v_cndmask_b32_e32 v92, 0x7f800000, v103, vcc_lo
	s_delay_alu instid0(VALU_DEP_1) | instskip(NEXT) | instid1(VALU_DEP_1)
	v_add_f32_e32 v92, 1.0, v92
	v_rcp_f32_e32 v92, v92
	s_delay_alu instid0(TRANS32_DEP_1)
	v_fma_f32 v105, v92, -2.0, 1.0
.LBB70_51:                              ;   in Loop: Header=BB70_8 Depth=1
	s_wait_alu 0xfffe
	s_and_not1_saveexec_b32 s31, s31
	s_cbranch_execz .LBB70_54
; %bb.52:                               ;   in Loop: Header=BB70_8 Depth=1
	v_mul_f32_e32 v92, v42, v42
	s_delay_alu instid0(VALU_DEP_1) | instskip(NEXT) | instid1(VALU_DEP_1)
	v_fmaak_f32 v103, s9, v92, 0x3ca908c9
	v_fmaak_f32 v103, v92, v103, 0xbd5c1c4e
	s_delay_alu instid0(VALU_DEP_1) | instskip(NEXT) | instid1(VALU_DEP_1)
	v_fmaak_f32 v103, v92, v103, 0x3e088382
	v_fmaak_f32 v103, v92, v103, 0xbeaaaa99
	s_delay_alu instid0(VALU_DEP_1) | instskip(NEXT) | instid1(VALU_DEP_1)
	v_mul_f32_e64 v103, |v42|, v103
	v_fma_f32 v105, v92, v103, |v42|
	s_wait_alu 0xfffe
	s_or_b32 exec_lo, exec_lo, s31
	s_delay_alu instid0(SALU_CYCLE_1)
	s_and_not1_b32 vcc_lo, exec_lo, s8
	s_wait_alu 0xfffe
	s_cbranch_vccz .LBB70_55
.LBB70_53:                              ;   in Loop: Header=BB70_8 Depth=1
	v_mov_b32_e32 v103, 0
	s_branch .LBB70_56
.LBB70_54:                              ;   in Loop: Header=BB70_8 Depth=1
	s_wait_alu 0xfffe
	s_or_b32 exec_lo, exec_lo, s31
	s_delay_alu instid0(SALU_CYCLE_1)
	s_and_not1_b32 vcc_lo, exec_lo, s8
	s_wait_alu 0xfffe
	s_cbranch_vccnz .LBB70_53
.LBB70_55:                              ;   in Loop: Header=BB70_8 Depth=1
	v_lshlrev_b64_e32 v[0:1], 1, v[0:1]
	s_delay_alu instid0(VALU_DEP_1) | instskip(SKIP_1) | instid1(VALU_DEP_2)
	v_add_co_u32 v0, vcc_lo, s38, v0
	s_wait_alu 0xfffd
	v_add_co_ci_u32_e64 v1, null, s39, v1, vcc_lo
	global_load_u16 v0, v[0:1], off offset:64
	s_wait_loadcnt 0x0
	v_cvt_f32_f16_e32 v0, v0
	s_delay_alu instid0(VALU_DEP_1)
	v_mul_f32_e32 v103, v40, v0
.LBB70_56:                              ;   in Loop: Header=BB70_8 Depth=1
	s_mul_u64 s[40:41], s[24:25], s[14:15]
	v_lshlrev_b32_e32 v92, 2, v28
	s_wait_alu 0xfffe
	s_lshl_b64 s[40:41], s[40:41], 2
	s_wait_loadcnt_dscnt 0x0
	s_wait_alu 0xfffe
	s_add_nc_u64 s[40:41], s[26:27], s[40:41]
	s_barrier_signal -1
	s_wait_alu 0xfffe
	v_add_co_u32 v0, vcc_lo, s40, v18
	s_wait_alu 0xfffd
	v_add_co_ci_u32_e64 v1, null, s41, v19, vcc_lo
	v_add_co_u32 v106, vcc_lo, s40, v20
	s_wait_alu 0xfffd
	v_add_co_ci_u32_e64 v107, null, s41, v21, vcc_lo
	;; [unrolled: 3-line block ×8, first 2 shown]
	s_barrier_wait -1
	global_inv scope:SCOPE_SE
	s_clause 0x3
	global_load_b128 v[106:109], v[0:1], off
	global_load_b128 v[110:113], v[110:111], off
	global_load_b128 v[114:117], v[114:115], off
	global_load_b128 v[118:121], v[118:119], off
	v_bfi_b32 v0, 0x7fffffff, v104, v41
	v_bfi_b32 v1, 0x7fffffff, v105, v42
	v_dual_max_num_f32 v2, v2, v2 :: v_dual_max_num_f32 v93, v93, v93
	s_or_b32 s40, s24, 32
	s_delay_alu instid0(VALU_DEP_2)
	v_fmac_f32_e32 v103, s11, v1
	v_fmac_f32_e32 v101, s11, v0
	v_dual_max_num_f32 v1, v44, v44 :: v_dual_max_num_f32 v44, v99, v99
	s_wait_alu 0xfffe
	s_ashr_i32 s41, s40, 31
	v_add_f32_e32 v42, 0x40051340, v103
	v_dual_max_num_f32 v0, v96, v96 :: v_dual_add_f32 v41, 0x40051340, v101
	v_max_num_f32_e32 v43, v43, v43
	v_add_nc_u32_e32 v96, v79, v38
	s_wait_alu 0xfffe
	s_mul_u64 s[40:41], s[40:41], s[14:15]
	v_max_num_f32_e32 v0, v2, v0
	v_max3_num_f32 v41, v88, v41, v42
	v_dual_max_num_f32 v2, v43, v1 :: v_dual_max_num_f32 v1, v93, v44
	s_wait_alu 0xfffe
	s_lshl_b64 s[40:41], s[40:41], 2
	v_sub_f32_e32 v43, v89, v0
	ds_bpermute_b32 v42, v95, v41
	v_dual_sub_f32 v3, v3, v0 :: v_dual_sub_f32 v90, v90, v2
	v_sub_f32_e32 v89, v97, v1
	v_sub_f32_e32 v7, v7, v0
	v_dual_sub_f32 v44, v91, v1 :: v_dual_sub_f32 v93, v100, v2
	s_delay_alu instid0(VALU_DEP_3) | instskip(NEXT) | instid1(VALU_DEP_2)
	v_dual_mul_f32 v97, 0x3fb8aa3b, v3 :: v_dual_mul_f32 v100, 0x3fb8aa3b, v89
	v_dual_sub_f32 v91, v98, v1 :: v_dual_mul_f32 v104, 0x3fb8aa3b, v44
	s_delay_alu instid0(VALU_DEP_4) | instskip(NEXT) | instid1(VALU_DEP_3)
	v_dual_mul_f32 v98, 0x3fb8aa3b, v7 :: v_dual_sub_f32 v95, v102, v2
	v_fma_f32 v129, 0x3fb8aa3b, v89, -v100
	v_rndne_f32_e32 v130, v100
	s_delay_alu instid0(VALU_DEP_4) | instskip(NEXT) | instid1(VALU_DEP_4)
	v_dual_mul_f32 v102, 0x3fb8aa3b, v91 :: v_dual_mul_f32 v105, 0x3fb8aa3b, v93
	v_mul_f32_e32 v122, 0x3fb8aa3b, v95
	s_delay_alu instid0(VALU_DEP_3)
	v_dual_fmac_f32 v129, 0x32a5705f, v89 :: v_dual_sub_f32 v100, v100, v130
	s_wait_dscnt 0x0
	v_max_num_f32_e32 v42, v42, v42
	v_fma_f32 v124, 0x3fb8aa3b, v3, -v97
	v_rndne_f32_e32 v125, v97
	v_fma_f32 v126, 0x3fb8aa3b, v7, -v98
	v_rndne_f32_e32 v127, v98
	s_delay_alu instid0(VALU_DEP_4)
	v_dual_max_num_f32 v41, v41, v42 :: v_dual_fmac_f32 v124, 0x32a5705f, v3
	v_mul_f32_e32 v123, 0x3fb8aa3b, v90
	v_fma_f32 v131, 0x3fb8aa3b, v91, -v102
	v_rndne_f32_e32 v132, v102
	ds_bpermute_b32 v94, v94, v41
	v_mul_f32_e32 v99, 0x3fb8aa3b, v43
	v_dual_sub_f32 v97, v97, v125 :: v_dual_fmac_f32 v126, 0x32a5705f, v7
	v_rndne_f32_e32 v136, v105
	v_sub_f32_e32 v98, v98, v127
	v_fma_f32 v139, 0x3fb8aa3b, v90, -v123
	v_dual_add_f32 v100, v100, v129 :: v_dual_fmac_f32 v131, 0x32a5705f, v91
	v_sub_f32_e32 v102, v102, v132
	v_fma_f32 v135, 0x3fb8aa3b, v93, -v105
	v_dual_sub_f32 v105, v105, v136 :: v_dual_add_f32 v98, v98, v126
	s_delay_alu instid0(VALU_DEP_3)
	v_dual_fmac_f32 v139, 0x32a5705f, v90 :: v_dual_add_f32 v102, v102, v131
	v_fma_f32 v133, 0x3fb8aa3b, v44, -v104
	v_rndne_f32_e32 v134, v104
	v_cvt_i32_f32_e32 v125, v125
	v_exp_f32_e32 v98, v98
	v_exp_f32_e32 v102, v102
	s_wait_dscnt 0x0
	v_max_num_f32_e32 v94, v94, v94
	v_fma_f32 v128, 0x3fb8aa3b, v43, -v99
	v_rndne_f32_e32 v42, v99
	v_fma_f32 v137, 0x3fb8aa3b, v95, -v122
	v_rndne_f32_e32 v138, v122
	s_delay_alu instid0(VALU_DEP_4) | instskip(NEXT) | instid1(VALU_DEP_4)
	v_dual_max_num_f32 v41, v41, v94 :: v_dual_fmac_f32 v128, 0x32a5705f, v43
	v_sub_f32_e32 v99, v99, v42
	v_cvt_i32_f32_e32 v127, v127
	v_cvt_i32_f32_e32 v94, v132
	ds_bpermute_b32 v6, v6, v41
	v_add_f32_e32 v97, v97, v124
	v_dual_fmac_f32 v133, 0x32a5705f, v44 :: v_dual_sub_f32 v104, v104, v134
	v_dual_fmac_f32 v135, 0x32a5705f, v93 :: v_dual_sub_f32 v122, v122, v138
	v_cmp_ngt_f32_e32 vcc_lo, 0xc2ce8ed0, v3
	v_rndne_f32_e32 v140, v123
	v_cvt_i32_f32_e32 v42, v42
	v_dual_fmac_f32 v137, 0x32a5705f, v95 :: v_dual_add_f32 v104, v104, v133
	v_exp_f32_e32 v100, v100
	v_ldexp_f32 v98, v98, v127
	v_ldexp_f32 v94, v102, v94
	v_cvt_i32_f32_e32 v130, v130
	v_dual_sub_f32 v123, v123, v140 :: v_dual_add_f32 v122, v122, v137
	v_cvt_i32_f32_e32 v132, v134
	v_cvt_i32_f32_e32 v134, v136
	;; [unrolled: 1-line block ×3, first 2 shown]
	s_wait_dscnt 0x0
	v_max_num_f32_e32 v6, v6, v6
	v_exp_f32_e32 v97, v97
	v_add_f32_e32 v99, v99, v128
	v_cvt_i32_f32_e32 v138, v140
	s_wait_alu 0xfffe
	s_add_nc_u64 s[40:41], s[26:27], s[40:41]
	v_max_num_f32_e32 v6, v41, v6
	v_exp_f32_e32 v41, v104
	v_exp_f32_e32 v99, v99
	ds_bpermute_b32 v5, v5, v6
	v_ldexp_f32 v97, v97, v125
	s_wait_alu 0xfffd
	s_delay_alu instid0(VALU_DEP_1)
	v_cndmask_b32_e32 v97, 0, v97, vcc_lo
	v_cmp_ngt_f32_e32 vcc_lo, 0xc2ce8ed0, v7
	v_add_f32_e32 v105, v105, v135
	v_ldexp_f32 v42, v99, v42
	v_ldexp_f32 v99, v100, v130
	;; [unrolled: 1-line block ×3, first 2 shown]
	s_wait_alu 0xfffd
	v_cndmask_b32_e32 v98, 0, v98, vcc_lo
	v_exp_f32_e32 v104, v105
	v_cmp_ngt_f32_e32 vcc_lo, 0xc2ce8ed0, v43
	v_add_f32_e32 v123, v123, v139
	v_exp_f32_e32 v105, v122
	s_wait_alu 0xfffd
	v_cndmask_b32_e32 v42, 0, v42, vcc_lo
	v_cmp_ngt_f32_e32 vcc_lo, 0xc2ce8ed0, v89
	v_exp_f32_e32 v122, v123
	s_delay_alu instid0(TRANS32_DEP_3) | instskip(SKIP_3) | instid1(TRANS32_DEP_2)
	v_ldexp_f32 v100, v104, v134
	s_wait_alu 0xfffd
	v_cndmask_b32_e32 v99, 0, v99, vcc_lo
	v_cmp_ngt_f32_e32 vcc_lo, 0xc2ce8ed0, v91
	v_ldexp_f32 v102, v105, v136
	s_wait_alu 0xfffd
	v_cndmask_b32_e32 v94, 0, v94, vcc_lo
	v_cmp_ngt_f32_e32 vcc_lo, 0xc2ce8ed0, v44
	s_delay_alu instid0(TRANS32_DEP_1)
	v_ldexp_f32 v104, v122, v138
	s_wait_alu 0xfffd
	v_cndmask_b32_e32 v41, 0, v41, vcc_lo
	v_cmp_ngt_f32_e32 vcc_lo, 0xc2ce8ed0, v93
	s_wait_alu 0xfffd
	v_cndmask_b32_e32 v100, 0, v100, vcc_lo
	v_cmp_ngt_f32_e32 vcc_lo, 0xc2ce8ed0, v95
	s_wait_dscnt 0x0
	v_max_num_f32_e32 v5, v5, v5
	s_wait_alu 0xfffd
	s_delay_alu instid0(VALU_DEP_1)
	v_dual_max_num_f32 v5, v6, v5 :: v_dual_cndmask_b32 v6, 0, v102
	v_cmp_ngt_f32_e32 vcc_lo, 0xc2ce8ed0, v90
	s_wait_alu 0xfffd
	v_cndmask_b32_e32 v102, 0, v104, vcc_lo
	v_cmp_nlt_f32_e32 vcc_lo, 0x42b17218, v3
	s_wait_alu 0xfffd
	v_cndmask_b32_e32 v3, 0x7f800000, v97, vcc_lo
	v_cmp_nlt_f32_e32 vcc_lo, 0x42b17218, v7
	;; [unrolled: 3-line block ×4, first 2 shown]
	s_wait_alu 0xfffd
	v_cndmask_b32_e32 v42, 0x7f800000, v99, vcc_lo
	ds_bpermute_b32 v4, v4, v5
	v_cmp_nlt_f32_e32 vcc_lo, 0x42b17218, v91
	s_wait_alu 0xfffd
	v_cndmask_b32_e32 v89, 0x7f800000, v94, vcc_lo
	v_cmp_nlt_f32_e32 vcc_lo, 0x42b17218, v44
	s_wait_alu 0xfffd
	v_cndmask_b32_e32 v41, 0x7f800000, v41, vcc_lo
	v_cmp_nlt_f32_e32 vcc_lo, 0x42b17218, v93
	s_wait_dscnt 0x0
	v_max_num_f32_e32 v4, v4, v4
	s_wait_alu 0xfffd
	v_dual_add_f32 v44, v3, v7 :: v_dual_cndmask_b32 v91, 0x7f800000, v100
	v_cmp_nlt_f32_e32 vcc_lo, 0x42b17218, v95
	v_cvt_f16_f32_e32 v93, v3
	v_max_num_f32_e32 v3, v5, v4
	v_cvt_f16_f32_e32 v95, v42
	v_fmac_f32_e32 v44, v87, v97
	s_wait_alu 0xfffd
	v_cndmask_b32_e32 v6, 0x7f800000, v6, vcc_lo
	v_cmp_nlt_f32_e32 vcc_lo, 0x42b17218, v90
	v_sub_f32_e32 v98, v101, v3
	v_dual_sub_f32 v88, v88, v3 :: v_dual_add_f32 v43, v42, v89
	v_cvt_f16_f32_e32 v5, v89
	s_wait_alu 0xfffd
	v_cndmask_b32_e32 v90, 0x7f800000, v102, vcc_lo
	v_cvt_f16_f32_e32 v89, v91
	v_add_f32_e32 v42, v91, v6
	v_sub_f32_e32 v91, v103, v3
	v_cvt_f16_f32_e32 v99, v6
	v_mul_f32_e32 v6, 0x3fb8aa3b, v98
	v_cvt_f16_f32_e32 v94, v97
	v_cvt_f16_f32_e32 v4, v41
	;; [unrolled: 1-line block ×3, first 2 shown]
	v_fmac_f32_e32 v43, v86, v41
	v_fma_f32 v97, 0x3fb8aa3b, v98, -v6
	v_rndne_f32_e32 v102, v6
	v_mul_f32_e32 v101, 0x3fb8aa3b, v91
	v_and_b32_e32 v94, 0xffff, v94
	v_fmac_f32_e32 v42, v85, v90
	v_fmac_f32_e32 v97, 0x32a5705f, v98
	v_dual_sub_f32 v6, v6, v102 :: v_dual_mul_f32 v87, 0x3fb8aa3b, v88
	v_fma_f32 v103, 0x3fb8aa3b, v91, -v101
	v_rndne_f32_e32 v104, v101
	v_cvt_f16_f32_e32 v7, v7
	s_delay_alu instid0(VALU_DEP_4)
	v_add_f32_e32 v6, v6, v97
	v_fma_f32 v105, 0x3fb8aa3b, v88, -v87
	v_rndne_f32_e32 v122, v87
	v_fmac_f32_e32 v103, 0x32a5705f, v91
	v_sub_f32_e32 v101, v101, v104
	v_exp_f32_e32 v97, v6
	v_fmac_f32_e32 v105, 0x32a5705f, v88
	v_sub_f32_e32 v87, v87, v122
	v_cvt_i32_f32_e32 v90, v102
	v_add_f32_e32 v41, v101, v103
	v_pack_b32_f16 v6, v7, v5
	v_cmp_ngt_f32_e32 vcc_lo, 0xc2ce8ed0, v98
	v_dual_add_f32 v86, v87, v105 :: v_dual_and_b32 v87, 0xffff, v4
	s_delay_alu instid0(VALU_DEP_4) | instskip(SKIP_2) | instid1(VALU_DEP_3)
	v_exp_f32_e32 v41, v41
	v_pack_b32_f16 v4, v93, v95
	v_cvt_i32_f32_e32 v93, v104
	v_exp_f32_e32 v85, v86
	v_ldexp_f32 v5, v97, v90
	v_cvt_i32_f32_e32 v95, v122
	v_mul_u32_u24_e32 v122, 0x10001, v87
	v_and_b32_e32 v86, 0xffff, v100
	v_mul_u32_u24_e32 v105, 0x10001, v94
	s_wait_alu 0xfffd
	v_cndmask_b32_e32 v5, 0, v5, vcc_lo
	v_ldexp_f32 v7, v41, v93
	v_cmp_ngt_f32_e32 vcc_lo, 0xc2ce8ed0, v91
	v_pk_mul_f16 v125, v61, v122
	v_ldexp_f32 v41, v85, v95
	v_mul_u32_u24_e32 v123, 0x10001, v86
	v_pk_mul_f16 v124, v62, v105
	s_wait_alu 0xfffd
	v_cndmask_b32_e32 v7, 0, v7, vcc_lo
	v_cmp_ngt_f32_e32 vcc_lo, 0xc2ce8ed0, v88
	v_pk_mul_f16 v64, v64, v105
	v_pk_mul_f16 v63, v63, v105
	;; [unrolled: 1-line block ×3, first 2 shown]
	s_wait_alu 0xfffd
	v_cndmask_b32_e32 v41, 0, v41, vcc_lo
	v_cmp_nlt_f32_e32 vcc_lo, 0x42b17218, v98
	s_wait_alu 0xfffd
	v_cndmask_b32_e32 v85, 0x7f800000, v5, vcc_lo
	v_cmp_nlt_f32_e32 vcc_lo, 0x42b17218, v91
	s_delay_alu instid0(VALU_DEP_2) | instskip(SKIP_3) | instid1(VALU_DEP_3)
	v_cvt_f16_f32_e32 v5, v85
	s_wait_alu 0xfffd
	v_cndmask_b32_e32 v90, 0x7f800000, v7, vcc_lo
	v_cmp_nlt_f32_e32 vcc_lo, 0x42b17218, v88
	v_pack_b32_f16 v5, v89, v5
	s_delay_alu instid0(VALU_DEP_3) | instskip(SKIP_2) | instid1(VALU_DEP_2)
	v_cvt_f16_f32_e32 v7, v90
	s_wait_alu 0xfffd
	v_cndmask_b32_e32 v87, 0x7f800000, v41, vcc_lo
	v_pack_b32_f16 v7, v99, v7
	s_delay_alu instid0(VALU_DEP_2)
	v_cvt_f16_f32_e32 v41, v87
	ds_store_2addr_b64 v96, v[4:5], v[6:7] offset1:32
	s_wait_loadcnt 0x3
	ds_store_b128 v77, v[106:109]
	s_wait_loadcnt 0x2
	ds_store_b128 v80, v[110:113]
	;; [unrolled: 2-line block ×4, first 2 shown]
	s_wait_dscnt 0x0
	s_barrier_signal -1
	s_barrier_wait -1
	global_inv scope:SCOPE_SE
	ds_load_b128 v[4:7], v79
	v_and_b32_e32 v61, 0xffff, v41
	v_add_f32_e32 v41, v85, v90
	v_pk_mul_f16 v106, v59, v122
	v_pk_mul_f16 v107, v60, v122
	;; [unrolled: 1-line block ×3, first 2 shown]
	v_mul_u32_u24_e32 v85, 0x10001, v61
	v_pk_mul_f16 v109, v52, v123
	ds_load_b128 v[59:62], v79 offset:16
	v_fmac_f32_e32 v41, v84, v87
	v_pk_mul_f16 v110, v53, v85
	v_pk_mul_f16 v54, v54, v85
	;; [unrolled: 1-line block ×4, first 2 shown]
	ds_load_2addr_b64 v[50:53], v38 offset1:32
	ds_load_b128 v[84:87], v79 offset:32
	ds_load_b128 v[88:91], v79 offset:48
	ds_load_2addr_b64 v[93:96], v38 offset0:64 offset1:96
	ds_load_2addr_b64 v[97:100], v38 offset0:128 offset1:160
	ds_load_2addr_b64 v[101:104], v38 offset0:192 offset1:224
	s_wait_dscnt 0x7
	v_lshrrev_b32_e32 v112, 16, v4
	v_lshrrev_b32_e32 v113, 16, v5
	v_and_b32_e32 v4, 0xffff, v4
	v_and_b32_e32 v5, 0xffff, v5
	v_lshrrev_b32_e32 v114, 16, v6
	v_mul_u32_u24_e32 v112, 0x10001, v112
	v_lshrrev_b32_e32 v115, 16, v7
	v_mul_u32_u24_e32 v4, 0x10001, v4
	v_mul_u32_u24_e32 v5, 0x10001, v5
	v_and_b32_e32 v6, 0xffff, v6
	v_and_b32_e32 v7, 0xffff, v7
	v_mul_u32_u24_e32 v113, 0x10001, v113
	s_wait_dscnt 0x5
	v_pk_mul_f16 v120, v50, v4
	v_pk_mul_f16 v121, v50, v112
	;; [unrolled: 1-line block ×3, first 2 shown]
	v_lshrrev_b32_e32 v116, 16, v59
	v_lshrrev_b32_e32 v117, 16, v60
	v_and_b32_e32 v59, 0xffff, v59
	v_and_b32_e32 v60, 0xffff, v60
	v_mul_u32_u24_e32 v6, 0x10001, v6
	v_mul_u32_u24_e32 v114, 0x10001, v114
	;; [unrolled: 1-line block ×4, first 2 shown]
	v_pk_fma_f16 v50, v50, v113, v110
	v_pk_fma_f16 v64, v51, v4, v64
	;; [unrolled: 1-line block ×15, first 2 shown]
	v_lshrrev_b32_e32 v118, 16, v61
	v_lshrrev_b32_e32 v119, 16, v62
	v_and_b32_e32 v61, 0xffff, v61
	v_and_b32_e32 v62, 0xffff, v62
	v_mul_u32_u24_e32 v59, 0x10001, v59
	v_mul_u32_u24_e32 v116, 0x10001, v116
	;; [unrolled: 1-line block ×4, first 2 shown]
	s_wait_dscnt 0x2
	v_pk_fma_f16 v50, v93, v115, v50
	v_pk_fma_f16 v56, v94, v6, v64
	;; [unrolled: 1-line block ×13, first 2 shown]
	v_mul_u32_u24_e32 v61, 0x10001, v61
	v_mul_u32_u24_e32 v118, 0x10001, v118
	;; [unrolled: 1-line block ×3, first 2 shown]
	v_pk_fma_f16 v52, v52, v113, v111
	s_wait_dscnt 0x1
	v_pk_fma_f16 v47, v97, v117, v50
	v_pk_fma_f16 v50, v98, v59, v56
	;; [unrolled: 1-line block ×11, first 2 shown]
	v_add_nc_u32_e32 v51, 0x800, v38
	v_pk_fma_f16 v52, v95, v115, v52
	v_pk_fma_f16 v55, v98, v60, v55
	;; [unrolled: 1-line block ×3, first 2 shown]
	s_wait_dscnt 0x0
	v_pk_fma_f16 v49, v101, v61, v4
	v_pk_fma_f16 v60, v101, v118, v5
	;; [unrolled: 1-line block ×3, first 2 shown]
	ds_load_2addr_b64 v[4:7], v51 offset1:32
	v_mul_u32_u24_e32 v119, 0x10001, v119
	v_pk_fma_f16 v63, v96, v114, v63
	v_pk_fma_f16 v48, v96, v115, v48
	;; [unrolled: 1-line block ×5, first 2 shown]
	v_and_b32_e32 v94, 0xffff, v84
	v_lshrrev_b32_e32 v84, 16, v84
	v_and_b32_e32 v96, 0xffff, v85
	v_lshrrev_b32_e32 v85, 16, v85
	v_pk_fma_f16 v48, v100, v117, v48
	v_pk_fma_f16 v47, v101, v119, v47
	;; [unrolled: 1-line block ×5, first 2 shown]
	v_mul_u32_u24_e32 v62, 0x10001, v94
	v_mul_u32_u24_e32 v84, 0x10001, v84
	;; [unrolled: 1-line block ×4, first 2 shown]
	v_pk_fma_f16 v52, v99, v117, v52
	v_pk_fma_f16 v63, v100, v116, v63
	;; [unrolled: 1-line block ×3, first 2 shown]
	s_wait_dscnt 0x0
	v_pk_fma_f16 v97, v4, v62, v49
	v_pk_fma_f16 v60, v4, v84, v60
	v_pk_fma_f16 v95, v4, v94, v95
	v_pk_fma_f16 v4, v4, v85, v47
	v_pk_fma_f16 v98, v5, v62, v50
	ds_load_2addr_b64 v[47:50], v51 offset0:64 offset1:96
	v_pk_fma_f16 v53, v102, v118, v53
	v_pk_fma_f16 v56, v102, v119, v56
	;; [unrolled: 1-line block ×14, first 2 shown]
	v_and_b32_e32 v5, 0xffff, v86
	v_lshrrev_b32_e32 v6, 16, v86
	v_and_b32_e32 v63, 0xffff, v87
	v_lshrrev_b32_e32 v84, 16, v87
	v_pk_fma_f16 v59, v7, v94, v59
	v_mul_u32_u24_e32 v86, 0x10001, v5
	v_mul_u32_u24_e32 v87, 0x10001, v6
	;; [unrolled: 1-line block ×4, first 2 shown]
	v_pk_fma_f16 v85, v7, v85, v96
	s_wait_dscnt 0x0
	v_pk_fma_f16 v94, v47, v86, v97
	v_pk_fma_f16 v60, v47, v87, v60
	;; [unrolled: 1-line block ×4, first 2 shown]
	ds_load_2addr_b64 v[4:7], v51 offset0:128 offset1:160
	v_pk_fma_f16 v96, v48, v86, v98
	v_pk_fma_f16 v53, v48, v87, v53
	;; [unrolled: 1-line block ×8, first 2 shown]
	v_and_b32_e32 v52, 0xffff, v88
	v_lshrrev_b32_e32 v54, 16, v88
	v_pk_fma_f16 v61, v50, v86, v61
	v_pk_fma_f16 v62, v50, v87, v62
	v_and_b32_e32 v55, 0xffff, v89
	v_lshrrev_b32_e32 v86, 16, v89
	v_pk_fma_f16 v59, v50, v63, v59
	v_mul_u32_u24_e32 v63, 0x10001, v52
	v_mul_u32_u24_e32 v87, 0x10001, v54
	;; [unrolled: 1-line block ×4, first 2 shown]
	v_pk_fma_f16 v50, v50, v84, v85
	s_wait_dscnt 0x0
	v_pk_fma_f16 v84, v4, v63, v94
	v_pk_fma_f16 v94, v5, v87, v53
	ds_load_2addr_b64 v[52:55], v51 offset0:192 offset1:224
	v_pk_fma_f16 v60, v4, v87, v60
	v_pk_fma_f16 v85, v4, v88, v95
	;; [unrolled: 1-line block ×6, first 2 shown]
	v_and_b32_e32 v4, 0xffff, v90
	v_lshrrev_b32_e32 v5, 16, v90
	v_pk_fma_f16 v56, v6, v63, v56
	v_pk_fma_f16 v64, v6, v87, v64
	;; [unrolled: 1-line block ×8, first 2 shown]
	v_and_b32_e32 v48, 0xffff, v91
	v_mul_u32_u24_e32 v86, 0x10001, v4
	v_mul_u32_u24_e32 v90, 0x10001, v5
	ds_load_b128 v[4:7], v79 offset:64
	v_lshrrev_b32_e32 v59, 16, v91
	v_mul_u32_u24_e32 v91, 0x10001, v48
	v_add_nc_u32_e32 v48, 0x1000, v38
	s_wait_dscnt 0x1
	v_pk_fma_f16 v99, v52, v90, v60
	v_pk_fma_f16 v98, v52, v86, v84
	v_mul_u32_u24_e32 v97, 0x10001, v59
	v_pk_fma_f16 v100, v52, v91, v85
	ds_load_2addr_b64 v[59:62], v48 offset1:32
	v_pk_fma_f16 v56, v54, v86, v56
	v_pk_fma_f16 v64, v54, v90, v64
	;; [unrolled: 1-line block ×11, first 2 shown]
	ds_load_b128 v[84:87], v79 offset:80
	s_wait_dscnt 0x2
	v_and_b32_e32 v53, 0xffff, v4
	v_lshrrev_b32_e32 v4, 16, v4
	v_and_b32_e32 v54, 0xffff, v5
	v_lshrrev_b32_e32 v5, 16, v5
	v_pk_fma_f16 v88, v55, v91, v88
	v_mul_u32_u24_e32 v91, 0x10001, v53
	v_mul_u32_u24_e32 v4, 0x10001, v4
	;; [unrolled: 1-line block ×4, first 2 shown]
	v_pk_fma_f16 v50, v55, v97, v50
	s_wait_dscnt 0x1
	v_pk_fma_f16 v97, v59, v91, v98
	v_pk_fma_f16 v98, v59, v4, v99
	;; [unrolled: 1-line block ×5, first 2 shown]
	ds_load_2addr_b64 v[52:55], v48 offset0:64 offset1:96
	v_pk_fma_f16 v89, v60, v4, v89
	v_pk_fma_f16 v56, v61, v91, v56
	;; [unrolled: 1-line block ×7, first 2 shown]
	v_and_b32_e32 v4, 0xffff, v6
	v_lshrrev_b32_e32 v6, 16, v6
	v_and_b32_e32 v90, 0xffff, v7
	v_lshrrev_b32_e32 v7, 16, v7
	v_pk_fma_f16 v94, v60, v96, v94
	v_pk_fma_f16 v60, v60, v5, v95
	;; [unrolled: 1-line block ×3, first 2 shown]
	v_mul_u32_u24_e32 v91, 0x10001, v4
	v_mul_u32_u24_e32 v95, 0x10001, v6
	;; [unrolled: 1-line block ×3, first 2 shown]
	v_pk_fma_f16 v50, v62, v5, v50
	ds_load_2addr_b64 v[4:7], v48 offset0:128 offset1:160
	v_mul_u32_u24_e32 v90, 0x10001, v90
	s_wait_dscnt 0x1
	v_pk_fma_f16 v62, v52, v91, v97
	v_pk_fma_f16 v97, v52, v95, v98
	;; [unrolled: 1-line block ×8, first 2 shown]
	v_and_b32_e32 v53, 0xffff, v84
	v_pk_fma_f16 v56, v54, v91, v56
	v_pk_fma_f16 v64, v54, v95, v64
	;; [unrolled: 1-line block ×4, first 2 shown]
	v_lshrrev_b32_e32 v54, 16, v84
	v_and_b32_e32 v84, 0xffff, v85
	v_lshrrev_b32_e32 v85, 16, v85
	v_pk_fma_f16 v88, v55, v90, v88
	v_mul_u32_u24_e32 v90, 0x10001, v53
	v_pk_fma_f16 v61, v55, v91, v61
	v_pk_fma_f16 v63, v55, v95, v63
	v_mul_u32_u24_e32 v91, 0x10001, v54
	v_mul_u32_u24_e32 v84, 0x10001, v84
	;; [unrolled: 1-line block ×3, first 2 shown]
	v_pk_fma_f16 v50, v55, v96, v50
	s_wait_dscnt 0x0
	v_pk_fma_f16 v96, v5, v90, v52
	ds_load_2addr_b64 v[52:55], v48 offset0:192 offset1:224
	v_pk_fma_f16 v62, v4, v90, v62
	v_pk_fma_f16 v94, v4, v91, v97
	;; [unrolled: 1-line block ×7, first 2 shown]
	v_and_b32_e32 v4, 0xffff, v86
	v_lshrrev_b32_e32 v5, 16, v86
	v_pk_fma_f16 v56, v6, v90, v56
	v_pk_fma_f16 v64, v6, v91, v64
	;; [unrolled: 1-line block ×8, first 2 shown]
	v_and_b32_e32 v49, 0xffff, v87
	v_lshrrev_b32_e32 v60, 16, v87
	v_mul_u32_u24_e32 v84, 0x10001, v4
	v_mul_u32_u24_e32 v85, 0x10001, v5
	ds_load_b128 v[4:7], v79 offset:96
	v_mul_u32_u24_e32 v91, 0x10001, v49
	v_mul_u32_u24_e32 v99, 0x10001, v60
	v_add_nc_u32_e32 v49, 0x1800, v38
	s_wait_dscnt 0x1
	v_pk_fma_f16 v100, v52, v84, v62
	v_pk_fma_f16 v94, v52, v85, v94
	;; [unrolled: 1-line block ×6, first 2 shown]
	ds_load_2addr_b64 v[59:62], v49 offset1:32
	v_pk_fma_f16 v89, v53, v91, v89
	v_pk_fma_f16 v97, v53, v99, v97
	;; [unrolled: 1-line block ×8, first 2 shown]
	ds_load_b128 v[84:87], v79 offset:112
	s_wait_dscnt 0x2
	v_and_b32_e32 v53, 0xffff, v4
	v_lshrrev_b32_e32 v4, 16, v4
	v_and_b32_e32 v54, 0xffff, v5
	v_lshrrev_b32_e32 v5, 16, v5
	v_pk_fma_f16 v88, v55, v91, v88
	v_mul_u32_u24_e32 v91, 0x10001, v53
	v_mul_u32_u24_e32 v4, 0x10001, v4
	;; [unrolled: 1-line block ×4, first 2 shown]
	v_pk_fma_f16 v50, v55, v99, v50
	s_wait_dscnt 0x1
	v_pk_fma_f16 v99, v59, v91, v100
	v_pk_fma_f16 v94, v59, v4, v94
	;; [unrolled: 1-line block ×5, first 2 shown]
	ds_load_2addr_b64 v[52:55], v49 offset0:64 offset1:96
	v_pk_fma_f16 v96, v60, v4, v96
	v_pk_fma_f16 v56, v61, v91, v56
	;; [unrolled: 1-line block ×5, first 2 shown]
	v_and_b32_e32 v4, 0xffff, v6
	v_lshrrev_b32_e32 v6, 16, v6
	v_and_b32_e32 v91, 0xffff, v7
	v_lshrrev_b32_e32 v7, 16, v7
	v_pk_fma_f16 v89, v60, v101, v89
	v_pk_fma_f16 v60, v60, v5, v97
	;; [unrolled: 1-line block ×4, first 2 shown]
	v_mul_u32_u24_e32 v97, 0x10001, v4
	v_mul_u32_u24_e32 v98, 0x10001, v6
	;; [unrolled: 1-line block ×3, first 2 shown]
	v_pk_fma_f16 v50, v62, v5, v50
	ds_load_2addr_b64 v[4:7], v49 offset0:128 offset1:160
	v_mul_u32_u24_e32 v91, 0x10001, v91
	v_pk_fma_f16 v88, v62, v101, v88
	s_wait_dscnt 0x1
	v_pk_fma_f16 v62, v52, v97, v99
	v_pk_fma_f16 v94, v52, v98, v94
	;; [unrolled: 1-line block ×12, first 2 shown]
	v_and_b32_e32 v53, 0xffff, v84
	v_lshrrev_b32_e32 v54, 16, v84
	v_and_b32_e32 v84, 0xffff, v85
	v_lshrrev_b32_e32 v85, 16, v85
	v_pk_fma_f16 v88, v55, v91, v88
	v_mul_u32_u24_e32 v91, 0x10001, v53
	v_mul_u32_u24_e32 v96, 0x10001, v54
	v_mul_u32_u24_e32 v84, 0x10001, v84
	v_mul_u32_u24_e32 v85, 0x10001, v85
	v_pk_fma_f16 v90, v55, v97, v90
	v_pk_fma_f16 v63, v55, v98, v63
	;; [unrolled: 1-line block ×3, first 2 shown]
	s_wait_dscnt 0x0
	v_pk_fma_f16 v97, v4, v91, v62
	v_pk_fma_f16 v94, v4, v96, v94
	;; [unrolled: 1-line block ×8, first 2 shown]
	v_and_b32_e32 v59, 0xffff, v86
	v_lshrrev_b32_e32 v60, 16, v86
	ds_load_2addr_b64 v[52:55], v49 offset0:192 offset1:224
	v_pk_fma_f16 v56, v6, v91, v56
	v_pk_fma_f16 v64, v6, v96, v64
	;; [unrolled: 1-line block ×7, first 2 shown]
	v_lshrrev_b32_e32 v50, 16, v87
	v_mul_u32_u24_e32 v96, 0x10001, v59
	v_mul_u32_u24_e32 v99, 0x10001, v60
	ds_load_b128 v[59:62], v79 offset:128
	v_pk_fma_f16 v88, v7, v84, v88
	v_mul_u32_u24_e32 v101, 0x10001, v50
	v_add_nc_u32_e32 v50, 0x2000, v38
	v_and_b32_e32 v7, 0xffff, v87
	ds_load_2addr_b64 v[84:87], v50 offset1:32
	v_mul_u32_u24_e32 v100, 0x10001, v7
	s_wait_dscnt 0x2
	v_pk_fma_f16 v97, v52, v96, v97
	v_pk_fma_f16 v94, v52, v99, v94
	;; [unrolled: 1-line block ×12, first 2 shown]
	ds_load_b128 v[4:7], v79 offset:144
	s_wait_dscnt 0x2
	v_and_b32_e32 v53, 0xffff, v59
	v_lshrrev_b32_e32 v54, 16, v59
	v_and_b32_e32 v59, 0xffff, v60
	v_lshrrev_b32_e32 v60, 16, v60
	v_pk_fma_f16 v90, v55, v96, v90
	v_pk_fma_f16 v63, v55, v99, v63
	v_mul_u32_u24_e32 v96, 0x10001, v53
	v_mul_u32_u24_e32 v99, 0x10001, v54
	;; [unrolled: 1-line block ×4, first 2 shown]
	v_pk_fma_f16 v88, v55, v100, v88
	v_pk_fma_f16 v91, v55, v101, v91
	s_wait_dscnt 0x1
	v_pk_fma_f16 v97, v84, v96, v97
	v_pk_fma_f16 v94, v84, v99, v94
	v_pk_fma_f16 v95, v84, v59, v95
	v_pk_fma_f16 v84, v84, v60, v52
	ds_load_2addr_b64 v[52:55], v50 offset0:64 offset1:96
	v_pk_fma_f16 v47, v85, v96, v47
	v_pk_fma_f16 v98, v85, v99, v98
	;; [unrolled: 1-line block ×6, first 2 shown]
	v_and_b32_e32 v96, 0xffff, v61
	v_lshrrev_b32_e32 v61, 16, v61
	v_and_b32_e32 v99, 0xffff, v62
	v_lshrrev_b32_e32 v62, 16, v62
	v_pk_fma_f16 v89, v85, v59, v89
	v_pk_fma_f16 v93, v86, v59, v93
	;; [unrolled: 1-line block ×3, first 2 shown]
	v_mul_u32_u24_e32 v59, 0x10001, v96
	v_mul_u32_u24_e32 v61, 0x10001, v61
	;; [unrolled: 1-line block ×4, first 2 shown]
	v_pk_fma_f16 v85, v85, v60, v102
	v_pk_fma_f16 v86, v86, v60, v103
	s_wait_dscnt 0x0
	v_pk_fma_f16 v181, v52, v59, v97
	v_pk_fma_f16 v182, v52, v61, v94
	;; [unrolled: 1-line block ×4, first 2 shown]
	s_wait_alu 0xfffe
	v_add_co_u32 v52, vcc_lo, s40, v18
	v_pk_fma_f16 v185, v53, v59, v47
	v_pk_fma_f16 v186, v53, v61, v98
	;; [unrolled: 1-line block ×5, first 2 shown]
	s_wait_alu 0xfffd
	v_add_co_ci_u32_e64 v53, null, s41, v19, vcc_lo
	v_add_co_u32 v63, vcc_lo, s40, v20
	v_pk_fma_f16 v189, v54, v61, v64
	s_wait_alu 0xfffd
	v_add_co_ci_u32_e64 v64, null, s41, v21, vcc_lo
	v_add_co_u32 v52, vcc_lo, v52, v92
	s_wait_alu 0xfffd
	v_add_co_ci_u32_e64 v53, null, 0, v53, vcc_lo
	v_add_co_u32 v63, vcc_lo, v63, v92
	;; [unrolled: 3-line block ×5, first 2 shown]
	v_lshrrev_b32_e32 v193, 16, v4
	v_add_nc_u32_e32 v47, 0x2800, v38
	v_lshrrev_b32_e32 v194, 16, v5
	v_and_b32_e32 v195, 0xffff, v4
	v_and_b32_e32 v196, 0xffff, v5
	v_add_nc_u32_e32 v5, 0x3000, v38
	v_add_nc_u32_e32 v4, 0x3800, v38
	s_wait_alu 0xfffd
	v_add_co_ci_u32_e64 v170, null, 0, v162, vcc_lo
	v_add_co_u32 v173, vcc_lo, v163, v92
	s_wait_alu 0xfffd
	v_add_co_ci_u32_e64 v174, null, 0, v164, vcc_lo
	v_pk_fma_f16 v180, v87, v60, v91
	v_pk_fma_f16 v56, v54, v59, v56
	;; [unrolled: 1-line block ×5, first 2 shown]
	ds_load_2addr_b64 v[59:62], v50 offset0:128 offset1:160
	ds_load_2addr_b64 v[84:87], v50 offset0:192 offset1:224
	ds_load_2addr_b64 v[88:91], v47 offset1:32
	ds_load_2addr_b64 v[93:96], v47 offset0:64 offset1:96
	ds_load_2addr_b64 v[97:100], v47 offset0:128 offset1:160
	ds_load_b128 v[101:104], v79 offset:160
	ds_load_b128 v[105:108], v79 offset:176
	ds_load_2addr_b64 v[109:112], v47 offset0:192 offset1:224
	ds_load_2addr_b64 v[113:116], v5 offset1:32
	ds_load_2addr_b64 v[117:120], v5 offset0:64 offset1:96
	ds_load_2addr_b64 v[121:124], v5 offset0:128 offset1:160
	ds_load_b128 v[125:128], v79 offset:192
	ds_load_b128 v[129:132], v79 offset:208
	;; [unrolled: 6-line block ×3, first 2 shown]
	ds_load_2addr_b64 v[157:160], v4 offset0:192 offset1:224
	s_wait_loadcnt_dscnt 0x0
	s_barrier_signal -1
	s_barrier_wait -1
	global_inv scope:SCOPE_SE
	s_clause 0x3
	global_load_b128 v[161:164], v[52:53], off
	global_load_b128 v[165:168], v[63:64], off
	;; [unrolled: 1-line block ×4, first 2 shown]
	v_mul_u32_u24_e32 v53, 0x10001, v195
	v_mul_u32_u24_e32 v63, 0x10001, v193
	;; [unrolled: 1-line block ×4, first 2 shown]
	v_pk_fma_f16 v52, v55, v178, v177
	v_pk_fma_f16 v55, v55, v179, v180
	s_wait_loadcnt 0x3
	ds_store_b128 v77, v[161:164]
	s_wait_loadcnt 0x2
	ds_store_b128 v80, v[165:168]
	;; [unrolled: 2-line block ×4, first 2 shown]
	v_pk_fma_f16 v177, v59, v53, v181
	v_pk_fma_f16 v178, v59, v63, v182
	;; [unrolled: 1-line block ×11, first 2 shown]
	v_and_b32_e32 v63, 0xffff, v6
	v_lshrrev_b32_e32 v6, 16, v6
	v_and_b32_e32 v185, 0xffff, v7
	v_lshrrev_b32_e32 v7, 16, v7
	v_pk_fma_f16 v182, v60, v64, v187
	v_pk_fma_f16 v60, v60, v92, v188
	v_pk_fma_f16 v52, v62, v64, v52
	v_mul_u32_u24_e32 v63, 0x10001, v63
	v_mul_u32_u24_e32 v6, 0x10001, v6
	;; [unrolled: 1-line block ×4, first 2 shown]
	v_pk_fma_f16 v53, v62, v53, v191
	v_pk_fma_f16 v55, v62, v92, v55
	;; [unrolled: 1-line block ×12, first 2 shown]
	v_and_b32_e32 v61, 0xffff, v101
	v_pk_fma_f16 v56, v86, v63, v56
	v_pk_fma_f16 v180, v86, v64, v184
	;; [unrolled: 1-line block ×4, first 2 shown]
	v_lshrrev_b32_e32 v63, 16, v101
	v_and_b32_e32 v86, 0xffff, v102
	v_lshrrev_b32_e32 v101, 16, v102
	v_mul_u32_u24_e32 v61, 0x10001, v61
	v_pk_fma_f16 v52, v87, v64, v52
	v_mul_u32_u24_e32 v63, 0x10001, v63
	v_mul_u32_u24_e32 v64, 0x10001, v86
	;; [unrolled: 1-line block ×3, first 2 shown]
	v_pk_fma_f16 v7, v87, v7, v55
	v_pk_fma_f16 v55, v88, v61, v62
	;; [unrolled: 1-line block ×5, first 2 shown]
	v_and_b32_e32 v61, 0xffff, v103
	v_pk_fma_f16 v62, v88, v63, v92
	v_pk_fma_f16 v87, v88, v64, v177
	;; [unrolled: 1-line block ×10, first 2 shown]
	v_lshrrev_b32_e32 v63, 16, v103
	v_and_b32_e32 v90, 0xffff, v104
	v_mul_u32_u24_e32 v61, 0x10001, v61
	v_pk_fma_f16 v52, v91, v64, v52
	v_pk_fma_f16 v7, v91, v86, v7
	v_mul_u32_u24_e32 v63, 0x10001, v63
	v_mul_u32_u24_e32 v64, 0x10001, v90
	v_pk_fma_f16 v55, v93, v61, v55
	v_pk_fma_f16 v84, v94, v61, v84
	;; [unrolled: 1-line block ×4, first 2 shown]
	v_and_b32_e32 v61, 0xffff, v105
	v_pk_fma_f16 v62, v93, v63, v62
	v_pk_fma_f16 v86, v93, v64, v87
	;; [unrolled: 1-line block ×5, first 2 shown]
	v_lshrrev_b32_e32 v63, 16, v105
	v_mul_u32_u24_e32 v61, 0x10001, v61
	v_lshrrev_b32_e32 v101, 16, v104
	v_pk_fma_f16 v88, v94, v64, v92
	v_and_b32_e32 v91, 0xffff, v106
	v_mul_u32_u24_e32 v63, 0x10001, v63
	v_pk_fma_f16 v55, v97, v61, v55
	v_pk_fma_f16 v84, v98, v61, v84
	v_pk_fma_f16 v56, v99, v61, v56
	v_pk_fma_f16 v53, v100, v61, v53
	v_and_b32_e32 v61, 0xffff, v107
	v_pk_fma_f16 v62, v97, v63, v62
	v_pk_fma_f16 v87, v98, v63, v87
	;; [unrolled: 1-line block ×4, first 2 shown]
	v_lshrrev_b32_e32 v63, 16, v107
	v_mul_u32_u24_e32 v61, 0x10001, v61
	v_mul_u32_u24_e32 v90, 0x10001, v101
	v_lshrrev_b32_e32 v92, 16, v106
	v_pk_fma_f16 v89, v95, v64, v89
	v_mul_u32_u24_e32 v63, 0x10001, v63
	v_pk_fma_f16 v55, v109, v61, v55
	v_pk_fma_f16 v84, v110, v61, v84
	;; [unrolled: 1-line block ×4, first 2 shown]
	v_and_b32_e32 v61, 0xffff, v125
	v_pk_fma_f16 v62, v109, v63, v62
	v_pk_fma_f16 v87, v110, v63, v87
	;; [unrolled: 1-line block ×4, first 2 shown]
	v_lshrrev_b32_e32 v63, 16, v125
	v_mul_u32_u24_e32 v61, 0x10001, v61
	v_pk_fma_f16 v59, v93, v90, v59
	v_pk_fma_f16 v60, v94, v90, v60
	;; [unrolled: 1-line block ×3, first 2 shown]
	v_mul_u32_u24_e32 v63, 0x10001, v63
	v_pk_fma_f16 v55, v113, v61, v55
	v_pk_fma_f16 v84, v114, v61, v84
	;; [unrolled: 1-line block ×4, first 2 shown]
	v_and_b32_e32 v61, 0xffff, v127
	v_pk_fma_f16 v62, v113, v63, v62
	v_pk_fma_f16 v87, v114, v63, v87
	;; [unrolled: 1-line block ×4, first 2 shown]
	v_lshrrev_b32_e32 v63, 16, v127
	v_mul_u32_u24_e32 v61, 0x10001, v61
	v_pk_fma_f16 v52, v96, v64, v52
	v_mul_u32_u24_e32 v64, 0x10001, v91
	v_mul_u32_u24_e32 v91, 0x10001, v92
	;; [unrolled: 1-line block ×3, first 2 shown]
	v_pk_fma_f16 v55, v117, v61, v55
	v_pk_fma_f16 v84, v118, v61, v84
	;; [unrolled: 1-line block ×4, first 2 shown]
	v_and_b32_e32 v61, 0xffff, v129
	v_pk_fma_f16 v7, v96, v90, v7
	v_and_b32_e32 v90, 0xffff, v108
	v_lshrrev_b32_e32 v92, 16, v108
	v_pk_fma_f16 v62, v117, v63, v62
	v_pk_fma_f16 v87, v118, v63, v87
	v_pk_fma_f16 v85, v119, v63, v85
	v_pk_fma_f16 v6, v120, v63, v6
	v_lshrrev_b32_e32 v63, 16, v129
	v_mul_u32_u24_e32 v61, 0x10001, v61
	v_pk_fma_f16 v86, v97, v64, v86
	v_pk_fma_f16 v59, v97, v91, v59
	v_pk_fma_f16 v88, v98, v64, v88
	v_pk_fma_f16 v60, v98, v91, v60
	v_pk_fma_f16 v89, v99, v64, v89
	v_pk_fma_f16 v54, v99, v91, v54
	v_pk_fma_f16 v52, v100, v64, v52
	v_mul_u32_u24_e32 v64, 0x10001, v90
	v_mul_u32_u24_e32 v90, 0x10001, v92
	v_pk_fma_f16 v7, v100, v91, v7
	v_and_b32_e32 v91, 0xffff, v126
	v_lshrrev_b32_e32 v92, 16, v126
	v_mul_u32_u24_e32 v63, 0x10001, v63
	v_pk_fma_f16 v55, v121, v61, v55
	v_pk_fma_f16 v84, v122, v61, v84
	v_pk_fma_f16 v56, v123, v61, v56
	v_pk_fma_f16 v53, v124, v61, v53
	v_and_b32_e32 v61, 0xffff, v131
	v_pk_fma_f16 v86, v109, v64, v86
	v_pk_fma_f16 v59, v109, v90, v59
	v_pk_fma_f16 v88, v110, v64, v88
	v_pk_fma_f16 v60, v110, v90, v60
	v_pk_fma_f16 v89, v111, v64, v89
	v_pk_fma_f16 v54, v111, v90, v54
	v_pk_fma_f16 v52, v112, v64, v52
	v_mul_u32_u24_e32 v64, 0x10001, v91
	v_mul_u32_u24_e32 v91, 0x10001, v92
	v_pk_fma_f16 v7, v112, v90, v7
	v_and_b32_e32 v90, 0xffff, v128
	v_lshrrev_b32_e32 v92, 16, v128
	v_pk_fma_f16 v62, v121, v63, v62
	v_pk_fma_f16 v87, v122, v63, v87
	v_pk_fma_f16 v85, v123, v63, v85
	v_pk_fma_f16 v6, v124, v63, v6
	v_lshrrev_b32_e32 v63, 16, v131
	v_mul_u32_u24_e32 v61, 0x10001, v61
	v_pk_fma_f16 v86, v113, v64, v86
	v_pk_fma_f16 v59, v113, v91, v59
	v_pk_fma_f16 v88, v114, v64, v88
	v_pk_fma_f16 v60, v114, v91, v60
	v_pk_fma_f16 v89, v115, v64, v89
	v_pk_fma_f16 v54, v115, v91, v54
	v_pk_fma_f16 v52, v116, v64, v52
	v_mul_u32_u24_e32 v64, 0x10001, v90
	v_mul_u32_u24_e32 v90, 0x10001, v92
	v_pk_fma_f16 v7, v116, v91, v7
	v_and_b32_e32 v91, 0xffff, v130
	v_lshrrev_b32_e32 v92, 16, v130
	v_mul_u32_u24_e32 v63, 0x10001, v63
	v_pk_fma_f16 v55, v133, v61, v55
	v_pk_fma_f16 v84, v134, v61, v84
	v_pk_fma_f16 v56, v135, v61, v56
	v_pk_fma_f16 v53, v136, v61, v53
	v_and_b32_e32 v61, 0xffff, v149
	v_pk_fma_f16 v86, v117, v64, v86
	v_pk_fma_f16 v59, v117, v90, v59
	v_pk_fma_f16 v88, v118, v64, v88
	v_pk_fma_f16 v60, v118, v90, v60
	v_pk_fma_f16 v89, v119, v64, v89
	v_pk_fma_f16 v54, v119, v90, v54
	v_pk_fma_f16 v52, v120, v64, v52
	v_mul_u32_u24_e32 v64, 0x10001, v91
	v_mul_u32_u24_e32 v91, 0x10001, v92
	;; [unrolled: 36-line block ×3, first 2 shown]
	v_pk_fma_f16 v7, v136, v90, v7
	v_pk_fma_f16 v62, v137, v63, v62
	;; [unrolled: 1-line block ×5, first 2 shown]
	v_lshrrev_b32_e32 v63, 16, v151
	v_and_b32_e32 v90, 0xffff, v152
	v_lshrrev_b32_e32 v92, 16, v152
	v_mul_u32_u24_e32 v61, 0x10001, v61
	v_pk_fma_f16 v86, v137, v64, v86
	v_pk_fma_f16 v59, v137, v91, v59
	;; [unrolled: 1-line block ×7, first 2 shown]
	v_mul_u32_u24_e32 v63, 0x10001, v63
	v_mul_u32_u24_e32 v64, 0x10001, v90
	;; [unrolled: 1-line block ×3, first 2 shown]
	v_pk_fma_f16 v7, v140, v91, v7
	v_pk_fma_f16 v55, v141, v61, v55
	;; [unrolled: 1-line block ×5, first 2 shown]
	v_and_b32_e32 v61, 0xffff, v153
	v_and_b32_e32 v91, 0xffff, v154
	v_lshrrev_b32_e32 v92, 16, v154
	v_pk_fma_f16 v62, v141, v63, v62
	v_pk_fma_f16 v86, v141, v64, v86
	;; [unrolled: 1-line block ×8, first 2 shown]
	v_lshrrev_b32_e32 v63, 16, v153
	v_pk_fma_f16 v52, v144, v64, v52
	v_mul_u32_u24_e32 v61, 0x10001, v61
	v_mul_u32_u24_e32 v64, 0x10001, v91
	v_mul_u32_u24_e32 v91, 0x10001, v92
	v_pk_fma_f16 v59, v141, v90, v59
	v_pk_fma_f16 v60, v142, v90, v60
	v_mul_u32_u24_e32 v63, 0x10001, v63
	v_pk_fma_f16 v7, v144, v90, v7
	v_pk_fma_f16 v90, v145, v61, v55
	;; [unrolled: 1-line block ×4, first 2 shown]
	v_and_b32_e32 v53, 0xffff, v155
	v_lshrrev_b32_e32 v54, 16, v155
	v_and_b32_e32 v55, 0xffff, v156
	v_pk_fma_f16 v62, v145, v63, v62
	v_pk_fma_f16 v86, v145, v64, v86
	;; [unrolled: 1-line block ×10, first 2 shown]
	v_lshrrev_b32_e32 v61, 16, v156
	v_mul_u32_u24_e32 v64, 0x10001, v53
	v_mul_u32_u24_e32 v94, 0x10001, v54
	;; [unrolled: 1-line block ×3, first 2 shown]
	s_wait_dscnt 0x0
	s_barrier_signal -1
	s_barrier_wait -1
	global_inv scope:SCOPE_SE
	ds_load_b128 v[52:55], v79 offset:256
	v_pk_fma_f16 v59, v145, v91, v59
	v_pk_fma_f16 v60, v146, v91, v60
	v_mul_u32_u24_e32 v96, 0x10001, v61
	v_pk_fma_f16 v98, v157, v94, v62
	v_pk_fma_f16 v99, v157, v95, v86
	;; [unrolled: 1-line block ×6, first 2 shown]
	ds_load_2addr_b64 v[59:62], v38 offset1:32
	v_pk_fma_f16 v103, v158, v95, v88
	v_pk_fma_f16 v105, v159, v94, v85
	;; [unrolled: 1-line block ×3, first 2 shown]
	ds_load_b128 v[84:87], v79 offset:272
	v_pk_fma_f16 v7, v148, v91, v7
	v_pk_fma_f16 v97, v157, v64, v90
	;; [unrolled: 1-line block ×5, first 2 shown]
	s_wait_dscnt 0x2
	v_and_b32_e32 v88, 0xffff, v52
	v_lshrrev_b32_e32 v52, 16, v52
	v_and_b32_e32 v89, 0xffff, v53
	v_lshrrev_b32_e32 v53, 16, v53
	v_pk_fma_f16 v6, v160, v94, v6
	v_mul_u32_u24_e32 v108, 0x10001, v88
	v_mul_u32_u24_e32 v52, 0x10001, v52
	;; [unrolled: 1-line block ×3, first 2 shown]
	v_pk_fma_f16 v63, v160, v95, v63
	v_pk_fma_f16 v7, v160, v96, v7
	v_mul_u32_u24_e32 v53, 0x10001, v53
	ds_load_b128 v[88:91], v79 offset:288
	ds_load_b128 v[92:95], v79 offset:304
	s_wait_dscnt 0x3
	v_pk_fma_f16 v110, v59, v108, v97
	v_pk_fma_f16 v111, v59, v52, v98
	;; [unrolled: 1-line block ×3, first 2 shown]
	ds_load_2addr_b64 v[96:99], v38 offset0:64 offset1:96
	v_pk_fma_f16 v59, v59, v53, v100
	v_pk_fma_f16 v100, v60, v108, v101
	;; [unrolled: 1-line block ×6, first 2 shown]
	v_and_b32_e32 v52, 0xffff, v54
	v_lshrrev_b32_e32 v54, 16, v54
	v_and_b32_e32 v105, 0xffff, v55
	v_lshrrev_b32_e32 v55, 16, v55
	v_pk_fma_f16 v60, v60, v53, v104
	v_pk_fma_f16 v56, v61, v108, v56
	v_pk_fma_f16 v104, v61, v109, v106
	v_pk_fma_f16 v61, v61, v53, v107
	v_pk_fma_f16 v64, v62, v108, v64
	v_mul_u32_u24_e32 v106, 0x10001, v52
	v_mul_u32_u24_e32 v107, 0x10001, v54
	;; [unrolled: 1-line block ×3, first 2 shown]
	v_pk_fma_f16 v7, v62, v53, v7
	ds_load_2addr_b64 v[52:55], v38 offset0:128 offset1:160
	v_mul_u32_u24_e32 v105, 0x10001, v105
	v_pk_fma_f16 v63, v62, v109, v63
	s_wait_dscnt 0x1
	v_pk_fma_f16 v62, v96, v106, v110
	v_pk_fma_f16 v109, v96, v107, v111
	;; [unrolled: 1-line block ×12, first 2 shown]
	v_and_b32_e32 v60, 0xffff, v84
	v_lshrrev_b32_e32 v61, 16, v84
	v_and_b32_e32 v84, 0xffff, v85
	v_lshrrev_b32_e32 v85, 16, v85
	v_pk_fma_f16 v63, v99, v105, v63
	v_mul_u32_u24_e32 v104, 0x10001, v60
	v_mul_u32_u24_e32 v105, 0x10001, v61
	;; [unrolled: 1-line block ×4, first 2 shown]
	v_pk_fma_f16 v64, v99, v106, v64
	v_pk_fma_f16 v6, v99, v107, v6
	;; [unrolled: 1-line block ×3, first 2 shown]
	s_wait_dscnt 0x0
	v_pk_fma_f16 v99, v52, v104, v62
	v_pk_fma_f16 v106, v52, v105, v109
	;; [unrolled: 1-line block ×4, first 2 shown]
	ds_load_2addr_b64 v[59:62], v38 offset0:192 offset1:224
	v_pk_fma_f16 v96, v53, v104, v96
	v_pk_fma_f16 v100, v53, v105, v100
	;; [unrolled: 1-line block ×8, first 2 shown]
	v_and_b32_e32 v53, 0xffff, v86
	v_lshrrev_b32_e32 v54, 16, v86
	v_and_b32_e32 v86, 0xffff, v87
	v_lshrrev_b32_e32 v87, 16, v87
	v_pk_fma_f16 v64, v55, v104, v64
	v_pk_fma_f16 v63, v55, v84, v63
	v_mul_u32_u24_e32 v84, 0x10001, v53
	v_mul_u32_u24_e32 v104, 0x10001, v54
	;; [unrolled: 1-line block ×4, first 2 shown]
	v_pk_fma_f16 v6, v55, v105, v6
	v_pk_fma_f16 v7, v55, v85, v7
	s_wait_dscnt 0x0
	v_pk_fma_f16 v85, v59, v84, v99
	v_pk_fma_f16 v99, v59, v104, v106
	;; [unrolled: 1-line block ×4, first 2 shown]
	ds_load_2addr_b64 v[52:55], v51 offset1:32
	v_pk_fma_f16 v96, v60, v84, v96
	v_pk_fma_f16 v100, v60, v104, v100
	;; [unrolled: 1-line block ×9, first 2 shown]
	v_and_b32_e32 v60, 0xffff, v88
	v_lshrrev_b32_e32 v61, 16, v88
	v_and_b32_e32 v84, 0xffff, v89
	v_lshrrev_b32_e32 v88, 16, v89
	v_pk_fma_f16 v63, v62, v86, v63
	v_mul_u32_u24_e32 v86, 0x10001, v60
	v_mul_u32_u24_e32 v89, 0x10001, v61
	;; [unrolled: 1-line block ×4, first 2 shown]
	v_pk_fma_f16 v6, v62, v104, v6
	v_pk_fma_f16 v7, v62, v87, v7
	s_wait_dscnt 0x0
	v_pk_fma_f16 v85, v52, v86, v85
	v_pk_fma_f16 v87, v52, v89, v99
	;; [unrolled: 1-line block ×4, first 2 shown]
	ds_load_2addr_b64 v[59:62], v51 offset0:64 offset1:96
	v_pk_fma_f16 v96, v53, v86, v96
	v_pk_fma_f16 v100, v53, v89, v100
	v_pk_fma_f16 v101, v53, v84, v101
	v_pk_fma_f16 v97, v53, v88, v97
	v_pk_fma_f16 v56, v54, v86, v56
	v_pk_fma_f16 v102, v54, v89, v102
	v_pk_fma_f16 v103, v54, v84, v103
	v_pk_fma_f16 v98, v54, v88, v98
	v_pk_fma_f16 v64, v55, v86, v64
	v_pk_fma_f16 v6, v55, v89, v6
	v_and_b32_e32 v53, 0xffff, v90
	v_lshrrev_b32_e32 v54, 16, v90
	v_and_b32_e32 v86, 0xffff, v91
	v_lshrrev_b32_e32 v89, 16, v91
	v_pk_fma_f16 v63, v55, v84, v63
	v_mul_u32_u24_e32 v84, 0x10001, v53
	v_mul_u32_u24_e32 v90, 0x10001, v54
	;; [unrolled: 1-line block ×4, first 2 shown]
	v_pk_fma_f16 v7, v55, v88, v7
	s_wait_dscnt 0x0
	v_pk_fma_f16 v85, v59, v84, v85
	v_pk_fma_f16 v87, v59, v90, v87
	;; [unrolled: 1-line block ×4, first 2 shown]
	ds_load_2addr_b64 v[52:55], v51 offset0:128 offset1:160
	v_pk_fma_f16 v91, v60, v84, v96
	v_pk_fma_f16 v96, v60, v90, v100
	;; [unrolled: 1-line block ×4, first 2 shown]
	v_lshrrev_b32_e32 v90, 16, v93
	v_pk_fma_f16 v99, v60, v86, v101
	v_pk_fma_f16 v97, v60, v89, v97
	;; [unrolled: 1-line block ×6, first 2 shown]
	v_and_b32_e32 v60, 0xffff, v92
	v_lshrrev_b32_e32 v61, 16, v92
	v_and_b32_e32 v84, 0xffff, v93
	v_mul_u32_u24_e32 v90, 0x10001, v90
	v_pk_fma_f16 v63, v62, v86, v63
	v_mul_u32_u24_e32 v86, 0x10001, v60
	v_mul_u32_u24_e32 v92, 0x10001, v61
	;; [unrolled: 1-line block ×3, first 2 shown]
	v_pk_fma_f16 v7, v62, v89, v7
	s_wait_dscnt 0x0
	v_pk_fma_f16 v89, v52, v90, v59
	ds_load_2addr_b64 v[59:62], v51 offset0:192 offset1:224
	v_pk_fma_f16 v85, v52, v86, v85
	v_pk_fma_f16 v87, v52, v92, v87
	;; [unrolled: 1-line block ×3, first 2 shown]
	v_and_b32_e32 v51, 0xffff, v94
	v_lshrrev_b32_e32 v52, 16, v94
	v_pk_fma_f16 v91, v53, v86, v91
	v_pk_fma_f16 v93, v53, v92, v96
	;; [unrolled: 1-line block ×9, first 2 shown]
	v_mul_u32_u24_e32 v92, 0x10001, v51
	v_mul_u32_u24_e32 v94, 0x10001, v52
	ds_load_b128 v[51:54], v79 offset:320
	v_pk_fma_f16 v64, v55, v86, v64
	v_pk_fma_f16 v63, v55, v84, v63
	v_and_b32_e32 v84, 0xffff, v95
	v_lshrrev_b32_e32 v86, 16, v95
	v_pk_fma_f16 v7, v55, v90, v7
	s_wait_dscnt 0x1
	v_pk_fma_f16 v55, v59, v92, v85
	v_pk_fma_f16 v102, v59, v94, v87
	v_mul_u32_u24_e32 v95, 0x10001, v84
	v_mul_u32_u24_e32 v101, 0x10001, v86
	ds_load_2addr_b64 v[84:87], v48 offset1:32
	v_pk_fma_f16 v104, v60, v92, v91
	v_pk_fma_f16 v93, v60, v94, v93
	;; [unrolled: 1-line block ×10, first 2 shown]
	ds_load_b128 v[88:91], v79 offset:336
	s_wait_dscnt 0x2
	v_and_b32_e32 v60, 0xffff, v51
	v_lshrrev_b32_e32 v51, 16, v51
	v_and_b32_e32 v61, 0xffff, v52
	v_lshrrev_b32_e32 v52, 16, v52
	v_pk_fma_f16 v64, v62, v92, v64
	v_pk_fma_f16 v6, v62, v94, v6
	v_mul_u32_u24_e32 v92, 0x10001, v60
	v_mul_u32_u24_e32 v51, 0x10001, v51
	;; [unrolled: 1-line block ×4, first 2 shown]
	v_pk_fma_f16 v63, v62, v95, v63
	v_pk_fma_f16 v7, v62, v101, v7
	s_wait_dscnt 0x1
	v_pk_fma_f16 v55, v84, v92, v55
	v_pk_fma_f16 v95, v84, v51, v102
	v_pk_fma_f16 v101, v84, v94, v103
	v_pk_fma_f16 v84, v84, v52, v59
	ds_load_2addr_b64 v[59:62], v48 offset0:64 offset1:96
	v_pk_fma_f16 v102, v85, v92, v104
	v_pk_fma_f16 v93, v85, v51, v93
	;; [unrolled: 1-line block ×8, first 2 shown]
	v_and_b32_e32 v51, 0xffff, v53
	v_lshrrev_b32_e32 v53, 16, v53
	v_and_b32_e32 v92, 0xffff, v54
	v_lshrrev_b32_e32 v54, 16, v54
	v_pk_fma_f16 v99, v86, v94, v100
	v_pk_fma_f16 v86, v86, v52, v98
	;; [unrolled: 1-line block ×3, first 2 shown]
	v_mul_u32_u24_e32 v94, 0x10001, v51
	v_mul_u32_u24_e32 v98, 0x10001, v53
	;; [unrolled: 1-line block ×3, first 2 shown]
	v_pk_fma_f16 v7, v87, v52, v7
	ds_load_2addr_b64 v[51:54], v48 offset0:128 offset1:160
	v_mul_u32_u24_e32 v92, 0x10001, v92
	s_wait_dscnt 0x1
	v_pk_fma_f16 v55, v59, v94, v55
	v_pk_fma_f16 v87, v59, v98, v95
	;; [unrolled: 1-line block ×12, first 2 shown]
	v_and_b32_e32 v60, 0xffff, v88
	v_lshrrev_b32_e32 v61, 16, v88
	v_and_b32_e32 v88, 0xffff, v89
	v_lshrrev_b32_e32 v89, 16, v89
	v_pk_fma_f16 v64, v62, v94, v64
	v_pk_fma_f16 v63, v62, v92, v63
	v_mul_u32_u24_e32 v92, 0x10001, v60
	v_mul_u32_u24_e32 v94, 0x10001, v61
	;; [unrolled: 1-line block ×4, first 2 shown]
	v_pk_fma_f16 v6, v62, v98, v6
	v_pk_fma_f16 v7, v62, v100, v7
	s_wait_dscnt 0x0
	v_pk_fma_f16 v55, v51, v92, v55
	v_pk_fma_f16 v98, v51, v94, v87
	;; [unrolled: 1-line block ×4, first 2 shown]
	ds_load_2addr_b64 v[59:62], v48 offset0:192 offset1:224
	v_pk_fma_f16 v100, v52, v92, v84
	v_pk_fma_f16 v93, v52, v94, v93
	;; [unrolled: 1-line block ×8, first 2 shown]
	v_and_b32_e32 v52, 0xffff, v90
	v_lshrrev_b32_e32 v53, 16, v90
	v_pk_fma_f16 v63, v54, v88, v63
	v_and_b32_e32 v88, 0xffff, v91
	v_lshrrev_b32_e32 v90, 16, v91
	ds_load_b128 v[84:87], v79 offset:352
	v_pk_fma_f16 v64, v54, v92, v64
	v_pk_fma_f16 v6, v54, v94, v6
	v_mul_u32_u24_e32 v91, 0x10001, v52
	v_mul_u32_u24_e32 v92, 0x10001, v53
	;; [unrolled: 1-line block ×4, first 2 shown]
	v_pk_fma_f16 v7, v54, v89, v7
	s_wait_dscnt 0x1
	v_pk_fma_f16 v55, v59, v91, v55
	v_pk_fma_f16 v98, v59, v92, v98
	;; [unrolled: 1-line block ×4, first 2 shown]
	ds_load_2addr_b64 v[51:54], v49 offset1:32
	v_pk_fma_f16 v100, v60, v91, v100
	v_pk_fma_f16 v93, v60, v92, v93
	;; [unrolled: 1-line block ×9, first 2 shown]
	ds_load_b128 v[88:91], v79 offset:368
	s_wait_dscnt 0x2
	v_and_b32_e32 v60, 0xffff, v84
	v_lshrrev_b32_e32 v61, 16, v84
	v_and_b32_e32 v84, 0xffff, v85
	v_lshrrev_b32_e32 v85, 16, v85
	v_pk_fma_f16 v6, v62, v92, v6
	v_pk_fma_f16 v63, v62, v94, v63
	v_mul_u32_u24_e32 v92, 0x10001, v60
	v_mul_u32_u24_e32 v94, 0x10001, v61
	;; [unrolled: 1-line block ×4, first 2 shown]
	v_pk_fma_f16 v7, v62, v102, v7
	s_wait_dscnt 0x1
	v_pk_fma_f16 v55, v51, v92, v55
	v_pk_fma_f16 v98, v51, v94, v98
	;; [unrolled: 1-line block ×4, first 2 shown]
	ds_load_2addr_b64 v[59:62], v49 offset0:64 offset1:96
	v_pk_fma_f16 v100, v52, v92, v100
	v_pk_fma_f16 v93, v52, v94, v93
	v_pk_fma_f16 v48, v52, v84, v48
	v_pk_fma_f16 v96, v52, v85, v96
	v_pk_fma_f16 v56, v53, v92, v56
	v_pk_fma_f16 v97, v53, v94, v97
	v_pk_fma_f16 v99, v53, v84, v99
	v_pk_fma_f16 v101, v53, v85, v101
	v_and_b32_e32 v52, 0xffff, v86
	v_lshrrev_b32_e32 v53, 16, v86
	v_and_b32_e32 v86, 0xffff, v87
	v_lshrrev_b32_e32 v87, 16, v87
	v_pk_fma_f16 v64, v54, v92, v64
	v_pk_fma_f16 v63, v54, v84, v63
	v_mul_u32_u24_e32 v84, 0x10001, v52
	v_mul_u32_u24_e32 v92, 0x10001, v53
	;; [unrolled: 1-line block ×4, first 2 shown]
	v_pk_fma_f16 v6, v54, v94, v6
	v_pk_fma_f16 v7, v54, v85, v7
	s_wait_dscnt 0x0
	v_pk_fma_f16 v55, v59, v84, v55
	v_pk_fma_f16 v85, v59, v92, v98
	;; [unrolled: 1-line block ×4, first 2 shown]
	ds_load_2addr_b64 v[51:54], v49 offset0:128 offset1:160
	v_pk_fma_f16 v95, v60, v84, v100
	v_pk_fma_f16 v93, v60, v92, v93
	;; [unrolled: 1-line block ×9, first 2 shown]
	v_and_b32_e32 v60, 0xffff, v88
	v_lshrrev_b32_e32 v61, 16, v88
	v_and_b32_e32 v84, 0xffff, v89
	v_lshrrev_b32_e32 v88, 16, v89
	v_pk_fma_f16 v63, v62, v86, v63
	v_mul_u32_u24_e32 v86, 0x10001, v60
	v_mul_u32_u24_e32 v89, 0x10001, v61
	;; [unrolled: 1-line block ×4, first 2 shown]
	v_pk_fma_f16 v6, v62, v92, v6
	v_pk_fma_f16 v7, v62, v87, v7
	s_wait_dscnt 0x0
	v_pk_fma_f16 v55, v51, v86, v55
	v_pk_fma_f16 v92, v51, v89, v85
	;; [unrolled: 1-line block ×4, first 2 shown]
	ds_load_2addr_b64 v[59:62], v49 offset0:192 offset1:224
	v_pk_fma_f16 v95, v52, v86, v95
	v_pk_fma_f16 v93, v52, v89, v93
	;; [unrolled: 1-line block ×10, first 2 shown]
	v_and_b32_e32 v52, 0xffff, v90
	v_lshrrev_b32_e32 v53, 16, v90
	v_pk_fma_f16 v63, v54, v84, v63
	v_and_b32_e32 v89, 0xffff, v91
	v_lshrrev_b32_e32 v90, 16, v91
	ds_load_b128 v[84:87], v79 offset:384
	v_mul_u32_u24_e32 v91, 0x10001, v52
	v_mul_u32_u24_e32 v99, 0x10001, v53
	;; [unrolled: 1-line block ×4, first 2 shown]
	v_pk_fma_f16 v7, v54, v88, v7
	s_wait_dscnt 0x1
	v_pk_fma_f16 v55, v59, v91, v55
	v_pk_fma_f16 v92, v59, v99, v92
	;; [unrolled: 1-line block ×4, first 2 shown]
	ds_load_2addr_b64 v[51:54], v50 offset1:32
	v_pk_fma_f16 v95, v60, v91, v95
	v_pk_fma_f16 v93, v60, v99, v93
	v_pk_fma_f16 v48, v60, v100, v48
	v_pk_fma_f16 v49, v60, v101, v49
	v_pk_fma_f16 v56, v61, v91, v56
	v_pk_fma_f16 v96, v61, v99, v96
	v_pk_fma_f16 v97, v61, v100, v97
	v_pk_fma_f16 v98, v61, v101, v98
	v_pk_fma_f16 v64, v62, v91, v64
	ds_load_b128 v[88:91], v79 offset:400
	s_wait_dscnt 0x2
	v_and_b32_e32 v60, 0xffff, v84
	v_lshrrev_b32_e32 v61, 16, v84
	v_and_b32_e32 v84, 0xffff, v85
	v_lshrrev_b32_e32 v85, 16, v85
	v_pk_fma_f16 v6, v62, v99, v6
	v_pk_fma_f16 v63, v62, v100, v63
	v_mul_u32_u24_e32 v99, 0x10001, v60
	v_mul_u32_u24_e32 v100, 0x10001, v61
	;; [unrolled: 1-line block ×4, first 2 shown]
	v_pk_fma_f16 v7, v62, v101, v7
	s_wait_dscnt 0x1
	v_pk_fma_f16 v55, v51, v99, v55
	v_pk_fma_f16 v92, v51, v100, v92
	;; [unrolled: 1-line block ×4, first 2 shown]
	ds_load_2addr_b64 v[59:62], v50 offset0:64 offset1:96
	v_pk_fma_f16 v95, v52, v99, v95
	v_pk_fma_f16 v93, v52, v100, v93
	;; [unrolled: 1-line block ×8, first 2 shown]
	v_and_b32_e32 v52, 0xffff, v86
	v_lshrrev_b32_e32 v53, 16, v86
	v_and_b32_e32 v86, 0xffff, v87
	v_lshrrev_b32_e32 v87, 16, v87
	v_pk_fma_f16 v64, v54, v99, v64
	v_pk_fma_f16 v63, v54, v84, v63
	v_mul_u32_u24_e32 v84, 0x10001, v52
	v_mul_u32_u24_e32 v99, 0x10001, v53
	;; [unrolled: 1-line block ×4, first 2 shown]
	v_pk_fma_f16 v6, v54, v100, v6
	v_pk_fma_f16 v7, v54, v85, v7
	s_wait_dscnt 0x0
	v_pk_fma_f16 v55, v59, v84, v55
	v_pk_fma_f16 v85, v59, v99, v92
	;; [unrolled: 1-line block ×4, first 2 shown]
	ds_load_2addr_b64 v[51:54], v50 offset0:128 offset1:160
	v_pk_fma_f16 v94, v60, v84, v95
	v_pk_fma_f16 v93, v60, v99, v93
	;; [unrolled: 1-line block ×6, first 2 shown]
	v_and_b32_e32 v48, 0xffff, v88
	v_lshrrev_b32_e32 v49, 16, v88
	v_and_b32_e32 v84, 0xffff, v89
	v_lshrrev_b32_e32 v88, 16, v89
	v_pk_fma_f16 v97, v61, v86, v97
	v_pk_fma_f16 v63, v62, v86, v63
	v_mul_u32_u24_e32 v86, 0x10001, v48
	v_mul_u32_u24_e32 v89, 0x10001, v49
	;; [unrolled: 1-line block ×4, first 2 shown]
	v_pk_fma_f16 v96, v61, v99, v96
	v_pk_fma_f16 v61, v61, v87, v98
	;; [unrolled: 1-line block ×3, first 2 shown]
	s_wait_dscnt 0x0
	v_pk_fma_f16 v55, v51, v86, v55
	v_pk_fma_f16 v85, v51, v89, v85
	;; [unrolled: 1-line block ×4, first 2 shown]
	ds_load_2addr_b64 v[48:51], v50 offset0:192 offset1:224
	v_pk_fma_f16 v6, v62, v99, v6
	v_pk_fma_f16 v94, v52, v86, v94
	;; [unrolled: 1-line block ×6, first 2 shown]
	v_and_b32_e32 v52, 0xffff, v90
	ds_load_b128 v[59:62], v79 offset:416
	v_pk_fma_f16 v56, v53, v86, v56
	v_pk_fma_f16 v96, v53, v89, v96
	;; [unrolled: 1-line block ×4, first 2 shown]
	v_lshrrev_b32_e32 v53, 16, v90
	v_mul_u32_u24_e32 v89, 0x10001, v52
	v_pk_fma_f16 v64, v54, v86, v64
	v_pk_fma_f16 v63, v54, v84, v63
	v_and_b32_e32 v84, 0xffff, v91
	v_lshrrev_b32_e32 v86, 16, v91
	v_mul_u32_u24_e32 v90, 0x10001, v53
	v_pk_fma_f16 v7, v54, v88, v7
	s_wait_dscnt 0x1
	v_pk_fma_f16 v88, v48, v89, v55
	ds_load_2addr_b64 v[52:55], v47 offset1:32
	v_mul_u32_u24_e32 v91, 0x10001, v84
	v_mul_u32_u24_e32 v100, 0x10001, v86
	v_pk_fma_f16 v101, v48, v90, v85
	v_pk_fma_f16 v93, v49, v90, v93
	;; [unrolled: 1-line block ×11, first 2 shown]
	ds_load_b128 v[84:87], v79 offset:432
	s_wait_dscnt 0x2
	v_and_b32_e32 v49, 0xffff, v59
	v_lshrrev_b32_e32 v50, 16, v59
	v_and_b32_e32 v59, 0xffff, v60
	v_lshrrev_b32_e32 v60, 16, v60
	v_pk_fma_f16 v64, v51, v89, v64
	v_pk_fma_f16 v6, v51, v90, v6
	v_mul_u32_u24_e32 v89, 0x10001, v49
	v_mul_u32_u24_e32 v90, 0x10001, v50
	;; [unrolled: 1-line block ×4, first 2 shown]
	v_pk_fma_f16 v63, v51, v91, v63
	v_pk_fma_f16 v7, v51, v100, v7
	s_wait_dscnt 0x1
	v_pk_fma_f16 v88, v52, v89, v88
	v_pk_fma_f16 v91, v52, v90, v101
	;; [unrolled: 1-line block ×4, first 2 shown]
	ds_load_2addr_b64 v[48:51], v47 offset0:64 offset1:96
	v_pk_fma_f16 v92, v53, v89, v92
	v_pk_fma_f16 v93, v53, v90, v93
	;; [unrolled: 1-line block ×8, first 2 shown]
	v_and_b32_e32 v53, 0xffff, v61
	v_lshrrev_b32_e32 v54, 16, v61
	v_and_b32_e32 v61, 0xffff, v62
	v_lshrrev_b32_e32 v62, 16, v62
	v_pk_fma_f16 v64, v55, v89, v64
	v_pk_fma_f16 v59, v55, v59, v63
	v_mul_u32_u24_e32 v63, 0x10001, v53
	v_mul_u32_u24_e32 v89, 0x10001, v54
	;; [unrolled: 1-line block ×4, first 2 shown]
	v_pk_fma_f16 v6, v55, v90, v6
	v_pk_fma_f16 v7, v55, v60, v7
	s_wait_dscnt 0x0
	v_pk_fma_f16 v60, v48, v63, v88
	v_pk_fma_f16 v88, v48, v89, v91
	;; [unrolled: 1-line block ×4, first 2 shown]
	ds_load_2addr_b64 v[52:55], v47 offset0:128 offset1:160
	v_pk_fma_f16 v91, v49, v63, v92
	v_pk_fma_f16 v92, v49, v89, v93
	;; [unrolled: 1-line block ×8, first 2 shown]
	v_and_b32_e32 v49, 0xffff, v84
	v_lshrrev_b32_e32 v50, 16, v84
	v_lshrrev_b32_e32 v84, 16, v85
	v_pk_fma_f16 v63, v51, v63, v64
	v_and_b32_e32 v64, 0xffff, v85
	v_pk_fma_f16 v6, v51, v89, v6
	v_pk_fma_f16 v59, v51, v61, v59
	v_mul_u32_u24_e32 v84, 0x10001, v84
	v_mul_u32_u24_e32 v61, 0x10001, v49
	;; [unrolled: 1-line block ×4, first 2 shown]
	v_pk_fma_f16 v7, v51, v62, v7
	s_wait_dscnt 0x0
	v_pk_fma_f16 v89, v52, v84, v48
	ds_load_2addr_b64 v[47:50], v47 offset0:192 offset1:224
	v_pk_fma_f16 v60, v52, v61, v60
	v_pk_fma_f16 v62, v52, v85, v88
	;; [unrolled: 1-line block ×3, first 2 shown]
	v_and_b32_e32 v51, 0xffff, v86
	v_lshrrev_b32_e32 v52, 16, v86
	v_pk_fma_f16 v90, v53, v61, v91
	v_pk_fma_f16 v91, v53, v85, v92
	;; [unrolled: 1-line block ×9, first 2 shown]
	v_mul_u32_u24_e32 v85, 0x10001, v51
	v_mul_u32_u24_e32 v86, 0x10001, v52
	ds_load_b128 v[51:54], v79 offset:448
	v_pk_fma_f16 v63, v55, v61, v63
	v_pk_fma_f16 v64, v55, v64, v59
	v_and_b32_e32 v59, 0xffff, v87
	v_lshrrev_b32_e32 v61, 16, v87
	v_pk_fma_f16 v7, v55, v84, v7
	s_wait_dscnt 0x1
	v_pk_fma_f16 v55, v47, v85, v60
	v_pk_fma_f16 v99, v47, v86, v62
	v_mul_u32_u24_e32 v97, 0x10001, v59
	v_mul_u32_u24_e32 v98, 0x10001, v61
	ds_load_2addr_b64 v[59:62], v5 offset1:32
	v_pk_fma_f16 v56, v49, v85, v56
	v_pk_fma_f16 v63, v50, v85, v63
	;; [unrolled: 1-line block ×12, first 2 shown]
	ds_load_b128 v[84:87], v79 offset:464
	s_wait_dscnt 0x2
	v_and_b32_e32 v48, 0xffff, v51
	v_lshrrev_b32_e32 v49, 16, v51
	v_and_b32_e32 v51, 0xffff, v52
	v_lshrrev_b32_e32 v52, 16, v52
	v_pk_fma_f16 v64, v50, v97, v64
	v_mul_u32_u24_e32 v96, 0x10001, v48
	v_mul_u32_u24_e32 v97, 0x10001, v49
	;; [unrolled: 1-line block ×4, first 2 shown]
	v_pk_fma_f16 v7, v50, v98, v7
	s_wait_dscnt 0x1
	v_pk_fma_f16 v55, v59, v96, v55
	v_pk_fma_f16 v98, v59, v97, v99
	;; [unrolled: 1-line block ×4, first 2 shown]
	ds_load_2addr_b64 v[47:50], v5 offset0:64 offset1:96
	v_pk_fma_f16 v89, v60, v96, v89
	v_pk_fma_f16 v90, v60, v97, v90
	;; [unrolled: 1-line block ×8, first 2 shown]
	v_and_b32_e32 v94, 0xffff, v53
	v_lshrrev_b32_e32 v53, 16, v53
	v_and_b32_e32 v95, 0xffff, v54
	v_lshrrev_b32_e32 v54, 16, v54
	v_pk_fma_f16 v63, v62, v96, v63
	v_pk_fma_f16 v6, v62, v97, v6
	;; [unrolled: 1-line block ×3, first 2 shown]
	v_mul_u32_u24_e32 v96, 0x10001, v53
	v_mul_u32_u24_e32 v97, 0x10001, v54
	v_pk_fma_f16 v7, v62, v52, v7
	ds_load_2addr_b64 v[51:54], v5 offset0:128 offset1:160
	v_mul_u32_u24_e32 v94, 0x10001, v94
	v_mul_u32_u24_e32 v95, 0x10001, v95
	s_wait_dscnt 0x1
	v_pk_fma_f16 v62, v47, v96, v98
	v_pk_fma_f16 v60, v48, v97, v60
	;; [unrolled: 1-line block ×12, first 2 shown]
	v_and_b32_e32 v48, 0xffff, v84
	v_lshrrev_b32_e32 v49, 16, v84
	v_and_b32_e32 v84, 0xffff, v85
	v_lshrrev_b32_e32 v85, 16, v85
	v_pk_fma_f16 v63, v50, v94, v63
	v_mul_u32_u24_e32 v93, 0x10001, v48
	v_mul_u32_u24_e32 v94, 0x10001, v49
	;; [unrolled: 1-line block ×4, first 2 shown]
	v_pk_fma_f16 v6, v50, v96, v6
	v_pk_fma_f16 v64, v50, v95, v64
	;; [unrolled: 1-line block ×3, first 2 shown]
	s_wait_dscnt 0x0
	v_pk_fma_f16 v55, v51, v93, v55
	v_pk_fma_f16 v95, v51, v94, v62
	;; [unrolled: 1-line block ×4, first 2 shown]
	ds_load_2addr_b64 v[47:50], v5 offset0:192 offset1:224
	v_pk_fma_f16 v96, v52, v93, v59
	v_pk_fma_f16 v89, v52, v94, v89
	;; [unrolled: 1-line block ×8, first 2 shown]
	v_and_b32_e32 v52, 0xffff, v86
	v_lshrrev_b32_e32 v53, 16, v86
	v_pk_fma_f16 v64, v54, v84, v64
	v_and_b32_e32 v84, 0xffff, v87
	v_lshrrev_b32_e32 v86, 16, v87
	ds_load_b128 v[59:62], v79 offset:480
	v_pk_fma_f16 v63, v54, v93, v63
	v_pk_fma_f16 v6, v54, v94, v6
	v_mul_u32_u24_e32 v87, 0x10001, v52
	v_mul_u32_u24_e32 v93, 0x10001, v53
	;; [unrolled: 1-line block ×4, first 2 shown]
	v_pk_fma_f16 v7, v54, v85, v7
	s_wait_dscnt 0x1
	v_pk_fma_f16 v55, v47, v87, v55
	v_pk_fma_f16 v95, v47, v93, v95
	;; [unrolled: 1-line block ×4, first 2 shown]
	ds_load_2addr_b64 v[51:54], v4 offset1:32
	v_pk_fma_f16 v96, v48, v87, v96
	v_pk_fma_f16 v89, v48, v93, v89
	;; [unrolled: 1-line block ×9, first 2 shown]
	ds_load_b128 v[84:87], v79 offset:496
	s_wait_dscnt 0x2
	v_and_b32_e32 v48, 0xffff, v59
	v_lshrrev_b32_e32 v49, 16, v59
	v_and_b32_e32 v59, 0xffff, v60
	v_lshrrev_b32_e32 v60, 16, v60
	v_pk_fma_f16 v6, v50, v93, v6
	v_pk_fma_f16 v64, v50, v94, v64
	v_mul_u32_u24_e32 v93, 0x10001, v48
	v_mul_u32_u24_e32 v94, 0x10001, v49
	;; [unrolled: 1-line block ×4, first 2 shown]
	v_pk_fma_f16 v7, v50, v98, v7
	s_wait_dscnt 0x1
	v_pk_fma_f16 v55, v51, v93, v55
	v_pk_fma_f16 v95, v51, v94, v95
	;; [unrolled: 1-line block ×4, first 2 shown]
	ds_load_2addr_b64 v[47:50], v4 offset0:64 offset1:96
	v_pk_fma_f16 v96, v52, v93, v96
	v_pk_fma_f16 v89, v52, v94, v89
	;; [unrolled: 1-line block ×8, first 2 shown]
	v_and_b32_e32 v52, 0xffff, v61
	v_lshrrev_b32_e32 v53, 16, v61
	v_and_b32_e32 v61, 0xffff, v62
	v_lshrrev_b32_e32 v62, 16, v62
	v_pk_fma_f16 v63, v54, v93, v63
	v_pk_fma_f16 v59, v54, v59, v64
	v_mul_u32_u24_e32 v64, 0x10001, v52
	v_mul_u32_u24_e32 v93, 0x10001, v53
	;; [unrolled: 1-line block ×4, first 2 shown]
	v_pk_fma_f16 v6, v54, v94, v6
	v_pk_fma_f16 v7, v54, v60, v7
	s_wait_dscnt 0x0
	v_pk_fma_f16 v55, v47, v64, v55
	v_pk_fma_f16 v60, v47, v93, v95
	;; [unrolled: 1-line block ×4, first 2 shown]
	ds_load_2addr_b64 v[51:54], v4 offset0:128 offset1:160
	v_pk_fma_f16 v94, v48, v64, v96
	v_pk_fma_f16 v89, v48, v93, v89
	;; [unrolled: 1-line block ×6, first 2 shown]
	v_and_b32_e32 v92, 0xffff, v85
	v_pk_fma_f16 v56, v49, v64, v56
	v_pk_fma_f16 v63, v50, v64, v63
	;; [unrolled: 1-line block ×3, first 2 shown]
	v_and_b32_e32 v6, 0xffff, v84
	v_mul_u32_u24_e32 v92, 0x10001, v92
	v_lshrrev_b32_e32 v84, 16, v84
	v_lshrrev_b32_e32 v85, 16, v85
	v_pk_fma_f16 v59, v50, v61, v59
	v_mul_u32_u24_e32 v61, 0x10001, v6
	v_pk_fma_f16 v50, v50, v62, v7
	v_mul_u32_u24_e32 v84, 0x10001, v84
	v_mul_u32_u24_e32 v85, 0x10001, v85
	s_wait_dscnt 0x0
	v_pk_fma_f16 v93, v52, v92, v5
	ds_load_2addr_b64 v[4:7], v4 offset0:192 offset1:224
	s_wait_loadcnt_dscnt 0x0
	s_barrier_signal -1
	s_barrier_wait -1
	global_inv scope:SCOPE_SE
	s_load_b32 s25, s[6:7], 0x4
	v_pk_fma_f16 v49, v49, v62, v97
	v_pk_fma_f16 v55, v51, v61, v55
	;; [unrolled: 1-line block ×5, first 2 shown]
	v_and_b32_e32 v47, 0xffff, v86
	v_pk_fma_f16 v88, v52, v61, v94
	v_pk_fma_f16 v89, v52, v84, v89
	;; [unrolled: 1-line block ×7, first 2 shown]
	v_lshrrev_b32_e32 v49, 16, v86
	v_lshrrev_b32_e32 v53, 16, v87
	v_mul_u32_u24_e32 v86, 0x10001, v47
	v_and_b32_e32 v47, 0xffff, v87
	v_pk_fma_f16 v63, v54, v61, v63
	v_pk_fma_f16 v84, v54, v84, v64
	;; [unrolled: 1-line block ×3, first 2 shown]
	v_mul_u32_u24_e32 v87, 0x10001, v49
	v_mul_u32_u24_e32 v95, 0x10001, v47
	;; [unrolled: 1-line block ×3, first 2 shown]
	v_pk_fma_f16 v85, v54, v85, v50
	s_wait_kmcnt 0x0
	s_lshl_b32 s25, s25, 6
	v_pk_fma_f16 v56, v4, v86, v55
	v_pk_fma_f16 v49, v4, v87, v60
	;; [unrolled: 1-line block ×16, first 2 shown]
	s_wait_alu 0xfffe
	s_add_co_i32 s24, s25, s24
	s_wait_alu 0xfffe
	s_cmp_lt_i32 s24, s3
	s_cbranch_scc0 .LBB70_63
; %bb.57:                               ;   in Loop: Header=BB70_8 Depth=1
	v_dual_mov_b32 v89, v0 :: v_dual_mov_b32 v90, v2
	v_dual_mov_b32 v91, v1 :: v_dual_mov_b32 v88, v3
	;; [unrolled: 1-line block ×4, first 2 shown]
	s_branch .LBB70_8
.LBB70_58:                              ;   in Loop: Header=BB70_8 Depth=1
	v_mov_b32_e32 v3, 0
	v_cmp_ngt_f32_e64 s31, 0x3f200000, |v95|
                                        ; implicit-def: $vgpr4
	s_and_saveexec_b32 s37, s31
	s_delay_alu instid0(SALU_CYCLE_1)
	s_xor_b32 s31, exec_lo, s37
	s_cbranch_execz .LBB70_15
	s_branch .LBB70_14
.LBB70_59:                              ;   in Loop: Header=BB70_8 Depth=1
	v_mov_b32_e32 v97, 0
	v_cmp_ngt_f32_e64 s31, 0x3f200000, |v93|
                                        ; implicit-def: $vgpr100
	s_and_saveexec_b32 s37, s31
	s_delay_alu instid0(SALU_CYCLE_1)
	s_xor_b32 s31, exec_lo, s37
	s_cbranch_execz .LBB70_27
	s_branch .LBB70_26
.LBB70_60:                              ;   in Loop: Header=BB70_8 Depth=1
	v_mov_b32_e32 v100, 0
	v_cmp_ngt_f32_e64 s31, 0x3f200000, |v44|
                                        ; implicit-def: $vgpr103
	s_and_saveexec_b32 s37, s31
	s_delay_alu instid0(SALU_CYCLE_1)
	s_xor_b32 s31, exec_lo, s37
	s_cbranch_execz .LBB70_39
	s_branch .LBB70_38
.LBB70_61:                              ;   in Loop: Header=BB70_8 Depth=1
	v_mov_b32_e32 v101, 0
	v_cmp_ngt_f32_e64 s31, 0x3f200000, |v42|
                                        ; implicit-def: $vgpr105
	s_and_saveexec_b32 s37, s31
	s_delay_alu instid0(SALU_CYCLE_1)
	s_xor_b32 s31, exec_lo, s37
	s_cbranch_execz .LBB70_51
	s_branch .LBB70_50
.LBB70_62:
	v_dual_mov_b32 v0, 0xfeffffff :: v_dual_mov_b32 v43, 0
	v_mov_b32_e32 v56, 0
	v_mov_b32_e32 v42, 0
	v_dual_mov_b32 v44, 0 :: v_dual_mov_b32 v49, 0
	s_delay_alu instid0(VALU_DEP_4)
	v_dual_mov_b32 v1, v0 :: v_dual_mov_b32 v2, v0
	v_mov_b32_e32 v63, 0
	v_dual_mov_b32 v3, v0 :: v_dual_mov_b32 v64, 0
	v_dual_mov_b32 v61, 0 :: v_dual_mov_b32 v62, 0
	v_dual_mov_b32 v59, 0 :: v_dual_mov_b32 v60, 0
	v_mov_b32_e32 v47, 0
	v_dual_mov_b32 v55, 0 :: v_dual_mov_b32 v52, 0
	v_dual_mov_b32 v51, 0 :: v_dual_mov_b32 v54, 0
	;; [unrolled: 1-line block ×3, first 2 shown]
	v_mov_b32_e32 v48, 0
.LBB70_63:
	s_cmp_gt_i32 s2, s24
	s_cbranch_scc1 .LBB70_66
; %bb.64:
	v_mbcnt_lo_u32_b32 v4, -1, 0
	v_mov_b32_e32 v23, 32
	s_delay_alu instid0(VALU_DEP_2)
	v_xor_b32_e32 v71, 16, v4
	v_xor_b32_e32 v70, 8, v4
	;; [unrolled: 1-line block ×5, first 2 shown]
	s_cbranch_execz .LBB70_67
; %bb.65:
	v_mov_b32_e32 v36, v4
	s_branch .LBB70_140
.LBB70_66:
                                        ; implicit-def: $vgpr4
                                        ; implicit-def: $vgpr23
                                        ; implicit-def: $vgpr71
                                        ; implicit-def: $vgpr70
                                        ; implicit-def: $vgpr69
                                        ; implicit-def: $vgpr25
                                        ; implicit-def: $vgpr24
.LBB70_67:
	v_lshl_add_u32 v7, v39, 1, v68
	s_ashr_i32 s25, s24, 31
	s_ashr_i32 s29, s28, 31
	v_dual_mov_b32 v9, 0 :: v_dual_lshlrev_b32 v22, 2, v67
	s_delay_alu instid0(VALU_DEP_2)
	v_mul_lo_u32 v10, s28, v7
	s_wait_alu 0xfffe
	s_mul_u64 s[8:9], s[24:25], s[28:29]
	s_sub_co_i32 s29, s2, s24
	s_wait_alu 0xfffe
	s_lshl_b64 s[2:3], s[8:9], 2
	s_mov_b32 s40, 0
	s_add_nc_u64 s[8:9], s[4:5], s[2:3]
	v_cmp_gt_i32_e64 s4, s29, v7
	s_mov_b64 s[6:7], src_private_base
	v_ashrrev_i32_e32 v11, 31, v10
	s_wait_alu 0xfffe
	s_mov_b32 s41, s40
	s_mov_b32 s42, s40
	s_lshl_b32 s3, s28, 4
	v_add_nc_u32_e32 v23, 32, v7
	v_lshlrev_b64_e32 v[4:5], 2, v[10:11]
	v_add_nc_u32_e32 v15, s3, v10
	s_delay_alu instid0(VALU_DEP_2) | instskip(SKIP_1) | instid1(VALU_DEP_3)
	v_add_co_u32 v4, vcc_lo, s8, v4
	s_wait_alu 0xfffd
	v_add_co_ci_u32_e64 v5, null, s9, v5, vcc_lo
	s_delay_alu instid0(VALU_DEP_3) | instskip(NEXT) | instid1(VALU_DEP_3)
	v_ashrrev_i32_e32 v16, 31, v15
	v_add_co_u32 v24, vcc_lo, v4, v22
	s_wait_alu 0xfffd
	s_delay_alu instid0(VALU_DEP_3) | instskip(SKIP_3) | instid1(VALU_DEP_3)
	v_add_co_ci_u32_e64 v25, null, 0, v5, vcc_lo
	s_wait_alu 0xfffe
	v_dual_mov_b32 v4, s40 :: v_dual_mov_b32 v5, s41
	v_mov_b32_e32 v6, s42
	v_cndmask_b32_e64 v12, s7, v25, s4
	v_cndmask_b32_e64 v11, 0, v24, s4
	s_clause 0x1
	scratch_store_b32 off, v9, off
	scratch_store_b96 off, v[4:6], off offset:4
	v_add_co_u32 v24, s5, 0x100, v24
	flat_load_b128 v[11:14], v[11:12]
	v_lshlrev_b64_e32 v[16:17], 2, v[15:16]
	s_clause 0x1
	scratch_store_b32 off, v9, off
	scratch_store_b96 off, v[4:6], off offset:4
	v_add_nc_u32_e32 v15, s3, v15
	s_wait_alu 0xf1ff
	v_add_co_ci_u32_e64 v25, null, 0, v25, s5
	v_cndmask_b32_e64 v24, 0, v24, s4
	v_add_co_u32 v10, vcc_lo, s8, v16
	s_wait_alu 0xfffd
	v_add_co_ci_u32_e64 v16, null, s9, v17, vcc_lo
	v_cndmask_b32_e64 v25, s7, v25, s4
	s_delay_alu instid0(VALU_DEP_3)
	v_add_co_u32 v18, vcc_lo, v10, v22
	v_add_nc_u32_e32 v17, 16, v7
	s_wait_alu 0xfffd
	v_add_co_ci_u32_e64 v19, null, 0, v16, vcc_lo
	v_mad_u32_u24 v10, 0x110, v7, v22
	v_add_nc_u32_e32 v7, 48, v7
	v_cmp_gt_i32_e32 vcc_lo, s29, v17
	s_wait_alu 0xfffd
	v_cndmask_b32_e32 v17, s7, v19, vcc_lo
	v_cndmask_b32_e32 v16, 0, v18, vcc_lo
	v_add_co_u32 v18, s4, 0x100, v18
	s_wait_alu 0xf1ff
	v_add_co_ci_u32_e64 v19, null, 0, v19, s4
	s_delay_alu instid0(VALU_DEP_2) | instskip(NEXT) | instid1(VALU_DEP_2)
	v_cndmask_b32_e32 v18, 0, v18, vcc_lo
	v_cndmask_b32_e32 v19, s7, v19, vcc_lo
	s_wait_loadcnt_dscnt 0x0
	ds_store_b128 v10, v[11:14]
	flat_load_b128 v[11:14], v[16:17]
	v_ashrrev_i32_e32 v16, 31, v15
	s_clause 0x1
	scratch_store_b32 off, v9, off
	scratch_store_b96 off, v[4:6], off offset:4
	v_lshlrev_b64_e32 v[16:17], 2, v[15:16]
	v_add_nc_u32_e32 v15, s3, v15
	s_delay_alu instid0(VALU_DEP_2) | instskip(SKIP_1) | instid1(VALU_DEP_3)
	v_add_co_u32 v16, s2, s8, v16
	s_wait_alu 0xf1ff
	v_add_co_ci_u32_e64 v17, null, s9, v17, s2
	s_delay_alu instid0(VALU_DEP_2) | instskip(SKIP_1) | instid1(VALU_DEP_2)
	v_add_co_u32 v20, s2, v16, v22
	s_wait_alu 0xf1ff
	v_add_co_ci_u32_e64 v21, null, 0, v17, s2
	v_cmp_gt_i32_e64 s2, s29, v23
	s_wait_alu 0xf1ff
	s_delay_alu instid0(VALU_DEP_1)
	v_cndmask_b32_e64 v17, s7, v21, s2
	v_cndmask_b32_e64 v16, 0, v20, s2
	s_wait_loadcnt_dscnt 0x0
	ds_store_b128 v10, v[11:14] offset:4352
	flat_load_b128 v[11:14], v[16:17]
	v_ashrrev_i32_e32 v16, 31, v15
	s_clause 0x1
	scratch_store_b32 off, v9, off
	scratch_store_b96 off, v[4:6], off offset:4
	v_mov_b32_e32 v17, 0
	v_lshlrev_b64_e32 v[15:16], 2, v[15:16]
	s_delay_alu instid0(VALU_DEP_1) | instskip(SKIP_1) | instid1(VALU_DEP_2)
	v_add_co_u32 v15, s3, s8, v15
	s_wait_alu 0xf1ff
	v_add_co_ci_u32_e64 v16, null, s9, v16, s3
	s_delay_alu instid0(VALU_DEP_2) | instskip(SKIP_1) | instid1(VALU_DEP_2)
	v_add_co_u32 v22, s3, v15, v22
	s_wait_alu 0xf1ff
	v_add_co_ci_u32_e64 v23, null, 0, v16, s3
	v_cmp_gt_i32_e64 s3, s29, v7
	v_mov_b32_e32 v7, 0
	s_wait_alu 0xf1ff
	s_delay_alu instid0(VALU_DEP_2)
	v_cndmask_b32_e64 v16, s7, v23, s3
	v_cndmask_b32_e64 v15, 0, v22, s3
	s_wait_loadcnt_dscnt 0x0
	ds_store_b128 v10, v[11:14] offset:8704
	flat_load_b128 v[11:14], v[15:16]
	v_dual_mov_b32 v16, 0 :: v_dual_mov_b32 v15, 0
	s_wait_loadcnt_dscnt 0x0
	ds_store_b128 v10, v[11:14] offset:13056
	s_wait_storecnt_dscnt 0x0
	s_barrier_signal -1
	s_barrier_wait -1
	global_inv scope:SCOPE_SE
	ds_load_b128 v[67:70], v66
	ds_load_b128 v[71:74], v65 offset:17408
	ds_load_b128 v[75:78], v65 offset:17920
	;; [unrolled: 1-line block ×5, first 2 shown]
	v_mov_b32_e32 v14, 0
	v_dual_mov_b32 v12, 0 :: v_dual_mov_b32 v13, 0
	v_mov_b32_e32 v11, 0
	s_wait_dscnt 0x4
	;;#ASMSTART
	v_dot2_f32_f16 v7, v67, v71, v7
	;;#ASMEND
	;;#ASMSTART
	v_dot2_f32_f16 v7, v68, v72, v7
	;;#ASMEND
	;;#ASMSTART
	v_dot2_f32_f16 v7, v69, v73, v7
	;;#ASMEND
	;;#ASMSTART
	v_dot2_f32_f16 v7, v70, v74, v7
	;;#ASMEND
	s_wait_dscnt 0x3
	;;#ASMSTART
	v_dot2_f32_f16 v16, v67, v75, v16
	;;#ASMEND
	;;#ASMSTART
	v_dot2_f32_f16 v16, v68, v76, v16
	;;#ASMEND
	;;#ASMSTART
	v_dot2_f32_f16 v16, v69, v77, v16
	;;#ASMEND
	;;#ASMSTART
	v_dot2_f32_f16 v16, v70, v78, v16
	;;#ASMEND
	;; [unrolled: 13-line block ×5, first 2 shown]
	;;#ASMSTART
	v_dot2_f32_f16 v15, v87, v75, v15
	;;#ASMEND
	;;#ASMSTART
	v_dot2_f32_f16 v15, v88, v76, v15
	;;#ASMEND
	;; [unrolled: 3-line block ×12, first 2 shown]
	ds_load_b128 v[67:70], v66 offset:16
	ds_load_b128 v[71:74], v65 offset:17424
	;; [unrolled: 1-line block ×6, first 2 shown]
	s_wait_dscnt 0x4
	;;#ASMSTART
	v_dot2_f32_f16 v7, v67, v71, v7
	;;#ASMEND
	;;#ASMSTART
	v_dot2_f32_f16 v7, v68, v72, v7
	;;#ASMEND
	;;#ASMSTART
	v_dot2_f32_f16 v7, v69, v73, v7
	;;#ASMEND
	;;#ASMSTART
	v_dot2_f32_f16 v7, v70, v74, v7
	;;#ASMEND
	s_wait_dscnt 0x3
	;;#ASMSTART
	v_dot2_f32_f16 v16, v67, v75, v16
	;;#ASMEND
	;;#ASMSTART
	v_dot2_f32_f16 v16, v68, v76, v16
	;;#ASMEND
	;;#ASMSTART
	v_dot2_f32_f16 v16, v69, v77, v16
	;;#ASMEND
	;;#ASMSTART
	v_dot2_f32_f16 v16, v70, v78, v16
	;;#ASMEND
	;; [unrolled: 13-line block ×5, first 2 shown]
	;;#ASMSTART
	v_dot2_f32_f16 v15, v87, v75, v15
	;;#ASMEND
	;;#ASMSTART
	v_dot2_f32_f16 v15, v88, v76, v15
	;;#ASMEND
	;; [unrolled: 3-line block ×12, first 2 shown]
	ds_load_b128 v[67:70], v66 offset:32
	ds_load_b128 v[71:74], v65 offset:17440
	;; [unrolled: 1-line block ×6, first 2 shown]
	s_wait_dscnt 0x4
	;;#ASMSTART
	v_dot2_f32_f16 v7, v67, v71, v7
	;;#ASMEND
	;;#ASMSTART
	v_dot2_f32_f16 v7, v68, v72, v7
	;;#ASMEND
	;;#ASMSTART
	v_dot2_f32_f16 v7, v69, v73, v7
	;;#ASMEND
	;;#ASMSTART
	v_dot2_f32_f16 v7, v70, v74, v7
	;;#ASMEND
	s_wait_dscnt 0x3
	;;#ASMSTART
	v_dot2_f32_f16 v16, v67, v75, v16
	;;#ASMEND
	;;#ASMSTART
	v_dot2_f32_f16 v16, v68, v76, v16
	;;#ASMEND
	;;#ASMSTART
	v_dot2_f32_f16 v16, v69, v77, v16
	;;#ASMEND
	;;#ASMSTART
	v_dot2_f32_f16 v16, v70, v78, v16
	;;#ASMEND
	;; [unrolled: 13-line block ×5, first 2 shown]
	;;#ASMSTART
	v_dot2_f32_f16 v15, v87, v75, v15
	;;#ASMEND
	;;#ASMSTART
	v_dot2_f32_f16 v15, v88, v76, v15
	;;#ASMEND
	;; [unrolled: 3-line block ×12, first 2 shown]
	ds_load_b128 v[67:70], v66 offset:48
	ds_load_b128 v[71:74], v65 offset:17456
	;; [unrolled: 1-line block ×6, first 2 shown]
	s_wait_dscnt 0x4
	;;#ASMSTART
	v_dot2_f32_f16 v7, v67, v71, v7
	;;#ASMEND
	;;#ASMSTART
	v_dot2_f32_f16 v7, v68, v72, v7
	;;#ASMEND
	;;#ASMSTART
	v_dot2_f32_f16 v7, v69, v73, v7
	;;#ASMEND
	;;#ASMSTART
	v_dot2_f32_f16 v7, v70, v74, v7
	;;#ASMEND
	s_wait_dscnt 0x3
	;;#ASMSTART
	v_dot2_f32_f16 v16, v67, v75, v16
	;;#ASMEND
	;;#ASMSTART
	v_dot2_f32_f16 v16, v68, v76, v16
	;;#ASMEND
	;;#ASMSTART
	v_dot2_f32_f16 v16, v69, v77, v16
	;;#ASMEND
	;;#ASMSTART
	v_dot2_f32_f16 v16, v70, v78, v16
	;;#ASMEND
	;; [unrolled: 13-line block ×5, first 2 shown]
	;;#ASMSTART
	v_dot2_f32_f16 v15, v87, v75, v15
	;;#ASMEND
	;;#ASMSTART
	v_dot2_f32_f16 v15, v88, v76, v15
	;;#ASMEND
	;; [unrolled: 3-line block ×12, first 2 shown]
	ds_load_b128 v[67:70], v66 offset:64
	ds_load_b128 v[71:74], v65 offset:17472
	;; [unrolled: 1-line block ×6, first 2 shown]
	s_wait_dscnt 0x4
	;;#ASMSTART
	v_dot2_f32_f16 v7, v67, v71, v7
	;;#ASMEND
	;;#ASMSTART
	v_dot2_f32_f16 v7, v68, v72, v7
	;;#ASMEND
	;;#ASMSTART
	v_dot2_f32_f16 v7, v69, v73, v7
	;;#ASMEND
	;;#ASMSTART
	v_dot2_f32_f16 v7, v70, v74, v7
	;;#ASMEND
	s_wait_dscnt 0x3
	;;#ASMSTART
	v_dot2_f32_f16 v16, v67, v75, v16
	;;#ASMEND
	;;#ASMSTART
	v_dot2_f32_f16 v16, v68, v76, v16
	;;#ASMEND
	;;#ASMSTART
	v_dot2_f32_f16 v16, v69, v77, v16
	;;#ASMEND
	;;#ASMSTART
	v_dot2_f32_f16 v16, v70, v78, v16
	;;#ASMEND
	;; [unrolled: 13-line block ×5, first 2 shown]
	;;#ASMSTART
	v_dot2_f32_f16 v15, v87, v75, v15
	;;#ASMEND
	;;#ASMSTART
	v_dot2_f32_f16 v15, v88, v76, v15
	;;#ASMEND
	;; [unrolled: 3-line block ×12, first 2 shown]
	ds_load_b128 v[67:70], v66 offset:80
	ds_load_b128 v[71:74], v65 offset:17488
	;; [unrolled: 1-line block ×6, first 2 shown]
	s_wait_dscnt 0x4
	;;#ASMSTART
	v_dot2_f32_f16 v7, v67, v71, v7
	;;#ASMEND
	;;#ASMSTART
	v_dot2_f32_f16 v7, v68, v72, v7
	;;#ASMEND
	;;#ASMSTART
	v_dot2_f32_f16 v7, v69, v73, v7
	;;#ASMEND
	;;#ASMSTART
	v_dot2_f32_f16 v7, v70, v74, v7
	;;#ASMEND
	s_wait_dscnt 0x3
	;;#ASMSTART
	v_dot2_f32_f16 v16, v67, v75, v16
	;;#ASMEND
	;;#ASMSTART
	v_dot2_f32_f16 v16, v68, v76, v16
	;;#ASMEND
	;;#ASMSTART
	v_dot2_f32_f16 v16, v69, v77, v16
	;;#ASMEND
	;;#ASMSTART
	v_dot2_f32_f16 v16, v70, v78, v16
	;;#ASMEND
	s_wait_dscnt 0x2
	;;#ASMSTART
	v_dot2_f32_f16 v14, v67, v79, v14
	;;#ASMEND
	;;#ASMSTART
	v_dot2_f32_f16 v14, v68, v80, v14
	;;#ASMEND
	;;#ASMSTART
	v_dot2_f32_f16 v14, v69, v81, v14
	;;#ASMEND
	;;#ASMSTART
	v_dot2_f32_f16 v14, v70, v82, v14
	;;#ASMEND
	s_wait_dscnt 0x1
	;;#ASMSTART
	v_dot2_f32_f16 v12, v67, v83, v12
	;;#ASMEND
	;;#ASMSTART
	v_dot2_f32_f16 v12, v68, v84, v12
	;;#ASMEND
	;;#ASMSTART
	v_dot2_f32_f16 v12, v69, v85, v12
	;;#ASMEND
	;;#ASMSTART
	v_dot2_f32_f16 v12, v70, v86, v12
	;;#ASMEND
	s_wait_dscnt 0x0
	;;#ASMSTART
	v_dot2_f32_f16 v17, v87, v71, v17
	;;#ASMEND
	;;#ASMSTART
	v_dot2_f32_f16 v17, v88, v72, v17
	;;#ASMEND
	;;#ASMSTART
	v_dot2_f32_f16 v17, v89, v73, v17
	;;#ASMEND
	;;#ASMSTART
	v_dot2_f32_f16 v17, v90, v74, v17
	;;#ASMEND
	;;#ASMSTART
	v_dot2_f32_f16 v15, v87, v75, v15
	;;#ASMEND
	;;#ASMSTART
	v_dot2_f32_f16 v15, v88, v76, v15
	;;#ASMEND
	;; [unrolled: 3-line block ×12, first 2 shown]
	ds_load_b128 v[67:70], v66 offset:96
	ds_load_b128 v[71:74], v65 offset:17504
	;; [unrolled: 1-line block ×6, first 2 shown]
	s_wait_dscnt 0x4
	;;#ASMSTART
	v_dot2_f32_f16 v7, v67, v71, v7
	;;#ASMEND
	;;#ASMSTART
	v_dot2_f32_f16 v7, v68, v72, v7
	;;#ASMEND
	;;#ASMSTART
	v_dot2_f32_f16 v7, v69, v73, v7
	;;#ASMEND
	;;#ASMSTART
	v_dot2_f32_f16 v7, v70, v74, v7
	;;#ASMEND
	s_wait_dscnt 0x3
	;;#ASMSTART
	v_dot2_f32_f16 v16, v67, v75, v16
	;;#ASMEND
	;;#ASMSTART
	v_dot2_f32_f16 v16, v68, v76, v16
	;;#ASMEND
	;;#ASMSTART
	v_dot2_f32_f16 v16, v69, v77, v16
	;;#ASMEND
	;;#ASMSTART
	v_dot2_f32_f16 v16, v70, v78, v16
	;;#ASMEND
	;; [unrolled: 13-line block ×5, first 2 shown]
	;;#ASMSTART
	v_dot2_f32_f16 v15, v87, v75, v15
	;;#ASMEND
	;;#ASMSTART
	v_dot2_f32_f16 v15, v88, v76, v15
	;;#ASMEND
	;; [unrolled: 3-line block ×12, first 2 shown]
	ds_load_b128 v[67:70], v66 offset:112
	ds_load_b128 v[71:74], v65 offset:17520
	;; [unrolled: 1-line block ×6, first 2 shown]
	s_wait_dscnt 0x4
	;;#ASMSTART
	v_dot2_f32_f16 v7, v67, v71, v7
	;;#ASMEND
	;;#ASMSTART
	v_dot2_f32_f16 v7, v68, v72, v7
	;;#ASMEND
	;;#ASMSTART
	v_dot2_f32_f16 v7, v69, v73, v7
	;;#ASMEND
	;;#ASMSTART
	v_dot2_f32_f16 v7, v70, v74, v7
	;;#ASMEND
	s_wait_dscnt 0x3
	;;#ASMSTART
	v_dot2_f32_f16 v16, v67, v75, v16
	;;#ASMEND
	;;#ASMSTART
	v_dot2_f32_f16 v16, v68, v76, v16
	;;#ASMEND
	;;#ASMSTART
	v_dot2_f32_f16 v16, v69, v77, v16
	;;#ASMEND
	;;#ASMSTART
	v_dot2_f32_f16 v16, v70, v78, v16
	;;#ASMEND
	;; [unrolled: 13-line block ×5, first 2 shown]
	;;#ASMSTART
	v_dot2_f32_f16 v15, v87, v75, v15
	;;#ASMEND
	;;#ASMSTART
	v_dot2_f32_f16 v15, v88, v76, v15
	;;#ASMEND
	;; [unrolled: 3-line block ×12, first 2 shown]
	ds_load_b128 v[67:70], v66 offset:128
	ds_load_b128 v[71:74], v65 offset:17536
	;; [unrolled: 1-line block ×6, first 2 shown]
	s_wait_dscnt 0x4
	;;#ASMSTART
	v_dot2_f32_f16 v7, v67, v71, v7
	;;#ASMEND
	;;#ASMSTART
	v_dot2_f32_f16 v7, v68, v72, v7
	;;#ASMEND
	;;#ASMSTART
	v_dot2_f32_f16 v7, v69, v73, v7
	;;#ASMEND
	;;#ASMSTART
	v_dot2_f32_f16 v7, v70, v74, v7
	;;#ASMEND
	s_wait_dscnt 0x3
	;;#ASMSTART
	v_dot2_f32_f16 v16, v67, v75, v16
	;;#ASMEND
	;;#ASMSTART
	v_dot2_f32_f16 v16, v68, v76, v16
	;;#ASMEND
	;;#ASMSTART
	v_dot2_f32_f16 v16, v69, v77, v16
	;;#ASMEND
	;;#ASMSTART
	v_dot2_f32_f16 v16, v70, v78, v16
	;;#ASMEND
	;; [unrolled: 13-line block ×5, first 2 shown]
	;;#ASMSTART
	v_dot2_f32_f16 v15, v87, v75, v15
	;;#ASMEND
	;;#ASMSTART
	v_dot2_f32_f16 v15, v88, v76, v15
	;;#ASMEND
	;; [unrolled: 3-line block ×12, first 2 shown]
	ds_load_b128 v[67:70], v66 offset:144
	ds_load_b128 v[71:74], v65 offset:17552
	;; [unrolled: 1-line block ×6, first 2 shown]
	s_wait_dscnt 0x4
	;;#ASMSTART
	v_dot2_f32_f16 v7, v67, v71, v7
	;;#ASMEND
	;;#ASMSTART
	v_dot2_f32_f16 v7, v68, v72, v7
	;;#ASMEND
	;;#ASMSTART
	v_dot2_f32_f16 v7, v69, v73, v7
	;;#ASMEND
	;;#ASMSTART
	v_dot2_f32_f16 v7, v70, v74, v7
	;;#ASMEND
	s_wait_dscnt 0x3
	;;#ASMSTART
	v_dot2_f32_f16 v16, v67, v75, v16
	;;#ASMEND
	;;#ASMSTART
	v_dot2_f32_f16 v16, v68, v76, v16
	;;#ASMEND
	;;#ASMSTART
	v_dot2_f32_f16 v16, v69, v77, v16
	;;#ASMEND
	;;#ASMSTART
	v_dot2_f32_f16 v16, v70, v78, v16
	;;#ASMEND
	;; [unrolled: 13-line block ×5, first 2 shown]
	;;#ASMSTART
	v_dot2_f32_f16 v15, v87, v75, v15
	;;#ASMEND
	;;#ASMSTART
	v_dot2_f32_f16 v15, v88, v76, v15
	;;#ASMEND
	;; [unrolled: 3-line block ×12, first 2 shown]
	ds_load_b128 v[67:70], v66 offset:160
	ds_load_b128 v[71:74], v65 offset:17568
	;; [unrolled: 1-line block ×6, first 2 shown]
	s_wait_dscnt 0x4
	;;#ASMSTART
	v_dot2_f32_f16 v7, v67, v71, v7
	;;#ASMEND
	;;#ASMSTART
	v_dot2_f32_f16 v7, v68, v72, v7
	;;#ASMEND
	;;#ASMSTART
	v_dot2_f32_f16 v7, v69, v73, v7
	;;#ASMEND
	;;#ASMSTART
	v_dot2_f32_f16 v7, v70, v74, v7
	;;#ASMEND
	s_wait_dscnt 0x3
	;;#ASMSTART
	v_dot2_f32_f16 v16, v67, v75, v16
	;;#ASMEND
	;;#ASMSTART
	v_dot2_f32_f16 v16, v68, v76, v16
	;;#ASMEND
	;;#ASMSTART
	v_dot2_f32_f16 v16, v69, v77, v16
	;;#ASMEND
	;;#ASMSTART
	v_dot2_f32_f16 v16, v70, v78, v16
	;;#ASMEND
	;; [unrolled: 13-line block ×5, first 2 shown]
	;;#ASMSTART
	v_dot2_f32_f16 v15, v87, v75, v15
	;;#ASMEND
	;;#ASMSTART
	v_dot2_f32_f16 v15, v88, v76, v15
	;;#ASMEND
	;; [unrolled: 3-line block ×12, first 2 shown]
	ds_load_b128 v[67:70], v66 offset:176
	ds_load_b128 v[71:74], v65 offset:17584
	;; [unrolled: 1-line block ×6, first 2 shown]
	s_wait_dscnt 0x4
	;;#ASMSTART
	v_dot2_f32_f16 v7, v67, v71, v7
	;;#ASMEND
	;;#ASMSTART
	v_dot2_f32_f16 v7, v68, v72, v7
	;;#ASMEND
	;;#ASMSTART
	v_dot2_f32_f16 v7, v69, v73, v7
	;;#ASMEND
	;;#ASMSTART
	v_dot2_f32_f16 v7, v70, v74, v7
	;;#ASMEND
	s_wait_dscnt 0x3
	;;#ASMSTART
	v_dot2_f32_f16 v16, v67, v75, v16
	;;#ASMEND
	;;#ASMSTART
	v_dot2_f32_f16 v16, v68, v76, v16
	;;#ASMEND
	;;#ASMSTART
	v_dot2_f32_f16 v16, v69, v77, v16
	;;#ASMEND
	;;#ASMSTART
	v_dot2_f32_f16 v16, v70, v78, v16
	;;#ASMEND
	;; [unrolled: 13-line block ×5, first 2 shown]
	;;#ASMSTART
	v_dot2_f32_f16 v15, v87, v75, v15
	;;#ASMEND
	;;#ASMSTART
	v_dot2_f32_f16 v15, v88, v76, v15
	;;#ASMEND
	;; [unrolled: 3-line block ×12, first 2 shown]
	ds_load_b128 v[67:70], v66 offset:192
	ds_load_b128 v[71:74], v65 offset:17600
	;; [unrolled: 1-line block ×6, first 2 shown]
	s_wait_dscnt 0x4
	;;#ASMSTART
	v_dot2_f32_f16 v7, v67, v71, v7
	;;#ASMEND
	;;#ASMSTART
	v_dot2_f32_f16 v7, v68, v72, v7
	;;#ASMEND
	;;#ASMSTART
	v_dot2_f32_f16 v7, v69, v73, v7
	;;#ASMEND
	;;#ASMSTART
	v_dot2_f32_f16 v7, v70, v74, v7
	;;#ASMEND
	s_wait_dscnt 0x3
	;;#ASMSTART
	v_dot2_f32_f16 v16, v67, v75, v16
	;;#ASMEND
	;;#ASMSTART
	v_dot2_f32_f16 v16, v68, v76, v16
	;;#ASMEND
	;;#ASMSTART
	v_dot2_f32_f16 v16, v69, v77, v16
	;;#ASMEND
	;;#ASMSTART
	v_dot2_f32_f16 v16, v70, v78, v16
	;;#ASMEND
	;; [unrolled: 13-line block ×5, first 2 shown]
	;;#ASMSTART
	v_dot2_f32_f16 v15, v87, v75, v15
	;;#ASMEND
	;;#ASMSTART
	v_dot2_f32_f16 v15, v88, v76, v15
	;;#ASMEND
	;; [unrolled: 3-line block ×12, first 2 shown]
	ds_load_b128 v[67:70], v66 offset:208
	ds_load_b128 v[71:74], v65 offset:17616
	;; [unrolled: 1-line block ×6, first 2 shown]
	s_wait_dscnt 0x4
	;;#ASMSTART
	v_dot2_f32_f16 v7, v67, v71, v7
	;;#ASMEND
	;;#ASMSTART
	v_dot2_f32_f16 v7, v68, v72, v7
	;;#ASMEND
	;;#ASMSTART
	v_dot2_f32_f16 v7, v69, v73, v7
	;;#ASMEND
	;;#ASMSTART
	v_dot2_f32_f16 v7, v70, v74, v7
	;;#ASMEND
	s_wait_dscnt 0x3
	;;#ASMSTART
	v_dot2_f32_f16 v16, v67, v75, v16
	;;#ASMEND
	;;#ASMSTART
	v_dot2_f32_f16 v16, v68, v76, v16
	;;#ASMEND
	;;#ASMSTART
	v_dot2_f32_f16 v16, v69, v77, v16
	;;#ASMEND
	;;#ASMSTART
	v_dot2_f32_f16 v16, v70, v78, v16
	;;#ASMEND
	;; [unrolled: 13-line block ×5, first 2 shown]
	;;#ASMSTART
	v_dot2_f32_f16 v15, v87, v75, v15
	;;#ASMEND
	;;#ASMSTART
	v_dot2_f32_f16 v15, v88, v76, v15
	;;#ASMEND
	;; [unrolled: 3-line block ×12, first 2 shown]
	ds_load_b128 v[67:70], v66 offset:224
	ds_load_b128 v[71:74], v65 offset:17632
	;; [unrolled: 1-line block ×6, first 2 shown]
	s_wait_dscnt 0x4
	;;#ASMSTART
	v_dot2_f32_f16 v7, v67, v71, v7
	;;#ASMEND
	;;#ASMSTART
	v_dot2_f32_f16 v7, v68, v72, v7
	;;#ASMEND
	;;#ASMSTART
	v_dot2_f32_f16 v7, v69, v73, v7
	;;#ASMEND
	;;#ASMSTART
	v_dot2_f32_f16 v7, v70, v74, v7
	;;#ASMEND
	s_wait_dscnt 0x3
	;;#ASMSTART
	v_dot2_f32_f16 v16, v67, v75, v16
	;;#ASMEND
	;;#ASMSTART
	v_dot2_f32_f16 v16, v68, v76, v16
	;;#ASMEND
	;;#ASMSTART
	v_dot2_f32_f16 v16, v69, v77, v16
	;;#ASMEND
	;;#ASMSTART
	v_dot2_f32_f16 v16, v70, v78, v16
	;;#ASMEND
	;; [unrolled: 13-line block ×5, first 2 shown]
	;;#ASMSTART
	v_dot2_f32_f16 v15, v87, v75, v15
	;;#ASMEND
	;;#ASMSTART
	v_dot2_f32_f16 v15, v88, v76, v15
	;;#ASMEND
	;;#ASMSTART
	v_dot2_f32_f16 v15, v89, v77, v15
	;;#ASMEND
	;;#ASMSTART
	v_dot2_f32_f16 v15, v90, v78, v15
	;;#ASMEND
	;;#ASMSTART
	v_dot2_f32_f16 v13, v87, v79, v13
	;;#ASMEND
	;;#ASMSTART
	v_dot2_f32_f16 v13, v88, v80, v13
	;;#ASMEND
	;;#ASMSTART
	v_dot2_f32_f16 v13, v89, v81, v13
	;;#ASMEND
	;;#ASMSTART
	v_dot2_f32_f16 v13, v90, v82, v13
	;;#ASMEND
	;;#ASMSTART
	v_dot2_f32_f16 v11, v87, v83, v11
	;;#ASMEND
	;;#ASMSTART
	v_dot2_f32_f16 v11, v88, v84, v11
	;;#ASMEND
	;;#ASMSTART
	v_dot2_f32_f16 v11, v89, v85, v11
	;;#ASMEND
	;;#ASMSTART
	v_dot2_f32_f16 v11, v90, v86, v11
	;;#ASMEND
	ds_load_b128 v[67:70], v66 offset:240
	ds_load_b128 v[71:74], v65 offset:17648
	;; [unrolled: 1-line block ×6, first 2 shown]
	s_wait_dscnt 0x4
	;;#ASMSTART
	v_dot2_f32_f16 v7, v67, v71, v7
	;;#ASMEND
	;;#ASMSTART
	v_dot2_f32_f16 v7, v68, v72, v7
	;;#ASMEND
	;;#ASMSTART
	v_dot2_f32_f16 v7, v69, v73, v7
	;;#ASMEND
	;;#ASMSTART
	v_dot2_f32_f16 v7, v70, v74, v7
	;;#ASMEND
	s_wait_dscnt 0x3
	;;#ASMSTART
	v_dot2_f32_f16 v16, v67, v75, v16
	;;#ASMEND
	;;#ASMSTART
	v_dot2_f32_f16 v16, v68, v76, v16
	;;#ASMEND
	;;#ASMSTART
	v_dot2_f32_f16 v16, v69, v77, v16
	;;#ASMEND
	;;#ASMSTART
	v_dot2_f32_f16 v16, v70, v78, v16
	;;#ASMEND
	;; [unrolled: 13-line block ×5, first 2 shown]
	;;#ASMSTART
	v_dot2_f32_f16 v15, v87, v75, v15
	;;#ASMEND
	;;#ASMSTART
	v_dot2_f32_f16 v15, v88, v76, v15
	;;#ASMEND
	;; [unrolled: 3-line block ×12, first 2 shown]
	s_wait_loadcnt 0x0
	s_barrier_signal -1
	s_barrier_wait -1
	global_inv scope:SCOPE_SE
	s_clause 0x1
	scratch_store_b32 off, v9, off
	scratch_store_b96 off, v[4:6], off offset:4
	flat_load_b128 v[67:70], v[24:25]
	s_clause 0x1
	scratch_store_b32 off, v9, off
	scratch_store_b96 off, v[4:6], off offset:4
	s_wait_loadcnt_dscnt 0x0
	ds_store_b128 v10, v[67:70]
	flat_load_b128 v[67:70], v[18:19]
	v_add_co_u32 v18, vcc_lo, 0x100, v20
	s_wait_alu 0xfffd
	v_add_co_ci_u32_e64 v19, null, 0, v21, vcc_lo
	s_clause 0x1
	scratch_store_b32 off, v9, off
	scratch_store_b96 off, v[4:6], off offset:4
	v_cndmask_b32_e64 v18, 0, v18, s2
	v_add_co_u32 v22, vcc_lo, 0x100, v22
	v_cndmask_b32_e64 v19, s7, v19, s2
	s_wait_alu 0xfffd
	v_add_co_ci_u32_e64 v23, null, 0, v23, vcc_lo
	s_delay_alu instid0(VALU_DEP_3) | instskip(NEXT) | instid1(VALU_DEP_2)
	v_cndmask_b32_e64 v22, 0, v22, s3
	v_cndmask_b32_e64 v23, s7, v23, s3
	s_wait_loadcnt_dscnt 0x0
	ds_store_b128 v10, v[67:70] offset:4352
	flat_load_b128 v[18:21], v[18:19]
	s_clause 0x1
	scratch_store_b32 off, v9, off
	scratch_store_b96 off, v[4:6], off offset:4
                                        ; implicit-def: $vgpr4
	s_wait_loadcnt_dscnt 0x0
	ds_store_b128 v10, v[18:21] offset:8704
	flat_load_b128 v[18:21], v[22:23]
	s_wait_loadcnt_dscnt 0x0
	ds_store_b128 v10, v[18:21] offset:13056
	s_wait_storecnt_dscnt 0x0
	s_barrier_signal -1
	s_barrier_wait -1
	global_inv scope:SCOPE_SE
	ds_load_b128 v[18:21], v66
	ds_load_b128 v[22:25], v65 offset:17664
	ds_load_b128 v[67:70], v65 offset:18176
	;; [unrolled: 1-line block ×5, first 2 shown]
	s_wait_dscnt 0x4
	;;#ASMSTART
	v_dot2_f32_f16 v7, v18, v22, v7
	;;#ASMEND
	;;#ASMSTART
	v_dot2_f32_f16 v7, v19, v23, v7
	;;#ASMEND
	;;#ASMSTART
	v_dot2_f32_f16 v7, v20, v24, v7
	;;#ASMEND
	;;#ASMSTART
	v_dot2_f32_f16 v7, v21, v25, v7
	;;#ASMEND
	s_wait_dscnt 0x3
	;;#ASMSTART
	v_dot2_f32_f16 v16, v18, v67, v16
	;;#ASMEND
	;;#ASMSTART
	v_dot2_f32_f16 v16, v19, v68, v16
	;;#ASMEND
	;;#ASMSTART
	v_dot2_f32_f16 v16, v20, v69, v16
	;;#ASMEND
	;;#ASMSTART
	v_dot2_f32_f16 v16, v21, v70, v16
	;;#ASMEND
	;; [unrolled: 13-line block ×5, first 2 shown]
	;;#ASMSTART
	v_dot2_f32_f16 v15, v79, v67, v15
	;;#ASMEND
	;;#ASMSTART
	v_dot2_f32_f16 v15, v80, v68, v15
	;;#ASMEND
	;; [unrolled: 3-line block ×12, first 2 shown]
	ds_load_b128 v[18:21], v66 offset:16
	ds_load_b128 v[22:25], v65 offset:17680
	;; [unrolled: 1-line block ×6, first 2 shown]
	s_wait_dscnt 0x4
	;;#ASMSTART
	v_dot2_f32_f16 v7, v18, v22, v7
	;;#ASMEND
	;;#ASMSTART
	v_dot2_f32_f16 v7, v19, v23, v7
	;;#ASMEND
	;;#ASMSTART
	v_dot2_f32_f16 v7, v20, v24, v7
	;;#ASMEND
	;;#ASMSTART
	v_dot2_f32_f16 v7, v21, v25, v7
	;;#ASMEND
	s_wait_dscnt 0x3
	;;#ASMSTART
	v_dot2_f32_f16 v16, v18, v67, v16
	;;#ASMEND
	;;#ASMSTART
	v_dot2_f32_f16 v16, v19, v68, v16
	;;#ASMEND
	;;#ASMSTART
	v_dot2_f32_f16 v16, v20, v69, v16
	;;#ASMEND
	;;#ASMSTART
	v_dot2_f32_f16 v16, v21, v70, v16
	;;#ASMEND
	s_wait_dscnt 0x2
	;;#ASMSTART
	v_dot2_f32_f16 v14, v18, v71, v14
	;;#ASMEND
	;;#ASMSTART
	v_dot2_f32_f16 v14, v19, v72, v14
	;;#ASMEND
	;;#ASMSTART
	v_dot2_f32_f16 v14, v20, v73, v14
	;;#ASMEND
	;;#ASMSTART
	v_dot2_f32_f16 v14, v21, v74, v14
	;;#ASMEND
	s_wait_dscnt 0x1
	;;#ASMSTART
	v_dot2_f32_f16 v12, v18, v75, v12
	;;#ASMEND
	;;#ASMSTART
	v_dot2_f32_f16 v12, v19, v76, v12
	;;#ASMEND
	;;#ASMSTART
	v_dot2_f32_f16 v12, v20, v77, v12
	;;#ASMEND
	;;#ASMSTART
	v_dot2_f32_f16 v12, v21, v78, v12
	;;#ASMEND
	s_wait_dscnt 0x0
	;;#ASMSTART
	v_dot2_f32_f16 v17, v79, v22, v17
	;;#ASMEND
	;;#ASMSTART
	v_dot2_f32_f16 v17, v80, v23, v17
	;;#ASMEND
	;;#ASMSTART
	v_dot2_f32_f16 v17, v81, v24, v17
	;;#ASMEND
	;;#ASMSTART
	v_dot2_f32_f16 v17, v82, v25, v17
	;;#ASMEND
	;;#ASMSTART
	v_dot2_f32_f16 v15, v79, v67, v15
	;;#ASMEND
	;;#ASMSTART
	v_dot2_f32_f16 v15, v80, v68, v15
	;;#ASMEND
	;; [unrolled: 3-line block ×12, first 2 shown]
	ds_load_b128 v[18:21], v66 offset:32
	ds_load_b128 v[22:25], v65 offset:17696
	ds_load_b128 v[67:70], v65 offset:18208
	ds_load_b128 v[71:74], v65 offset:18720
	ds_load_b128 v[75:78], v65 offset:19232
	ds_load_b128 v[79:82], v66 offset:8736
	s_wait_dscnt 0x4
	;;#ASMSTART
	v_dot2_f32_f16 v7, v18, v22, v7
	;;#ASMEND
	;;#ASMSTART
	v_dot2_f32_f16 v7, v19, v23, v7
	;;#ASMEND
	;;#ASMSTART
	v_dot2_f32_f16 v7, v20, v24, v7
	;;#ASMEND
	;;#ASMSTART
	v_dot2_f32_f16 v7, v21, v25, v7
	;;#ASMEND
	s_wait_dscnt 0x3
	;;#ASMSTART
	v_dot2_f32_f16 v16, v18, v67, v16
	;;#ASMEND
	;;#ASMSTART
	v_dot2_f32_f16 v16, v19, v68, v16
	;;#ASMEND
	;;#ASMSTART
	v_dot2_f32_f16 v16, v20, v69, v16
	;;#ASMEND
	;;#ASMSTART
	v_dot2_f32_f16 v16, v21, v70, v16
	;;#ASMEND
	;; [unrolled: 13-line block ×5, first 2 shown]
	;;#ASMSTART
	v_dot2_f32_f16 v15, v79, v67, v15
	;;#ASMEND
	;;#ASMSTART
	v_dot2_f32_f16 v15, v80, v68, v15
	;;#ASMEND
	;; [unrolled: 3-line block ×12, first 2 shown]
	ds_load_b128 v[18:21], v66 offset:48
	ds_load_b128 v[22:25], v65 offset:17712
	;; [unrolled: 1-line block ×6, first 2 shown]
	s_wait_dscnt 0x4
	;;#ASMSTART
	v_dot2_f32_f16 v7, v18, v22, v7
	;;#ASMEND
	;;#ASMSTART
	v_dot2_f32_f16 v7, v19, v23, v7
	;;#ASMEND
	;;#ASMSTART
	v_dot2_f32_f16 v7, v20, v24, v7
	;;#ASMEND
	;;#ASMSTART
	v_dot2_f32_f16 v7, v21, v25, v7
	;;#ASMEND
	s_wait_dscnt 0x3
	;;#ASMSTART
	v_dot2_f32_f16 v16, v18, v67, v16
	;;#ASMEND
	;;#ASMSTART
	v_dot2_f32_f16 v16, v19, v68, v16
	;;#ASMEND
	;;#ASMSTART
	v_dot2_f32_f16 v16, v20, v69, v16
	;;#ASMEND
	;;#ASMSTART
	v_dot2_f32_f16 v16, v21, v70, v16
	;;#ASMEND
	;; [unrolled: 13-line block ×5, first 2 shown]
	;;#ASMSTART
	v_dot2_f32_f16 v15, v79, v67, v15
	;;#ASMEND
	;;#ASMSTART
	v_dot2_f32_f16 v15, v80, v68, v15
	;;#ASMEND
	;; [unrolled: 3-line block ×12, first 2 shown]
	ds_load_b128 v[18:21], v66 offset:64
	ds_load_b128 v[22:25], v65 offset:17728
	ds_load_b128 v[67:70], v65 offset:18240
	ds_load_b128 v[71:74], v65 offset:18752
	ds_load_b128 v[75:78], v65 offset:19264
	ds_load_b128 v[79:82], v66 offset:8768
	s_wait_dscnt 0x4
	;;#ASMSTART
	v_dot2_f32_f16 v7, v18, v22, v7
	;;#ASMEND
	;;#ASMSTART
	v_dot2_f32_f16 v7, v19, v23, v7
	;;#ASMEND
	;;#ASMSTART
	v_dot2_f32_f16 v7, v20, v24, v7
	;;#ASMEND
	;;#ASMSTART
	v_dot2_f32_f16 v7, v21, v25, v7
	;;#ASMEND
	s_wait_dscnt 0x3
	;;#ASMSTART
	v_dot2_f32_f16 v16, v18, v67, v16
	;;#ASMEND
	;;#ASMSTART
	v_dot2_f32_f16 v16, v19, v68, v16
	;;#ASMEND
	;;#ASMSTART
	v_dot2_f32_f16 v16, v20, v69, v16
	;;#ASMEND
	;;#ASMSTART
	v_dot2_f32_f16 v16, v21, v70, v16
	;;#ASMEND
	;; [unrolled: 13-line block ×5, first 2 shown]
	;;#ASMSTART
	v_dot2_f32_f16 v15, v79, v67, v15
	;;#ASMEND
	;;#ASMSTART
	v_dot2_f32_f16 v15, v80, v68, v15
	;;#ASMEND
	;; [unrolled: 3-line block ×12, first 2 shown]
	ds_load_b128 v[18:21], v66 offset:80
	ds_load_b128 v[22:25], v65 offset:17744
	;; [unrolled: 1-line block ×6, first 2 shown]
	s_wait_dscnt 0x4
	;;#ASMSTART
	v_dot2_f32_f16 v7, v18, v22, v7
	;;#ASMEND
	;;#ASMSTART
	v_dot2_f32_f16 v7, v19, v23, v7
	;;#ASMEND
	;;#ASMSTART
	v_dot2_f32_f16 v7, v20, v24, v7
	;;#ASMEND
	;;#ASMSTART
	v_dot2_f32_f16 v7, v21, v25, v7
	;;#ASMEND
	s_wait_dscnt 0x3
	;;#ASMSTART
	v_dot2_f32_f16 v16, v18, v67, v16
	;;#ASMEND
	;;#ASMSTART
	v_dot2_f32_f16 v16, v19, v68, v16
	;;#ASMEND
	;;#ASMSTART
	v_dot2_f32_f16 v16, v20, v69, v16
	;;#ASMEND
	;;#ASMSTART
	v_dot2_f32_f16 v16, v21, v70, v16
	;;#ASMEND
	;; [unrolled: 13-line block ×5, first 2 shown]
	;;#ASMSTART
	v_dot2_f32_f16 v15, v79, v67, v15
	;;#ASMEND
	;;#ASMSTART
	v_dot2_f32_f16 v15, v80, v68, v15
	;;#ASMEND
	;; [unrolled: 3-line block ×12, first 2 shown]
	ds_load_b128 v[18:21], v66 offset:96
	ds_load_b128 v[22:25], v65 offset:17760
	;; [unrolled: 1-line block ×6, first 2 shown]
	s_wait_dscnt 0x4
	;;#ASMSTART
	v_dot2_f32_f16 v7, v18, v22, v7
	;;#ASMEND
	;;#ASMSTART
	v_dot2_f32_f16 v7, v19, v23, v7
	;;#ASMEND
	;;#ASMSTART
	v_dot2_f32_f16 v7, v20, v24, v7
	;;#ASMEND
	;;#ASMSTART
	v_dot2_f32_f16 v7, v21, v25, v7
	;;#ASMEND
	s_wait_dscnt 0x3
	;;#ASMSTART
	v_dot2_f32_f16 v16, v18, v67, v16
	;;#ASMEND
	;;#ASMSTART
	v_dot2_f32_f16 v16, v19, v68, v16
	;;#ASMEND
	;;#ASMSTART
	v_dot2_f32_f16 v16, v20, v69, v16
	;;#ASMEND
	;;#ASMSTART
	v_dot2_f32_f16 v16, v21, v70, v16
	;;#ASMEND
	;; [unrolled: 13-line block ×5, first 2 shown]
	;;#ASMSTART
	v_dot2_f32_f16 v15, v79, v67, v15
	;;#ASMEND
	;;#ASMSTART
	v_dot2_f32_f16 v15, v80, v68, v15
	;;#ASMEND
	;; [unrolled: 3-line block ×12, first 2 shown]
	ds_load_b128 v[18:21], v66 offset:112
	ds_load_b128 v[22:25], v65 offset:17776
	ds_load_b128 v[67:70], v65 offset:18288
	ds_load_b128 v[71:74], v65 offset:18800
	ds_load_b128 v[75:78], v65 offset:19312
	ds_load_b128 v[79:82], v66 offset:8816
	s_wait_dscnt 0x4
	;;#ASMSTART
	v_dot2_f32_f16 v7, v18, v22, v7
	;;#ASMEND
	;;#ASMSTART
	v_dot2_f32_f16 v7, v19, v23, v7
	;;#ASMEND
	;;#ASMSTART
	v_dot2_f32_f16 v7, v20, v24, v7
	;;#ASMEND
	;;#ASMSTART
	v_dot2_f32_f16 v7, v21, v25, v7
	;;#ASMEND
	s_wait_dscnt 0x3
	;;#ASMSTART
	v_dot2_f32_f16 v16, v18, v67, v16
	;;#ASMEND
	;;#ASMSTART
	v_dot2_f32_f16 v16, v19, v68, v16
	;;#ASMEND
	;;#ASMSTART
	v_dot2_f32_f16 v16, v20, v69, v16
	;;#ASMEND
	;;#ASMSTART
	v_dot2_f32_f16 v16, v21, v70, v16
	;;#ASMEND
	;; [unrolled: 13-line block ×5, first 2 shown]
	;;#ASMSTART
	v_dot2_f32_f16 v15, v79, v67, v15
	;;#ASMEND
	;;#ASMSTART
	v_dot2_f32_f16 v15, v80, v68, v15
	;;#ASMEND
	;; [unrolled: 3-line block ×12, first 2 shown]
	ds_load_b128 v[18:21], v66 offset:128
	ds_load_b128 v[22:25], v65 offset:17792
	;; [unrolled: 1-line block ×6, first 2 shown]
	s_wait_dscnt 0x4
	;;#ASMSTART
	v_dot2_f32_f16 v7, v18, v22, v7
	;;#ASMEND
	;;#ASMSTART
	v_dot2_f32_f16 v7, v19, v23, v7
	;;#ASMEND
	;;#ASMSTART
	v_dot2_f32_f16 v7, v20, v24, v7
	;;#ASMEND
	;;#ASMSTART
	v_dot2_f32_f16 v7, v21, v25, v7
	;;#ASMEND
	s_wait_dscnt 0x3
	;;#ASMSTART
	v_dot2_f32_f16 v16, v18, v67, v16
	;;#ASMEND
	;;#ASMSTART
	v_dot2_f32_f16 v16, v19, v68, v16
	;;#ASMEND
	;;#ASMSTART
	v_dot2_f32_f16 v16, v20, v69, v16
	;;#ASMEND
	;;#ASMSTART
	v_dot2_f32_f16 v16, v21, v70, v16
	;;#ASMEND
	;; [unrolled: 13-line block ×5, first 2 shown]
	;;#ASMSTART
	v_dot2_f32_f16 v15, v79, v67, v15
	;;#ASMEND
	;;#ASMSTART
	v_dot2_f32_f16 v15, v80, v68, v15
	;;#ASMEND
	;; [unrolled: 3-line block ×12, first 2 shown]
	ds_load_b128 v[18:21], v66 offset:144
	ds_load_b128 v[22:25], v65 offset:17808
	;; [unrolled: 1-line block ×6, first 2 shown]
	s_wait_dscnt 0x4
	;;#ASMSTART
	v_dot2_f32_f16 v7, v18, v22, v7
	;;#ASMEND
	;;#ASMSTART
	v_dot2_f32_f16 v7, v19, v23, v7
	;;#ASMEND
	;;#ASMSTART
	v_dot2_f32_f16 v7, v20, v24, v7
	;;#ASMEND
	;;#ASMSTART
	v_dot2_f32_f16 v7, v21, v25, v7
	;;#ASMEND
	s_wait_dscnt 0x3
	;;#ASMSTART
	v_dot2_f32_f16 v16, v18, v67, v16
	;;#ASMEND
	;;#ASMSTART
	v_dot2_f32_f16 v16, v19, v68, v16
	;;#ASMEND
	;;#ASMSTART
	v_dot2_f32_f16 v16, v20, v69, v16
	;;#ASMEND
	;;#ASMSTART
	v_dot2_f32_f16 v16, v21, v70, v16
	;;#ASMEND
	;; [unrolled: 13-line block ×5, first 2 shown]
	;;#ASMSTART
	v_dot2_f32_f16 v15, v79, v67, v15
	;;#ASMEND
	;;#ASMSTART
	v_dot2_f32_f16 v15, v80, v68, v15
	;;#ASMEND
	;; [unrolled: 3-line block ×12, first 2 shown]
	ds_load_b128 v[18:21], v66 offset:160
	ds_load_b128 v[22:25], v65 offset:17824
	;; [unrolled: 1-line block ×6, first 2 shown]
	s_wait_dscnt 0x4
	;;#ASMSTART
	v_dot2_f32_f16 v7, v18, v22, v7
	;;#ASMEND
	;;#ASMSTART
	v_dot2_f32_f16 v7, v19, v23, v7
	;;#ASMEND
	;;#ASMSTART
	v_dot2_f32_f16 v7, v20, v24, v7
	;;#ASMEND
	;;#ASMSTART
	v_dot2_f32_f16 v7, v21, v25, v7
	;;#ASMEND
	s_wait_dscnt 0x3
	;;#ASMSTART
	v_dot2_f32_f16 v16, v18, v67, v16
	;;#ASMEND
	;;#ASMSTART
	v_dot2_f32_f16 v16, v19, v68, v16
	;;#ASMEND
	;;#ASMSTART
	v_dot2_f32_f16 v16, v20, v69, v16
	;;#ASMEND
	;;#ASMSTART
	v_dot2_f32_f16 v16, v21, v70, v16
	;;#ASMEND
	;; [unrolled: 13-line block ×5, first 2 shown]
	;;#ASMSTART
	v_dot2_f32_f16 v15, v79, v67, v15
	;;#ASMEND
	;;#ASMSTART
	v_dot2_f32_f16 v15, v80, v68, v15
	;;#ASMEND
	;; [unrolled: 3-line block ×12, first 2 shown]
	ds_load_b128 v[18:21], v66 offset:176
	ds_load_b128 v[22:25], v65 offset:17840
	;; [unrolled: 1-line block ×6, first 2 shown]
	s_wait_dscnt 0x4
	;;#ASMSTART
	v_dot2_f32_f16 v7, v18, v22, v7
	;;#ASMEND
	;;#ASMSTART
	v_dot2_f32_f16 v7, v19, v23, v7
	;;#ASMEND
	;;#ASMSTART
	v_dot2_f32_f16 v7, v20, v24, v7
	;;#ASMEND
	;;#ASMSTART
	v_dot2_f32_f16 v7, v21, v25, v7
	;;#ASMEND
	s_wait_dscnt 0x3
	;;#ASMSTART
	v_dot2_f32_f16 v16, v18, v67, v16
	;;#ASMEND
	;;#ASMSTART
	v_dot2_f32_f16 v16, v19, v68, v16
	;;#ASMEND
	;;#ASMSTART
	v_dot2_f32_f16 v16, v20, v69, v16
	;;#ASMEND
	;;#ASMSTART
	v_dot2_f32_f16 v16, v21, v70, v16
	;;#ASMEND
	;; [unrolled: 13-line block ×5, first 2 shown]
	;;#ASMSTART
	v_dot2_f32_f16 v15, v79, v67, v15
	;;#ASMEND
	;;#ASMSTART
	v_dot2_f32_f16 v15, v80, v68, v15
	;;#ASMEND
	;; [unrolled: 3-line block ×12, first 2 shown]
	ds_load_b128 v[18:21], v66 offset:192
	ds_load_b128 v[22:25], v65 offset:17856
	;; [unrolled: 1-line block ×6, first 2 shown]
	s_wait_dscnt 0x4
	;;#ASMSTART
	v_dot2_f32_f16 v7, v18, v22, v7
	;;#ASMEND
	;;#ASMSTART
	v_dot2_f32_f16 v7, v19, v23, v7
	;;#ASMEND
	;;#ASMSTART
	v_dot2_f32_f16 v7, v20, v24, v7
	;;#ASMEND
	;;#ASMSTART
	v_dot2_f32_f16 v7, v21, v25, v7
	;;#ASMEND
	s_wait_dscnt 0x3
	;;#ASMSTART
	v_dot2_f32_f16 v16, v18, v67, v16
	;;#ASMEND
	;;#ASMSTART
	v_dot2_f32_f16 v16, v19, v68, v16
	;;#ASMEND
	;;#ASMSTART
	v_dot2_f32_f16 v16, v20, v69, v16
	;;#ASMEND
	;;#ASMSTART
	v_dot2_f32_f16 v16, v21, v70, v16
	;;#ASMEND
	;; [unrolled: 13-line block ×5, first 2 shown]
	;;#ASMSTART
	v_dot2_f32_f16 v15, v79, v67, v15
	;;#ASMEND
	;;#ASMSTART
	v_dot2_f32_f16 v15, v80, v68, v15
	;;#ASMEND
	;; [unrolled: 3-line block ×12, first 2 shown]
	ds_load_b128 v[18:21], v66 offset:208
	ds_load_b128 v[22:25], v65 offset:17872
	;; [unrolled: 1-line block ×6, first 2 shown]
	s_wait_dscnt 0x4
	;;#ASMSTART
	v_dot2_f32_f16 v7, v18, v22, v7
	;;#ASMEND
	;;#ASMSTART
	v_dot2_f32_f16 v7, v19, v23, v7
	;;#ASMEND
	;;#ASMSTART
	v_dot2_f32_f16 v7, v20, v24, v7
	;;#ASMEND
	;;#ASMSTART
	v_dot2_f32_f16 v7, v21, v25, v7
	;;#ASMEND
	s_wait_dscnt 0x3
	;;#ASMSTART
	v_dot2_f32_f16 v16, v18, v67, v16
	;;#ASMEND
	;;#ASMSTART
	v_dot2_f32_f16 v16, v19, v68, v16
	;;#ASMEND
	;;#ASMSTART
	v_dot2_f32_f16 v16, v20, v69, v16
	;;#ASMEND
	;;#ASMSTART
	v_dot2_f32_f16 v16, v21, v70, v16
	;;#ASMEND
	;; [unrolled: 13-line block ×5, first 2 shown]
	;;#ASMSTART
	v_dot2_f32_f16 v15, v79, v67, v15
	;;#ASMEND
	;;#ASMSTART
	v_dot2_f32_f16 v15, v80, v68, v15
	;;#ASMEND
	;; [unrolled: 3-line block ×12, first 2 shown]
	ds_load_b128 v[18:21], v66 offset:224
	ds_load_b128 v[22:25], v65 offset:17888
	;; [unrolled: 1-line block ×6, first 2 shown]
	s_wait_dscnt 0x4
	;;#ASMSTART
	v_dot2_f32_f16 v7, v18, v22, v7
	;;#ASMEND
	;;#ASMSTART
	v_dot2_f32_f16 v7, v19, v23, v7
	;;#ASMEND
	;;#ASMSTART
	v_dot2_f32_f16 v7, v20, v24, v7
	;;#ASMEND
	;;#ASMSTART
	v_dot2_f32_f16 v7, v21, v25, v7
	;;#ASMEND
	s_wait_dscnt 0x3
	;;#ASMSTART
	v_dot2_f32_f16 v16, v18, v67, v16
	;;#ASMEND
	;;#ASMSTART
	v_dot2_f32_f16 v16, v19, v68, v16
	;;#ASMEND
	;;#ASMSTART
	v_dot2_f32_f16 v16, v20, v69, v16
	;;#ASMEND
	;;#ASMSTART
	v_dot2_f32_f16 v16, v21, v70, v16
	;;#ASMEND
	s_wait_dscnt 0x2
	;;#ASMSTART
	v_dot2_f32_f16 v14, v18, v71, v14
	;;#ASMEND
	;;#ASMSTART
	v_dot2_f32_f16 v14, v19, v72, v14
	;;#ASMEND
	;;#ASMSTART
	v_dot2_f32_f16 v14, v20, v73, v14
	;;#ASMEND
	;;#ASMSTART
	v_dot2_f32_f16 v14, v21, v74, v14
	;;#ASMEND
	s_wait_dscnt 0x1
	;;#ASMSTART
	v_dot2_f32_f16 v12, v18, v75, v12
	;;#ASMEND
	;;#ASMSTART
	v_dot2_f32_f16 v12, v19, v76, v12
	;;#ASMEND
	;;#ASMSTART
	v_dot2_f32_f16 v12, v20, v77, v12
	;;#ASMEND
	;;#ASMSTART
	v_dot2_f32_f16 v12, v21, v78, v12
	;;#ASMEND
	s_wait_dscnt 0x0
	;;#ASMSTART
	v_dot2_f32_f16 v17, v79, v22, v17
	;;#ASMEND
	;;#ASMSTART
	v_dot2_f32_f16 v17, v80, v23, v17
	;;#ASMEND
	;;#ASMSTART
	v_dot2_f32_f16 v17, v81, v24, v17
	;;#ASMEND
	;;#ASMSTART
	v_dot2_f32_f16 v17, v82, v25, v17
	;;#ASMEND
	;;#ASMSTART
	v_dot2_f32_f16 v15, v79, v67, v15
	;;#ASMEND
	;;#ASMSTART
	v_dot2_f32_f16 v15, v80, v68, v15
	;;#ASMEND
	;; [unrolled: 3-line block ×12, first 2 shown]
	ds_load_b128 v[18:21], v66 offset:240
	ds_load_b128 v[22:25], v65 offset:17904
	;; [unrolled: 1-line block ×6, first 2 shown]
	s_wait_dscnt 0x4
	;;#ASMSTART
	v_dot2_f32_f16 v7, v18, v22, v7
	;;#ASMEND
	;;#ASMSTART
	v_dot2_f32_f16 v7, v19, v23, v7
	;;#ASMEND
	;;#ASMSTART
	v_dot2_f32_f16 v7, v20, v24, v7
	;;#ASMEND
	;;#ASMSTART
	v_dot2_f32_f16 v7, v21, v25, v7
	;;#ASMEND
	s_wait_dscnt 0x3
	;;#ASMSTART
	v_dot2_f32_f16 v16, v18, v67, v16
	;;#ASMEND
	;;#ASMSTART
	v_dot2_f32_f16 v16, v19, v68, v16
	;;#ASMEND
	;;#ASMSTART
	v_dot2_f32_f16 v16, v20, v69, v16
	;;#ASMEND
	;;#ASMSTART
	v_dot2_f32_f16 v16, v21, v70, v16
	;;#ASMEND
	;; [unrolled: 13-line block ×5, first 2 shown]
	;;#ASMSTART
	v_dot2_f32_f16 v15, v79, v67, v15
	;;#ASMEND
	;;#ASMSTART
	v_dot2_f32_f16 v15, v80, v68, v15
	;;#ASMEND
	;; [unrolled: 3-line block ×5, first 2 shown]
	v_cmp_ngt_f32_e64 s2, 0x3f200000, |v7|
	;;#ASMSTART
	v_dot2_f32_f16 v13, v80, v72, v13
	;;#ASMEND
	;;#ASMSTART
	v_dot2_f32_f16 v13, v81, v73, v13
	;;#ASMEND
	;; [unrolled: 3-line block ×7, first 2 shown]
	s_and_saveexec_b32 s3, s2
	s_wait_alu 0xfffe
	s_xor_b32 s2, exec_lo, s3
	s_cbranch_execz .LBB70_69
; %bb.68:
	v_add_f32_e64 v4, |v7|, |v7|
	s_delay_alu instid0(VALU_DEP_1) | instskip(SKIP_1) | instid1(VALU_DEP_2)
	v_mul_f32_e32 v5, 0x3fb8aa3b, v4
	v_cmp_ngt_f32_e32 vcc_lo, 0xc2ce8ed0, v4
	v_rndne_f32_e32 v6, v5
	v_fma_f32 v9, 0x3fb8aa3b, v4, -v5
	s_delay_alu instid0(VALU_DEP_2) | instskip(NEXT) | instid1(VALU_DEP_2)
	v_sub_f32_e32 v5, v5, v6
	v_fmamk_f32 v9, v4, 0x32a5705f, v9
	v_cvt_i32_f32_e32 v6, v6
	s_delay_alu instid0(VALU_DEP_2) | instskip(NEXT) | instid1(VALU_DEP_1)
	v_add_f32_e32 v5, v5, v9
	v_exp_f32_e32 v5, v5
	s_delay_alu instid0(TRANS32_DEP_1) | instskip(SKIP_1) | instid1(VALU_DEP_1)
	v_ldexp_f32 v5, v5, v6
	s_wait_alu 0xfffd
	v_cndmask_b32_e32 v5, 0, v5, vcc_lo
	v_cmp_nlt_f32_e32 vcc_lo, 0x42b17218, v4
	s_wait_alu 0xfffd
	s_delay_alu instid0(VALU_DEP_2) | instskip(NEXT) | instid1(VALU_DEP_1)
	v_cndmask_b32_e32 v4, 0x7f800000, v5, vcc_lo
	v_add_f32_e32 v4, 1.0, v4
	s_delay_alu instid0(VALU_DEP_1) | instskip(NEXT) | instid1(TRANS32_DEP_1)
	v_rcp_f32_e32 v4, v4
	v_fma_f32 v4, v4, -2.0, 1.0
.LBB70_69:
	s_wait_alu 0xfffe
	s_and_not1_saveexec_b32 s2, s2
	s_cbranch_execz .LBB70_71
; %bb.70:
	v_mul_f32_e32 v4, v7, v7
	s_mov_b32 s3, 0xbbbac73d
	s_wait_alu 0xfffe
	s_delay_alu instid0(VALU_DEP_1) | instskip(NEXT) | instid1(VALU_DEP_1)
	v_fmaak_f32 v5, s3, v4, 0x3ca908c9
	v_fmaak_f32 v5, v4, v5, 0xbd5c1c4e
	s_delay_alu instid0(VALU_DEP_1) | instskip(NEXT) | instid1(VALU_DEP_1)
	v_fmaak_f32 v5, v4, v5, 0x3e088382
	v_fmaak_f32 v5, v4, v5, 0xbeaaaa99
	s_delay_alu instid0(VALU_DEP_1) | instskip(NEXT) | instid1(VALU_DEP_1)
	v_mul_f32_e64 v5, |v7|, v5
	v_fma_f32 v4, v4, v5, |v7|
.LBB70_71:
	s_wait_alu 0xfffe
	s_or_b32 exec_lo, exec_lo, s2
	s_delay_alu instid0(VALU_DEP_1)
	v_bfi_b32 v4, 0x7fffffff, v4, v7
	s_cmp_lg_u64 s[38:39], 0
	v_mad_co_u64_u32 v[9:10], null, v58, s30, s[24:25]
	s_cselect_b32 s4, -1, 0
	v_mul_f32_e32 v19, s11, v4
	v_dual_mov_b32 v7, v3 :: v_dual_mov_b32 v4, v0
	v_cmp_gt_i32_e64 s2, s29, v35
	s_wait_alu 0xfffe
	v_cndmask_b32_e64 v58, 0, 1, s4
	v_dual_mov_b32 v6, v2 :: v_dual_mov_b32 v5, v1
	s_and_saveexec_b32 s3, s2
	s_cbranch_execz .LBB70_76
; %bb.72:
	s_and_not1_b32 vcc_lo, exec_lo, s4
	s_wait_alu 0xfffe
	s_cbranch_vccnz .LBB70_74
; %bb.73:
	v_add_nc_u32_e32 v4, v9, v35
	s_delay_alu instid0(VALU_DEP_1) | instskip(NEXT) | instid1(VALU_DEP_1)
	v_ashrrev_i32_e32 v5, 31, v4
	v_lshlrev_b64_e32 v[4:5], 1, v[4:5]
	s_delay_alu instid0(VALU_DEP_1) | instskip(SKIP_1) | instid1(VALU_DEP_2)
	v_add_co_u32 v4, vcc_lo, s38, v4
	s_wait_alu 0xfffd
	v_add_co_ci_u32_e64 v5, null, s39, v5, vcc_lo
	global_load_u16 v4, v[4:5], off
	s_wait_loadcnt 0x0
	v_cvt_f32_f16_e32 v4, v4
	s_delay_alu instid0(VALU_DEP_1)
	v_mul_f32_e32 v4, v40, v4
	s_branch .LBB70_75
.LBB70_74:
	v_mov_b32_e32 v4, 0
.LBB70_75:
	s_delay_alu instid0(VALU_DEP_1) | instskip(NEXT) | instid1(VALU_DEP_1)
	v_add_f32_e32 v19, v19, v4
	v_dual_max_num_f32 v5, v0, v0 :: v_dual_add_f32 v4, 0x40051340, v19
	s_delay_alu instid0(VALU_DEP_1) | instskip(SKIP_2) | instid1(VALU_DEP_3)
	v_dual_max_num_f32 v10, v5, v4 :: v_dual_mov_b32 v7, v3
	v_dual_mov_b32 v5, v1 :: v_dual_mov_b32 v4, v0
	v_mov_b32_e32 v6, v2
	v_mov_b32_e32 v4, v10
.LBB70_76:
	s_wait_alu 0xfffe
	s_or_b32 exec_lo, exec_lo, s3
	v_cmp_ngt_f32_e64 s3, 0x3f200000, |v17|
                                        ; implicit-def: $vgpr10
	s_and_saveexec_b32 s4, s3
	s_wait_alu 0xfffe
	s_xor_b32 s3, exec_lo, s4
	s_cbranch_execz .LBB70_78
; %bb.77:
	v_add_f32_e64 v10, |v17|, |v17|
	s_delay_alu instid0(VALU_DEP_1) | instskip(SKIP_1) | instid1(VALU_DEP_2)
	v_mul_f32_e32 v18, 0x3fb8aa3b, v10
	v_cmp_ngt_f32_e32 vcc_lo, 0xc2ce8ed0, v10
	v_rndne_f32_e32 v20, v18
	v_fma_f32 v21, 0x3fb8aa3b, v10, -v18
	s_delay_alu instid0(VALU_DEP_2) | instskip(NEXT) | instid1(VALU_DEP_2)
	v_sub_f32_e32 v18, v18, v20
	v_fmamk_f32 v21, v10, 0x32a5705f, v21
	v_cvt_i32_f32_e32 v20, v20
	s_delay_alu instid0(VALU_DEP_2) | instskip(NEXT) | instid1(VALU_DEP_1)
	v_add_f32_e32 v18, v18, v21
	v_exp_f32_e32 v18, v18
	s_delay_alu instid0(TRANS32_DEP_1) | instskip(SKIP_1) | instid1(VALU_DEP_1)
	v_ldexp_f32 v18, v18, v20
	s_wait_alu 0xfffd
	v_cndmask_b32_e32 v18, 0, v18, vcc_lo
	v_cmp_nlt_f32_e32 vcc_lo, 0x42b17218, v10
	s_wait_alu 0xfffd
	s_delay_alu instid0(VALU_DEP_2) | instskip(NEXT) | instid1(VALU_DEP_1)
	v_cndmask_b32_e32 v10, 0x7f800000, v18, vcc_lo
	v_add_f32_e32 v10, 1.0, v10
	s_delay_alu instid0(VALU_DEP_1) | instskip(NEXT) | instid1(TRANS32_DEP_1)
	v_rcp_f32_e32 v10, v10
	v_fma_f32 v10, v10, -2.0, 1.0
.LBB70_78:
	s_wait_alu 0xfffe
	s_and_not1_saveexec_b32 s3, s3
	s_cbranch_execz .LBB70_80
; %bb.79:
	v_mul_f32_e32 v10, v17, v17
	s_mov_b32 s4, 0xbbbac73d
	s_wait_alu 0xfffe
	s_delay_alu instid0(VALU_DEP_1) | instskip(NEXT) | instid1(VALU_DEP_1)
	v_fmaak_f32 v18, s4, v10, 0x3ca908c9
	v_fmaak_f32 v18, v10, v18, 0xbd5c1c4e
	s_delay_alu instid0(VALU_DEP_1) | instskip(NEXT) | instid1(VALU_DEP_1)
	v_fmaak_f32 v18, v10, v18, 0x3e088382
	v_fmaak_f32 v18, v10, v18, 0xbeaaaa99
	s_delay_alu instid0(VALU_DEP_1) | instskip(NEXT) | instid1(VALU_DEP_1)
	v_mul_f32_e64 v18, |v17|, v18
	v_fma_f32 v10, v10, v18, |v17|
.LBB70_80:
	s_wait_alu 0xfffe
	s_or_b32 exec_lo, exec_lo, s3
	s_delay_alu instid0(VALU_DEP_1) | instskip(NEXT) | instid1(VALU_DEP_1)
	v_bfi_b32 v10, 0x7fffffff, v10, v17
	v_dual_mul_f32 v18, s11, v10 :: v_dual_add_nc_u32 v17, 32, v35
	s_delay_alu instid0(VALU_DEP_1)
	v_cmp_gt_i32_e64 s3, s29, v17
	s_and_saveexec_b32 s4, s3
	s_cbranch_execz .LBB70_85
; %bb.81:
	v_cmp_ne_u32_e32 vcc_lo, 1, v58
	s_cbranch_vccnz .LBB70_83
; %bb.82:
	v_ashrrev_i32_e32 v10, 31, v9
	v_add_co_u32 v9, vcc_lo, v9, v35
	s_wait_alu 0xfffd
	s_delay_alu instid0(VALU_DEP_2) | instskip(NEXT) | instid1(VALU_DEP_1)
	v_add_co_ci_u32_e64 v10, null, 0, v10, vcc_lo
	v_lshlrev_b64_e32 v[9:10], 1, v[9:10]
	s_delay_alu instid0(VALU_DEP_1) | instskip(SKIP_1) | instid1(VALU_DEP_2)
	v_add_co_u32 v9, vcc_lo, s38, v9
	s_wait_alu 0xfffd
	v_add_co_ci_u32_e64 v10, null, s39, v10, vcc_lo
	global_load_u16 v9, v[9:10], off offset:64
	s_wait_loadcnt 0x0
	v_cvt_f32_f16_e32 v9, v9
	s_delay_alu instid0(VALU_DEP_1)
	v_mul_f32_e32 v9, v40, v9
	s_branch .LBB70_84
.LBB70_83:
	v_mov_b32_e32 v9, 0
.LBB70_84:
	s_delay_alu instid0(VALU_DEP_1) | instskip(NEXT) | instid1(VALU_DEP_1)
	v_add_f32_e32 v18, v18, v9
	v_dual_max_num_f32 v4, v4, v4 :: v_dual_add_f32 v9, 0x40051340, v18
	s_delay_alu instid0(VALU_DEP_1)
	v_max_num_f32_e32 v4, v4, v9
.LBB70_85:
	s_wait_alu 0xfffe
	s_or_b32 exec_lo, exec_lo, s4
	v_xor_b32_e32 v71, 16, v36
	v_xor_b32_e32 v70, 8, v36
	;; [unrolled: 1-line block ×5, first 2 shown]
	v_cmp_gt_i32_e32 vcc_lo, 32, v71
	v_cmp_ngt_f32_e64 s4, 0x3f200000, |v16|
	v_mov_b32_e32 v23, 32
	s_wait_alu 0xfffd
	v_cndmask_b32_e32 v9, v36, v71, vcc_lo
	v_cmp_gt_i32_e32 vcc_lo, 32, v70
	s_wait_alu 0xfffd
	v_cndmask_b32_e32 v10, v36, v70, vcc_lo
	v_cmp_gt_i32_e32 vcc_lo, 32, v69
	s_delay_alu instid0(VALU_DEP_2)
	v_lshlrev_b32_e32 v66, 2, v10
	v_lshlrev_b32_e32 v65, 2, v9
	s_wait_alu 0xfffd
	v_cndmask_b32_e32 v10, v36, v69, vcc_lo
	v_cmp_gt_i32_e32 vcc_lo, 32, v25
	ds_bpermute_b32 v9, v65, v4
	v_max_num_f32_e32 v4, v4, v4
	v_lshlrev_b32_e32 v22, 2, v10
	s_wait_alu 0xfffd
	v_cndmask_b32_e32 v10, v36, v25, vcc_lo
	v_cmp_gt_i32_e32 vcc_lo, 32, v24
	s_wait_alu 0xfffd
	s_delay_alu instid0(VALU_DEP_2) | instskip(NEXT) | instid1(VALU_DEP_1)
	v_dual_cndmask_b32 v10, v36, v24 :: v_dual_lshlrev_b32 v21, 2, v10
	v_lshlrev_b32_e32 v20, 2, v10
                                        ; implicit-def: $vgpr10
	s_wait_dscnt 0x0
	v_max_num_f32_e32 v9, v9, v9
	s_delay_alu instid0(VALU_DEP_1) | instskip(SKIP_3) | instid1(VALU_DEP_1)
	v_max_num_f32_e32 v4, v4, v9
	ds_bpermute_b32 v9, v66, v4
	s_wait_dscnt 0x0
	v_max_num_f32_e32 v9, v9, v9
	v_max_num_f32_e32 v4, v4, v9
	ds_bpermute_b32 v9, v22, v4
	s_wait_dscnt 0x0
	v_max_num_f32_e32 v9, v9, v9
	s_delay_alu instid0(VALU_DEP_1) | instskip(SKIP_3) | instid1(VALU_DEP_1)
	v_max_num_f32_e32 v4, v4, v9
	ds_bpermute_b32 v9, v21, v4
	s_wait_dscnt 0x0
	v_max_num_f32_e32 v9, v9, v9
	v_max_num_f32_e32 v4, v4, v9
	ds_bpermute_b32 v9, v20, v4
	s_and_saveexec_b32 s5, s4
	s_wait_alu 0xfffe
	s_xor_b32 s4, exec_lo, s5
	s_cbranch_execz .LBB70_87
; %bb.86:
	v_add_f32_e64 v10, |v16|, |v16|
	s_delay_alu instid0(VALU_DEP_1) | instskip(SKIP_1) | instid1(VALU_DEP_2)
	v_mul_f32_e32 v67, 0x3fb8aa3b, v10
	v_cmp_ngt_f32_e32 vcc_lo, 0xc2ce8ed0, v10
	v_rndne_f32_e32 v68, v67
	v_fma_f32 v72, 0x3fb8aa3b, v10, -v67
	s_delay_alu instid0(VALU_DEP_1) | instskip(SKIP_1) | instid1(VALU_DEP_2)
	v_dual_sub_f32 v67, v67, v68 :: v_dual_fmamk_f32 v72, v10, 0x32a5705f, v72
	v_cvt_i32_f32_e32 v68, v68
	v_add_f32_e32 v67, v67, v72
	s_delay_alu instid0(VALU_DEP_1) | instskip(NEXT) | instid1(TRANS32_DEP_1)
	v_exp_f32_e32 v67, v67
	v_ldexp_f32 v67, v67, v68
	s_wait_alu 0xfffd
	s_delay_alu instid0(VALU_DEP_1) | instskip(SKIP_2) | instid1(VALU_DEP_2)
	v_cndmask_b32_e32 v67, 0, v67, vcc_lo
	v_cmp_nlt_f32_e32 vcc_lo, 0x42b17218, v10
	s_wait_alu 0xfffd
	v_cndmask_b32_e32 v10, 0x7f800000, v67, vcc_lo
	s_delay_alu instid0(VALU_DEP_1) | instskip(NEXT) | instid1(VALU_DEP_1)
	v_add_f32_e32 v10, 1.0, v10
	v_rcp_f32_e32 v10, v10
	s_delay_alu instid0(TRANS32_DEP_1)
	v_fma_f32 v10, v10, -2.0, 1.0
.LBB70_87:
	s_wait_alu 0xfffe
	s_and_not1_saveexec_b32 s4, s4
	s_cbranch_execz .LBB70_89
; %bb.88:
	v_mul_f32_e32 v10, v16, v16
	s_mov_b32 s5, 0xbbbac73d
	s_wait_alu 0xfffe
	s_delay_alu instid0(VALU_DEP_1) | instskip(NEXT) | instid1(VALU_DEP_1)
	v_fmaak_f32 v67, s5, v10, 0x3ca908c9
	v_fmaak_f32 v67, v10, v67, 0xbd5c1c4e
	s_delay_alu instid0(VALU_DEP_1) | instskip(NEXT) | instid1(VALU_DEP_1)
	v_fmaak_f32 v67, v10, v67, 0x3e088382
	v_fmaak_f32 v67, v10, v67, 0xbeaaaa99
	s_delay_alu instid0(VALU_DEP_1) | instskip(NEXT) | instid1(VALU_DEP_1)
	v_mul_f32_e64 v67, |v16|, v67
	v_fma_f32 v10, v10, v67, |v16|
.LBB70_89:
	s_wait_alu 0xfffe
	s_or_b32 exec_lo, exec_lo, s4
	v_mul_hi_u32 v67, s20, v57
	s_delay_alu instid0(VALU_DEP_2) | instskip(SKIP_1) | instid1(VALU_DEP_2)
	v_bfi_b32 v16, 0x7fffffff, v10, v16
	v_max_num_f32_e32 v4, v4, v4
	v_dual_mul_f32 v16, s11, v16 :: v_dual_add_nc_u32 v67, v57, v67
	s_delay_alu instid0(VALU_DEP_1) | instskip(NEXT) | instid1(VALU_DEP_1)
	v_lshrrev_b32_e32 v67, s21, v67
	v_mul_lo_u32 v67, v67, s22
	s_delay_alu instid0(VALU_DEP_1) | instskip(SKIP_2) | instid1(VALU_DEP_2)
	v_sub_nc_u32_e32 v57, v57, v67
	s_wait_dscnt 0x0
	v_max_num_f32_e32 v67, v9, v9
	v_mad_co_u64_u32 v[9:10], null, v57, s30, s[24:25]
	s_delay_alu instid0(VALU_DEP_2)
	v_max_num_f32_e32 v4, v4, v67
	s_and_saveexec_b32 s4, s2
	s_cbranch_execz .LBB70_94
; %bb.90:
	v_cmp_ne_u32_e32 vcc_lo, 1, v58
	s_cbranch_vccnz .LBB70_92
; %bb.91:
	s_delay_alu instid0(VALU_DEP_3) | instskip(NEXT) | instid1(VALU_DEP_1)
	v_add_nc_u32_e32 v67, v9, v35
	v_ashrrev_i32_e32 v68, 31, v67
	s_delay_alu instid0(VALU_DEP_1) | instskip(NEXT) | instid1(VALU_DEP_1)
	v_lshlrev_b64_e32 v[67:68], 1, v[67:68]
	v_add_co_u32 v67, vcc_lo, s38, v67
	s_wait_alu 0xfffd
	s_delay_alu instid0(VALU_DEP_2) | instskip(SKIP_3) | instid1(VALU_DEP_1)
	v_add_co_ci_u32_e64 v68, null, s39, v68, vcc_lo
	global_load_u16 v10, v[67:68], off
	s_wait_loadcnt 0x0
	v_cvt_f32_f16_e32 v10, v10
	v_mul_f32_e32 v10, v40, v10
	s_branch .LBB70_93
.LBB70_92:
	v_mov_b32_e32 v10, 0
.LBB70_93:
	s_delay_alu instid0(VALU_DEP_1) | instskip(NEXT) | instid1(VALU_DEP_1)
	v_dual_add_f32 v16, v16, v10 :: v_dual_max_num_f32 v5, v5, v5
	v_add_f32_e32 v10, 0x40051340, v16
	s_delay_alu instid0(VALU_DEP_1)
	v_max_num_f32_e32 v5, v5, v10
.LBB70_94:
	s_wait_alu 0xfffe
	s_or_b32 exec_lo, exec_lo, s4
	v_cmp_ngt_f32_e64 s4, 0x3f200000, |v15|
                                        ; implicit-def: $vgpr10
	s_and_saveexec_b32 s5, s4
	s_wait_alu 0xfffe
	s_xor_b32 s4, exec_lo, s5
	s_cbranch_execz .LBB70_96
; %bb.95:
	v_add_f32_e64 v10, |v15|, |v15|
	s_delay_alu instid0(VALU_DEP_1) | instskip(SKIP_1) | instid1(VALU_DEP_2)
	v_mul_f32_e32 v57, 0x3fb8aa3b, v10
	v_cmp_ngt_f32_e32 vcc_lo, 0xc2ce8ed0, v10
	v_rndne_f32_e32 v67, v57
	v_fma_f32 v68, 0x3fb8aa3b, v10, -v57
	s_delay_alu instid0(VALU_DEP_1) | instskip(SKIP_1) | instid1(VALU_DEP_2)
	v_dual_sub_f32 v57, v57, v67 :: v_dual_fmamk_f32 v68, v10, 0x32a5705f, v68
	v_cvt_i32_f32_e32 v67, v67
	v_add_f32_e32 v57, v57, v68
	s_delay_alu instid0(VALU_DEP_1) | instskip(NEXT) | instid1(TRANS32_DEP_1)
	v_exp_f32_e32 v57, v57
	v_ldexp_f32 v57, v57, v67
	s_wait_alu 0xfffd
	s_delay_alu instid0(VALU_DEP_1) | instskip(SKIP_2) | instid1(VALU_DEP_2)
	v_cndmask_b32_e32 v57, 0, v57, vcc_lo
	v_cmp_nlt_f32_e32 vcc_lo, 0x42b17218, v10
	s_wait_alu 0xfffd
	v_cndmask_b32_e32 v10, 0x7f800000, v57, vcc_lo
	s_delay_alu instid0(VALU_DEP_1) | instskip(NEXT) | instid1(VALU_DEP_1)
	v_add_f32_e32 v10, 1.0, v10
	v_rcp_f32_e32 v10, v10
	s_delay_alu instid0(TRANS32_DEP_1)
	v_fma_f32 v10, v10, -2.0, 1.0
.LBB70_96:
	s_wait_alu 0xfffe
	s_and_not1_saveexec_b32 s4, s4
	s_cbranch_execz .LBB70_98
; %bb.97:
	v_mul_f32_e32 v10, v15, v15
	s_mov_b32 s5, 0xbbbac73d
	s_wait_alu 0xfffe
	s_delay_alu instid0(VALU_DEP_1) | instskip(NEXT) | instid1(VALU_DEP_1)
	v_fmaak_f32 v57, s5, v10, 0x3ca908c9
	v_fmaak_f32 v57, v10, v57, 0xbd5c1c4e
	s_delay_alu instid0(VALU_DEP_1) | instskip(NEXT) | instid1(VALU_DEP_1)
	v_fmaak_f32 v57, v10, v57, 0x3e088382
	v_fmaak_f32 v57, v10, v57, 0xbeaaaa99
	s_delay_alu instid0(VALU_DEP_1) | instskip(NEXT) | instid1(VALU_DEP_1)
	v_mul_f32_e64 v57, |v15|, v57
	v_fma_f32 v10, v10, v57, |v15|
.LBB70_98:
	s_wait_alu 0xfffe
	s_or_b32 exec_lo, exec_lo, s4
	s_delay_alu instid0(VALU_DEP_1) | instskip(NEXT) | instid1(VALU_DEP_1)
	v_bfi_b32 v10, 0x7fffffff, v10, v15
	v_mul_f32_e32 v15, s11, v10
	s_and_saveexec_b32 s4, s3
	s_cbranch_execz .LBB70_103
; %bb.99:
	v_cmp_ne_u32_e32 vcc_lo, 1, v58
	s_cbranch_vccnz .LBB70_101
; %bb.100:
	v_ashrrev_i32_e32 v10, 31, v9
	v_add_co_u32 v9, vcc_lo, v9, v35
	s_wait_alu 0xfffd
	s_delay_alu instid0(VALU_DEP_2) | instskip(NEXT) | instid1(VALU_DEP_1)
	v_add_co_ci_u32_e64 v10, null, 0, v10, vcc_lo
	v_lshlrev_b64_e32 v[9:10], 1, v[9:10]
	s_delay_alu instid0(VALU_DEP_1) | instskip(SKIP_1) | instid1(VALU_DEP_2)
	v_add_co_u32 v9, vcc_lo, s38, v9
	s_wait_alu 0xfffd
	v_add_co_ci_u32_e64 v10, null, s39, v10, vcc_lo
	global_load_u16 v9, v[9:10], off offset:64
	s_wait_loadcnt 0x0
	v_cvt_f32_f16_e32 v9, v9
	s_delay_alu instid0(VALU_DEP_1)
	v_mul_f32_e32 v9, v40, v9
	s_branch .LBB70_102
.LBB70_101:
	v_mov_b32_e32 v9, 0
.LBB70_102:
	s_delay_alu instid0(VALU_DEP_1) | instskip(SKIP_1) | instid1(VALU_DEP_2)
	v_add_f32_e32 v15, v15, v9
	v_max_num_f32_e32 v5, v5, v5
	v_add_f32_e32 v9, 0x40051340, v15
	s_delay_alu instid0(VALU_DEP_1)
	v_max_num_f32_e32 v5, v5, v9
.LBB70_103:
	s_wait_alu 0xfffe
	s_or_b32 exec_lo, exec_lo, s4
	ds_bpermute_b32 v9, v65, v5
	v_max_num_f32_e32 v5, v5, v5
	v_cmp_ngt_f32_e64 s4, 0x3f200000, |v14|
                                        ; implicit-def: $vgpr10
	s_wait_dscnt 0x0
	v_max_num_f32_e32 v9, v9, v9
	s_delay_alu instid0(VALU_DEP_1) | instskip(SKIP_3) | instid1(VALU_DEP_1)
	v_max_num_f32_e32 v5, v5, v9
	ds_bpermute_b32 v9, v66, v5
	s_wait_dscnt 0x0
	v_max_num_f32_e32 v9, v9, v9
	v_max_num_f32_e32 v5, v5, v9
	ds_bpermute_b32 v9, v22, v5
	s_wait_dscnt 0x0
	v_max_num_f32_e32 v9, v9, v9
	s_delay_alu instid0(VALU_DEP_1) | instskip(SKIP_3) | instid1(VALU_DEP_1)
	v_max_num_f32_e32 v5, v5, v9
	ds_bpermute_b32 v9, v21, v5
	s_wait_dscnt 0x0
	v_max_num_f32_e32 v9, v9, v9
	v_max_num_f32_e32 v5, v5, v9
	ds_bpermute_b32 v9, v20, v5
	s_and_saveexec_b32 s5, s4
	s_wait_alu 0xfffe
	s_xor_b32 s4, exec_lo, s5
	s_cbranch_execz .LBB70_105
; %bb.104:
	v_add_f32_e64 v10, |v14|, |v14|
	s_delay_alu instid0(VALU_DEP_1) | instskip(SKIP_1) | instid1(VALU_DEP_2)
	v_mul_f32_e32 v57, 0x3fb8aa3b, v10
	v_cmp_ngt_f32_e32 vcc_lo, 0xc2ce8ed0, v10
	v_rndne_f32_e32 v67, v57
	v_fma_f32 v68, 0x3fb8aa3b, v10, -v57
	s_delay_alu instid0(VALU_DEP_1) | instskip(SKIP_1) | instid1(VALU_DEP_2)
	v_dual_sub_f32 v57, v57, v67 :: v_dual_fmamk_f32 v68, v10, 0x32a5705f, v68
	v_cvt_i32_f32_e32 v67, v67
	v_add_f32_e32 v57, v57, v68
	s_delay_alu instid0(VALU_DEP_1) | instskip(NEXT) | instid1(TRANS32_DEP_1)
	v_exp_f32_e32 v57, v57
	v_ldexp_f32 v57, v57, v67
	s_wait_alu 0xfffd
	s_delay_alu instid0(VALU_DEP_1) | instskip(SKIP_2) | instid1(VALU_DEP_2)
	v_cndmask_b32_e32 v57, 0, v57, vcc_lo
	v_cmp_nlt_f32_e32 vcc_lo, 0x42b17218, v10
	s_wait_alu 0xfffd
	v_cndmask_b32_e32 v10, 0x7f800000, v57, vcc_lo
	s_delay_alu instid0(VALU_DEP_1) | instskip(NEXT) | instid1(VALU_DEP_1)
	v_add_f32_e32 v10, 1.0, v10
	v_rcp_f32_e32 v10, v10
	s_delay_alu instid0(TRANS32_DEP_1)
	v_fma_f32 v10, v10, -2.0, 1.0
.LBB70_105:
	s_wait_alu 0xfffe
	s_and_not1_saveexec_b32 s4, s4
	s_cbranch_execz .LBB70_107
; %bb.106:
	v_mul_f32_e32 v10, v14, v14
	s_mov_b32 s5, 0xbbbac73d
	s_wait_alu 0xfffe
	s_delay_alu instid0(VALU_DEP_1) | instskip(NEXT) | instid1(VALU_DEP_1)
	v_fmaak_f32 v57, s5, v10, 0x3ca908c9
	v_fmaak_f32 v57, v10, v57, 0xbd5c1c4e
	s_delay_alu instid0(VALU_DEP_1) | instskip(NEXT) | instid1(VALU_DEP_1)
	v_fmaak_f32 v57, v10, v57, 0x3e088382
	v_fmaak_f32 v57, v10, v57, 0xbeaaaa99
	s_delay_alu instid0(VALU_DEP_1) | instskip(NEXT) | instid1(VALU_DEP_1)
	v_mul_f32_e64 v57, |v14|, v57
	v_fma_f32 v10, v10, v57, |v14|
.LBB70_107:
	s_wait_alu 0xfffe
	s_or_b32 exec_lo, exec_lo, s4
	v_mul_hi_u32 v57, s20, v46
	s_delay_alu instid0(VALU_DEP_2) | instskip(NEXT) | instid1(VALU_DEP_1)
	v_bfi_b32 v14, 0x7fffffff, v10, v14
	v_dual_max_num_f32 v5, v5, v5 :: v_dual_mul_f32 v14, s11, v14
	s_delay_alu instid0(VALU_DEP_3) | instskip(NEXT) | instid1(VALU_DEP_1)
	v_add_nc_u32_e32 v57, v46, v57
	v_lshrrev_b32_e32 v57, s21, v57
	s_delay_alu instid0(VALU_DEP_1) | instskip(NEXT) | instid1(VALU_DEP_1)
	v_mul_lo_u32 v57, v57, s22
	v_sub_nc_u32_e32 v46, v46, v57
	s_wait_dscnt 0x0
	v_max_num_f32_e32 v57, v9, v9
	s_delay_alu instid0(VALU_DEP_2) | instskip(NEXT) | instid1(VALU_DEP_2)
	v_mad_co_u64_u32 v[9:10], null, v46, s30, s[24:25]
	v_max_num_f32_e32 v5, v5, v57
	s_and_saveexec_b32 s4, s2
	s_cbranch_execz .LBB70_112
; %bb.108:
	v_cmp_ne_u32_e32 vcc_lo, 1, v58
	s_cbranch_vccnz .LBB70_110
; %bb.109:
	s_delay_alu instid0(VALU_DEP_3) | instskip(NEXT) | instid1(VALU_DEP_1)
	v_add_nc_u32_e32 v67, v9, v35
	v_ashrrev_i32_e32 v68, 31, v67
	s_delay_alu instid0(VALU_DEP_1) | instskip(NEXT) | instid1(VALU_DEP_1)
	v_lshlrev_b64_e32 v[67:68], 1, v[67:68]
	v_add_co_u32 v67, vcc_lo, s38, v67
	s_wait_alu 0xfffd
	s_delay_alu instid0(VALU_DEP_2) | instskip(SKIP_3) | instid1(VALU_DEP_1)
	v_add_co_ci_u32_e64 v68, null, s39, v68, vcc_lo
	global_load_u16 v10, v[67:68], off
	s_wait_loadcnt 0x0
	v_cvt_f32_f16_e32 v10, v10
	v_mul_f32_e32 v10, v40, v10
	s_branch .LBB70_111
.LBB70_110:
	v_mov_b32_e32 v10, 0
.LBB70_111:
	s_delay_alu instid0(VALU_DEP_1) | instskip(SKIP_1) | instid1(VALU_DEP_2)
	v_add_f32_e32 v14, v14, v10
	v_max_num_f32_e32 v6, v6, v6
	v_add_f32_e32 v10, 0x40051340, v14
	s_delay_alu instid0(VALU_DEP_1)
	v_max_num_f32_e32 v6, v6, v10
.LBB70_112:
	s_wait_alu 0xfffe
	s_or_b32 exec_lo, exec_lo, s4
	v_cmp_ngt_f32_e64 s4, 0x3f200000, |v13|
                                        ; implicit-def: $vgpr10
	s_and_saveexec_b32 s5, s4
	s_wait_alu 0xfffe
	s_xor_b32 s4, exec_lo, s5
	s_cbranch_execz .LBB70_114
; %bb.113:
	v_add_f32_e64 v10, |v13|, |v13|
	s_delay_alu instid0(VALU_DEP_1) | instskip(SKIP_1) | instid1(VALU_DEP_2)
	v_mul_f32_e32 v46, 0x3fb8aa3b, v10
	v_cmp_ngt_f32_e32 vcc_lo, 0xc2ce8ed0, v10
	v_rndne_f32_e32 v57, v46
	v_fma_f32 v67, 0x3fb8aa3b, v10, -v46
	s_delay_alu instid0(VALU_DEP_2) | instskip(NEXT) | instid1(VALU_DEP_2)
	v_sub_f32_e32 v46, v46, v57
	v_fmamk_f32 v67, v10, 0x32a5705f, v67
	v_cvt_i32_f32_e32 v57, v57
	s_delay_alu instid0(VALU_DEP_2) | instskip(NEXT) | instid1(VALU_DEP_1)
	v_add_f32_e32 v46, v46, v67
	v_exp_f32_e32 v46, v46
	s_delay_alu instid0(TRANS32_DEP_1) | instskip(SKIP_1) | instid1(VALU_DEP_1)
	v_ldexp_f32 v46, v46, v57
	s_wait_alu 0xfffd
	v_cndmask_b32_e32 v46, 0, v46, vcc_lo
	v_cmp_nlt_f32_e32 vcc_lo, 0x42b17218, v10
	s_wait_alu 0xfffd
	s_delay_alu instid0(VALU_DEP_2) | instskip(NEXT) | instid1(VALU_DEP_1)
	v_cndmask_b32_e32 v10, 0x7f800000, v46, vcc_lo
	v_add_f32_e32 v10, 1.0, v10
	s_delay_alu instid0(VALU_DEP_1) | instskip(NEXT) | instid1(TRANS32_DEP_1)
	v_rcp_f32_e32 v10, v10
	v_fma_f32 v10, v10, -2.0, 1.0
.LBB70_114:
	s_wait_alu 0xfffe
	s_and_not1_saveexec_b32 s4, s4
	s_cbranch_execz .LBB70_116
; %bb.115:
	v_mul_f32_e32 v10, v13, v13
	s_mov_b32 s5, 0xbbbac73d
	s_wait_alu 0xfffe
	s_delay_alu instid0(VALU_DEP_1) | instskip(NEXT) | instid1(VALU_DEP_1)
	v_fmaak_f32 v46, s5, v10, 0x3ca908c9
	v_fmaak_f32 v46, v10, v46, 0xbd5c1c4e
	s_delay_alu instid0(VALU_DEP_1) | instskip(NEXT) | instid1(VALU_DEP_1)
	v_fmaak_f32 v46, v10, v46, 0x3e088382
	v_fmaak_f32 v46, v10, v46, 0xbeaaaa99
	s_delay_alu instid0(VALU_DEP_1) | instskip(NEXT) | instid1(VALU_DEP_1)
	v_mul_f32_e64 v46, |v13|, v46
	v_fma_f32 v10, v10, v46, |v13|
.LBB70_116:
	s_wait_alu 0xfffe
	s_or_b32 exec_lo, exec_lo, s4
	s_delay_alu instid0(VALU_DEP_1) | instskip(NEXT) | instid1(VALU_DEP_1)
	v_bfi_b32 v10, 0x7fffffff, v10, v13
	v_mul_f32_e32 v13, s11, v10
	s_and_saveexec_b32 s4, s3
	s_cbranch_execz .LBB70_121
; %bb.117:
	v_cmp_ne_u32_e32 vcc_lo, 1, v58
	s_cbranch_vccnz .LBB70_119
; %bb.118:
	v_ashrrev_i32_e32 v10, 31, v9
	v_add_co_u32 v9, vcc_lo, v9, v35
	s_wait_alu 0xfffd
	s_delay_alu instid0(VALU_DEP_2) | instskip(NEXT) | instid1(VALU_DEP_1)
	v_add_co_ci_u32_e64 v10, null, 0, v10, vcc_lo
	v_lshlrev_b64_e32 v[9:10], 1, v[9:10]
	s_delay_alu instid0(VALU_DEP_1) | instskip(SKIP_1) | instid1(VALU_DEP_2)
	v_add_co_u32 v9, vcc_lo, s38, v9
	s_wait_alu 0xfffd
	v_add_co_ci_u32_e64 v10, null, s39, v10, vcc_lo
	global_load_u16 v9, v[9:10], off offset:64
	s_wait_loadcnt 0x0
	v_cvt_f32_f16_e32 v9, v9
	s_delay_alu instid0(VALU_DEP_1)
	v_mul_f32_e32 v9, v40, v9
	s_branch .LBB70_120
.LBB70_119:
	v_mov_b32_e32 v9, 0
.LBB70_120:
	s_delay_alu instid0(VALU_DEP_1) | instskip(NEXT) | instid1(VALU_DEP_1)
	v_dual_add_f32 v13, v13, v9 :: v_dual_max_num_f32 v6, v6, v6
	v_add_f32_e32 v9, 0x40051340, v13
	s_delay_alu instid0(VALU_DEP_1)
	v_max_num_f32_e32 v6, v6, v9
.LBB70_121:
	s_wait_alu 0xfffe
	s_or_b32 exec_lo, exec_lo, s4
	ds_bpermute_b32 v9, v65, v6
	v_cmp_ngt_f32_e64 s4, 0x3f200000, |v12|
                                        ; implicit-def: $vgpr10
	s_wait_dscnt 0x0
	v_dual_max_num_f32 v6, v6, v6 :: v_dual_max_num_f32 v9, v9, v9
	s_delay_alu instid0(VALU_DEP_1) | instskip(SKIP_3) | instid1(VALU_DEP_1)
	v_max_num_f32_e32 v6, v6, v9
	ds_bpermute_b32 v9, v66, v6
	s_wait_dscnt 0x0
	v_max_num_f32_e32 v9, v9, v9
	v_max_num_f32_e32 v6, v6, v9
	ds_bpermute_b32 v9, v22, v6
	s_wait_dscnt 0x0
	v_max_num_f32_e32 v9, v9, v9
	s_delay_alu instid0(VALU_DEP_1) | instskip(SKIP_3) | instid1(VALU_DEP_1)
	v_max_num_f32_e32 v6, v6, v9
	ds_bpermute_b32 v9, v21, v6
	s_wait_dscnt 0x0
	v_max_num_f32_e32 v9, v9, v9
	v_max_num_f32_e32 v6, v6, v9
	ds_bpermute_b32 v9, v20, v6
	s_and_saveexec_b32 s5, s4
	s_wait_alu 0xfffe
	s_xor_b32 s4, exec_lo, s5
	s_cbranch_execz .LBB70_123
; %bb.122:
	v_add_f32_e64 v10, |v12|, |v12|
	s_delay_alu instid0(VALU_DEP_1) | instskip(SKIP_1) | instid1(VALU_DEP_2)
	v_mul_f32_e32 v46, 0x3fb8aa3b, v10
	v_cmp_ngt_f32_e32 vcc_lo, 0xc2ce8ed0, v10
	v_rndne_f32_e32 v57, v46
	v_fma_f32 v67, 0x3fb8aa3b, v10, -v46
	s_delay_alu instid0(VALU_DEP_2) | instskip(NEXT) | instid1(VALU_DEP_2)
	v_sub_f32_e32 v46, v46, v57
	v_fmamk_f32 v67, v10, 0x32a5705f, v67
	v_cvt_i32_f32_e32 v57, v57
	s_delay_alu instid0(VALU_DEP_2) | instskip(NEXT) | instid1(VALU_DEP_1)
	v_add_f32_e32 v46, v46, v67
	v_exp_f32_e32 v46, v46
	s_delay_alu instid0(TRANS32_DEP_1) | instskip(SKIP_1) | instid1(VALU_DEP_1)
	v_ldexp_f32 v46, v46, v57
	s_wait_alu 0xfffd
	v_cndmask_b32_e32 v46, 0, v46, vcc_lo
	v_cmp_nlt_f32_e32 vcc_lo, 0x42b17218, v10
	s_wait_alu 0xfffd
	s_delay_alu instid0(VALU_DEP_2) | instskip(NEXT) | instid1(VALU_DEP_1)
	v_cndmask_b32_e32 v10, 0x7f800000, v46, vcc_lo
	v_add_f32_e32 v10, 1.0, v10
	s_delay_alu instid0(VALU_DEP_1) | instskip(NEXT) | instid1(TRANS32_DEP_1)
	v_rcp_f32_e32 v10, v10
	v_fma_f32 v10, v10, -2.0, 1.0
.LBB70_123:
	s_wait_alu 0xfffe
	s_and_not1_saveexec_b32 s4, s4
	s_cbranch_execz .LBB70_125
; %bb.124:
	v_mul_f32_e32 v10, v12, v12
	s_mov_b32 s5, 0xbbbac73d
	s_wait_alu 0xfffe
	s_delay_alu instid0(VALU_DEP_1) | instskip(NEXT) | instid1(VALU_DEP_1)
	v_fmaak_f32 v46, s5, v10, 0x3ca908c9
	v_fmaak_f32 v46, v10, v46, 0xbd5c1c4e
	s_delay_alu instid0(VALU_DEP_1) | instskip(NEXT) | instid1(VALU_DEP_1)
	v_fmaak_f32 v46, v10, v46, 0x3e088382
	v_fmaak_f32 v46, v10, v46, 0xbeaaaa99
	s_delay_alu instid0(VALU_DEP_1) | instskip(NEXT) | instid1(VALU_DEP_1)
	v_mul_f32_e64 v46, |v12|, v46
	v_fma_f32 v10, v10, v46, |v12|
.LBB70_125:
	s_wait_alu 0xfffe
	s_or_b32 exec_lo, exec_lo, s4
	v_mul_hi_u32 v46, s20, v45
	v_max_num_f32_e32 v6, v6, v6
	v_bfi_b32 v12, 0x7fffffff, v10, v12
	s_delay_alu instid0(VALU_DEP_1) | instskip(NEXT) | instid1(VALU_DEP_4)
	v_mul_f32_e32 v12, s11, v12
	v_add_nc_u32_e32 v46, v45, v46
	s_delay_alu instid0(VALU_DEP_1) | instskip(NEXT) | instid1(VALU_DEP_1)
	v_lshrrev_b32_e32 v46, s21, v46
	v_mul_lo_u32 v46, v46, s22
	s_delay_alu instid0(VALU_DEP_1) | instskip(SKIP_2) | instid1(VALU_DEP_2)
	v_sub_nc_u32_e32 v45, v45, v46
	s_wait_dscnt 0x0
	v_max_num_f32_e32 v46, v9, v9
	v_mad_co_u64_u32 v[9:10], null, v45, s30, s[24:25]
	s_delay_alu instid0(VALU_DEP_2)
	v_max_num_f32_e32 v6, v6, v46
	s_and_saveexec_b32 s4, s2
	s_cbranch_execz .LBB70_130
; %bb.126:
	v_cmp_ne_u32_e32 vcc_lo, 1, v58
	s_cbranch_vccnz .LBB70_128
; %bb.127:
	s_delay_alu instid0(VALU_DEP_3) | instskip(NEXT) | instid1(VALU_DEP_1)
	v_add_nc_u32_e32 v45, v9, v35
	v_ashrrev_i32_e32 v46, 31, v45
	s_delay_alu instid0(VALU_DEP_1) | instskip(NEXT) | instid1(VALU_DEP_1)
	v_lshlrev_b64_e32 v[45:46], 1, v[45:46]
	v_add_co_u32 v45, vcc_lo, s38, v45
	s_wait_alu 0xfffd
	s_delay_alu instid0(VALU_DEP_2) | instskip(SKIP_3) | instid1(VALU_DEP_1)
	v_add_co_ci_u32_e64 v46, null, s39, v46, vcc_lo
	global_load_u16 v10, v[45:46], off
	s_wait_loadcnt 0x0
	v_cvt_f32_f16_e32 v10, v10
	v_mul_f32_e32 v10, v40, v10
	s_branch .LBB70_129
.LBB70_128:
	v_mov_b32_e32 v10, 0
.LBB70_129:
	s_delay_alu instid0(VALU_DEP_1) | instskip(NEXT) | instid1(VALU_DEP_1)
	v_dual_add_f32 v12, v12, v10 :: v_dual_max_num_f32 v7, v7, v7
	v_add_f32_e32 v10, 0x40051340, v12
	s_delay_alu instid0(VALU_DEP_1)
	v_max_num_f32_e32 v7, v7, v10
.LBB70_130:
	s_wait_alu 0xfffe
	s_or_b32 exec_lo, exec_lo, s4
	v_cmp_ngt_f32_e64 s2, 0x3f200000, |v11|
                                        ; implicit-def: $vgpr10
	s_and_saveexec_b32 s4, s2
	s_wait_alu 0xfffe
	s_xor_b32 s2, exec_lo, s4
	s_cbranch_execz .LBB70_132
; %bb.131:
	v_add_f32_e64 v10, |v11|, |v11|
	s_delay_alu instid0(VALU_DEP_1) | instskip(SKIP_1) | instid1(VALU_DEP_2)
	v_mul_f32_e32 v45, 0x3fb8aa3b, v10
	v_cmp_ngt_f32_e32 vcc_lo, 0xc2ce8ed0, v10
	v_rndne_f32_e32 v46, v45
	v_fma_f32 v57, 0x3fb8aa3b, v10, -v45
	s_delay_alu instid0(VALU_DEP_2) | instskip(NEXT) | instid1(VALU_DEP_2)
	v_sub_f32_e32 v45, v45, v46
	v_fmamk_f32 v57, v10, 0x32a5705f, v57
	v_cvt_i32_f32_e32 v46, v46
	s_delay_alu instid0(VALU_DEP_2) | instskip(NEXT) | instid1(VALU_DEP_1)
	v_add_f32_e32 v45, v45, v57
	v_exp_f32_e32 v45, v45
	s_delay_alu instid0(TRANS32_DEP_1) | instskip(SKIP_1) | instid1(VALU_DEP_1)
	v_ldexp_f32 v45, v45, v46
	s_wait_alu 0xfffd
	v_cndmask_b32_e32 v45, 0, v45, vcc_lo
	v_cmp_nlt_f32_e32 vcc_lo, 0x42b17218, v10
	s_wait_alu 0xfffd
	s_delay_alu instid0(VALU_DEP_2) | instskip(NEXT) | instid1(VALU_DEP_1)
	v_cndmask_b32_e32 v10, 0x7f800000, v45, vcc_lo
	v_add_f32_e32 v10, 1.0, v10
	s_delay_alu instid0(VALU_DEP_1) | instskip(NEXT) | instid1(TRANS32_DEP_1)
	v_rcp_f32_e32 v10, v10
	v_fma_f32 v10, v10, -2.0, 1.0
.LBB70_132:
	s_wait_alu 0xfffe
	s_and_not1_saveexec_b32 s2, s2
	s_cbranch_execz .LBB70_134
; %bb.133:
	v_mul_f32_e32 v10, v11, v11
	s_mov_b32 s4, 0xbbbac73d
	s_wait_alu 0xfffe
	s_delay_alu instid0(VALU_DEP_1) | instskip(NEXT) | instid1(VALU_DEP_1)
	v_fmaak_f32 v45, s4, v10, 0x3ca908c9
	v_fmaak_f32 v45, v10, v45, 0xbd5c1c4e
	s_delay_alu instid0(VALU_DEP_1) | instskip(NEXT) | instid1(VALU_DEP_1)
	v_fmaak_f32 v45, v10, v45, 0x3e088382
	v_fmaak_f32 v45, v10, v45, 0xbeaaaa99
	s_delay_alu instid0(VALU_DEP_1) | instskip(NEXT) | instid1(VALU_DEP_1)
	v_mul_f32_e64 v45, |v11|, v45
	v_fma_f32 v10, v10, v45, |v11|
.LBB70_134:
	s_wait_alu 0xfffe
	s_or_b32 exec_lo, exec_lo, s2
	s_delay_alu instid0(VALU_DEP_1) | instskip(NEXT) | instid1(VALU_DEP_1)
	v_bfi_b32 v10, 0x7fffffff, v10, v11
	v_mul_f32_e32 v10, s11, v10
	s_and_saveexec_b32 s2, s3
	s_cbranch_execz .LBB70_139
; %bb.135:
	v_cmp_ne_u32_e32 vcc_lo, 1, v58
	s_cbranch_vccnz .LBB70_137
; %bb.136:
	v_ashrrev_i32_e32 v11, 31, v9
	v_add_co_u32 v45, vcc_lo, v9, v35
	s_wait_alu 0xfffd
	s_delay_alu instid0(VALU_DEP_2) | instskip(NEXT) | instid1(VALU_DEP_1)
	v_add_co_ci_u32_e64 v46, null, 0, v11, vcc_lo
	v_lshlrev_b64_e32 v[45:46], 1, v[45:46]
	s_delay_alu instid0(VALU_DEP_1) | instskip(SKIP_1) | instid1(VALU_DEP_2)
	v_add_co_u32 v45, vcc_lo, s38, v45
	s_wait_alu 0xfffd
	v_add_co_ci_u32_e64 v46, null, s39, v46, vcc_lo
	global_load_u16 v9, v[45:46], off offset:64
	s_wait_loadcnt 0x0
	v_cvt_f32_f16_e32 v9, v9
	s_delay_alu instid0(VALU_DEP_1)
	v_mul_f32_e32 v9, v40, v9
	s_branch .LBB70_138
.LBB70_137:
	v_mov_b32_e32 v9, 0
.LBB70_138:
	s_delay_alu instid0(VALU_DEP_1) | instskip(NEXT) | instid1(VALU_DEP_1)
	v_dual_add_f32 v10, v10, v9 :: v_dual_max_num_f32 v7, v7, v7
	v_add_f32_e32 v9, 0x40051340, v10
	s_delay_alu instid0(VALU_DEP_1)
	v_max_num_f32_e32 v7, v7, v9
.LBB70_139:
	s_wait_alu 0xfffe
	s_or_b32 exec_lo, exec_lo, s2
	ds_bpermute_b32 v9, v65, v7
	v_max_num_f32_e32 v7, v7, v7
	s_mov_b64 s[8:9], src_private_base
	s_mov_b32 s41, s40
	s_mov_b32 s42, s40
	s_wait_loadcnt_dscnt 0x0
	s_barrier_signal -1
	s_barrier_wait -1
	global_inv scope:SCOPE_SE
	s_ashr_i32 s15, s14, 31
	v_dual_mov_b32 v76, 0 :: v_dual_lshlrev_b32 v75, 2, v28
	v_add_nc_u32_e32 v78, 8, v39
	v_add_nc_u32_e32 v80, 16, v39
	;; [unrolled: 1-line block ×3, first 2 shown]
	s_delay_alu instid0(VALU_DEP_4) | instskip(NEXT) | instid1(VALU_DEP_4)
	v_dual_sub_f32 v2, v2, v6 :: v_dual_add_nc_u32 v77, v37, v75
	v_lshl_add_u32 v79, v78, 9, v75
	s_delay_alu instid0(VALU_DEP_4) | instskip(NEXT) | instid1(VALU_DEP_4)
	v_lshl_add_u32 v81, v80, 9, v75
	v_lshl_add_u32 v83, v82, 9, v75
	v_dual_max_num_f32 v9, v9, v9 :: v_dual_sub_f32 v0, v0, v4
	s_delay_alu instid0(VALU_DEP_1) | instskip(SKIP_3) | instid1(VALU_DEP_1)
	v_max_num_f32_e32 v7, v7, v9
	ds_bpermute_b32 v9, v66, v7
	s_wait_dscnt 0x0
	v_max_num_f32_e32 v9, v9, v9
	v_max_num_f32_e32 v7, v7, v9
	ds_bpermute_b32 v9, v22, v7
	s_wait_dscnt 0x0
	v_max_num_f32_e32 v9, v9, v9
	s_delay_alu instid0(VALU_DEP_1) | instskip(SKIP_3) | instid1(VALU_DEP_1)
	v_max_num_f32_e32 v7, v7, v9
	ds_bpermute_b32 v9, v21, v7
	s_wait_dscnt 0x0
	v_max_num_f32_e32 v9, v9, v9
	v_max_num_f32_e32 v7, v7, v9
	ds_bpermute_b32 v9, v20, v7
	s_wait_dscnt 0x0
	v_max_num_f32_e32 v9, v9, v9
	s_delay_alu instid0(VALU_DEP_1) | instskip(NEXT) | instid1(VALU_DEP_1)
	v_max_num_f32_e32 v7, v7, v9
	v_dual_sub_f32 v9, v19, v4 :: v_dual_sub_f32 v12, v12, v7
	s_delay_alu instid0(VALU_DEP_1)
	v_mul_f32_e32 v11, 0x3fb8aa3b, v9
	v_cmp_ngt_f32_e32 vcc_lo, 0xc2ce8ed0, v9
	v_cmp_nlt_f32_e64 s2, 0x42b17218, v9
	v_sub_f32_e32 v10, v10, v7
	v_cmp_ngt_f32_e64 s7, 0xc2ce8ed0, v12
	v_fma_f32 v19, 0x3fb8aa3b, v9, -v11
	v_cmp_nlt_f32_e64 s8, 0x42b17218, v12
	s_delay_alu instid0(VALU_DEP_2) | instskip(SKIP_1) | instid1(VALU_DEP_1)
	v_fmac_f32_e32 v19, 0x32a5705f, v9
	v_sub_f32_e32 v9, v16, v5
	v_mul_f32_e32 v16, 0x3fb8aa3b, v9
	v_cmp_ngt_f32_e64 s3, 0xc2ce8ed0, v9
	v_cmp_nlt_f32_e64 s4, 0x42b17218, v9
	s_delay_alu instid0(VALU_DEP_3) | instskip(NEXT) | instid1(VALU_DEP_1)
	v_fma_f32 v20, 0x3fb8aa3b, v9, -v16
	v_dual_fmac_f32 v20, 0x32a5705f, v9 :: v_dual_sub_f32 v9, v14, v6
	s_delay_alu instid0(VALU_DEP_1) | instskip(SKIP_2) | instid1(VALU_DEP_3)
	v_mul_f32_e32 v14, 0x3fb8aa3b, v9
	v_cmp_ngt_f32_e64 s5, 0xc2ce8ed0, v9
	v_cmp_nlt_f32_e64 s6, 0x42b17218, v9
	v_fma_f32 v21, 0x3fb8aa3b, v9, -v14
	s_delay_alu instid0(VALU_DEP_1) | instskip(SKIP_1) | instid1(VALU_DEP_1)
	v_fmac_f32_e32 v21, 0x32a5705f, v9
	v_rndne_f32_e32 v9, v11
	v_sub_f32_e32 v11, v11, v9
	v_cvt_i32_f32_e32 v9, v9
	s_delay_alu instid0(VALU_DEP_2) | instskip(SKIP_1) | instid1(VALU_DEP_2)
	v_add_f32_e32 v11, v11, v19
	v_rndne_f32_e32 v19, v16
	v_exp_f32_e32 v11, v11
	s_delay_alu instid0(VALU_DEP_1) | instskip(NEXT) | instid1(VALU_DEP_1)
	v_sub_f32_e32 v16, v16, v19
	v_add_f32_e32 v16, v16, v20
	v_rndne_f32_e32 v20, v14
	s_delay_alu instid0(TRANS32_DEP_1) | instskip(NEXT) | instid1(VALU_DEP_3)
	v_ldexp_f32 v9, v11, v9
	v_exp_f32_e32 v11, v16
	v_cvt_i32_f32_e32 v16, v19
	s_wait_alu 0xfffd
	s_delay_alu instid0(VALU_DEP_2) | instskip(SKIP_1) | instid1(VALU_DEP_2)
	v_dual_sub_f32 v14, v14, v20 :: v_dual_cndmask_b32 v9, 0, v9
	v_cmp_gt_u32_e32 vcc_lo, s29, v35
	v_add_f32_e32 v14, v14, v21
	s_wait_alu 0xf1ff
	s_delay_alu instid0(VALU_DEP_3) | instskip(NEXT) | instid1(TRANS32_DEP_1)
	v_cndmask_b32_e64 v9, 0x7f800000, v9, s2
	v_ldexp_f32 v11, v11, v16
	v_mul_f32_e32 v16, 0x3fb8aa3b, v12
	v_exp_f32_e32 v14, v14
	s_delay_alu instid0(VALU_DEP_2) | instskip(NEXT) | instid1(VALU_DEP_2)
	v_cndmask_b32_e64 v11, 0, v11, s3
	v_fma_f32 v19, 0x3fb8aa3b, v12, -v16
	v_rndne_f32_e32 v21, v16
	s_delay_alu instid0(VALU_DEP_3) | instskip(NEXT) | instid1(VALU_DEP_2)
	v_cndmask_b32_e64 v11, 0x7f800000, v11, s4
	v_dual_fmac_f32 v19, 0x32a5705f, v12 :: v_dual_sub_f32 v16, v16, v21
	s_wait_alu 0xfffd
	s_delay_alu instid0(VALU_DEP_2) | instskip(NEXT) | instid1(VALU_DEP_2)
	v_dual_cndmask_b32 v46, 0, v9 :: v_dual_cndmask_b32 v45, 0, v11
	v_add_f32_e32 v16, v16, v19
	v_cvt_i32_f32_e32 v19, v20
	s_delay_alu instid0(VALU_DEP_3) | instskip(NEXT) | instid1(VALU_DEP_4)
	v_cvt_f16_f32_e32 v9, v46
	v_cvt_f16_f32_e32 v11, v45
	s_delay_alu instid0(VALU_DEP_4) | instskip(SKIP_2) | instid1(VALU_DEP_3)
	v_exp_f32_e32 v12, v16
	v_cvt_i32_f32_e32 v16, v21
	v_ldexp_f32 v14, v14, v19
	v_pack_b32_f16 v11, v9, v11
	s_delay_alu instid0(VALU_DEP_2)
	v_cndmask_b32_e64 v14, 0, v14, s5
	s_delay_alu instid0(TRANS32_DEP_1) | instid1(VALU_DEP_4)
	v_ldexp_f32 v12, v12, v16
	s_delay_alu instid0(VALU_DEP_2) | instskip(NEXT) | instid1(VALU_DEP_2)
	v_cndmask_b32_e64 v14, 0x7f800000, v14, s6
	v_cndmask_b32_e64 v12, 0, v12, s7
	v_cmp_ngt_f32_e64 s7, 0xc2ce8ed0, v10
	s_delay_alu instid0(VALU_DEP_3)
	v_cndmask_b32_e32 v40, 0, v14, vcc_lo
	v_add_nc_u32_e32 v14, 0x8400, v37
	s_wait_alu 0xfffe
	v_cndmask_b32_e64 v12, 0x7f800000, v12, s8
	v_cmp_nlt_f32_e64 s8, 0x42b17218, v10
	v_cvt_f16_f32_e32 v9, v40
	s_delay_alu instid0(VALU_DEP_3) | instskip(NEXT) | instid1(VALU_DEP_1)
	v_cndmask_b32_e32 v57, 0, v12, vcc_lo
	v_cvt_f16_f32_e32 v12, v57
	s_delay_alu instid0(VALU_DEP_1) | instskip(SKIP_3) | instid1(VALU_DEP_1)
	v_pack_b32_f16 v12, v9, v12
	v_add_nc_u32_e32 v9, v14, v38
	ds_store_b64 v9, v[11:12]
	v_sub_f32_e32 v9, v18, v4
	v_mul_f32_e32 v11, 0x3fb8aa3b, v9
	v_cmp_ngt_f32_e32 vcc_lo, 0xc2ce8ed0, v9
	v_cmp_nlt_f32_e64 s2, 0x42b17218, v9
	s_delay_alu instid0(VALU_DEP_3) | instskip(NEXT) | instid1(VALU_DEP_1)
	v_fma_f32 v12, 0x3fb8aa3b, v9, -v11
	v_fmac_f32_e32 v12, 0x32a5705f, v9
	v_sub_f32_e32 v9, v15, v5
	s_delay_alu instid0(VALU_DEP_1) | instskip(SKIP_2) | instid1(VALU_DEP_3)
	v_mul_f32_e32 v15, 0x3fb8aa3b, v9
	v_cmp_ngt_f32_e64 s3, 0xc2ce8ed0, v9
	v_cmp_nlt_f32_e64 s4, 0x42b17218, v9
	v_fma_f32 v16, 0x3fb8aa3b, v9, -v15
	s_delay_alu instid0(VALU_DEP_1) | instskip(NEXT) | instid1(VALU_DEP_1)
	v_dual_fmac_f32 v16, 0x32a5705f, v9 :: v_dual_sub_f32 v9, v13, v6
	v_mul_f32_e32 v13, 0x3fb8aa3b, v9
	v_cmp_ngt_f32_e64 s5, 0xc2ce8ed0, v9
	v_cmp_nlt_f32_e64 s6, 0x42b17218, v9
	s_delay_alu instid0(VALU_DEP_3) | instskip(NEXT) | instid1(VALU_DEP_1)
	v_fma_f32 v18, 0x3fb8aa3b, v9, -v13
	v_fmac_f32_e32 v18, 0x32a5705f, v9
	v_rndne_f32_e32 v9, v11
	s_delay_alu instid0(VALU_DEP_1) | instskip(SKIP_1) | instid1(VALU_DEP_2)
	v_sub_f32_e32 v11, v11, v9
	v_cvt_i32_f32_e32 v9, v9
	v_add_f32_e32 v11, v11, v12
	v_rndne_f32_e32 v12, v15
	s_delay_alu instid0(VALU_DEP_2) | instskip(NEXT) | instid1(VALU_DEP_1)
	v_exp_f32_e32 v11, v11
	v_sub_f32_e32 v15, v15, v12
	v_cvt_i32_f32_e32 v12, v12
	s_delay_alu instid0(VALU_DEP_2) | instskip(SKIP_1) | instid1(TRANS32_DEP_1)
	v_add_f32_e32 v15, v15, v16
	v_rndne_f32_e32 v16, v13
	v_ldexp_f32 v9, v11, v9
	s_delay_alu instid0(VALU_DEP_3) | instskip(NEXT) | instid1(VALU_DEP_2)
	v_exp_f32_e32 v11, v15
	v_sub_f32_e32 v13, v13, v16
	s_wait_alu 0xfffd
	s_delay_alu instid0(VALU_DEP_2) | instskip(SKIP_1) | instid1(VALU_DEP_3)
	v_cndmask_b32_e32 v9, 0, v9, vcc_lo
	v_cmp_gt_u32_e32 vcc_lo, s29, v17
	v_add_f32_e32 v13, v13, v18
	s_wait_alu 0xf1ff
	s_delay_alu instid0(VALU_DEP_3) | instskip(NEXT) | instid1(TRANS32_DEP_1)
	v_cndmask_b32_e64 v9, 0x7f800000, v9, s2
	v_ldexp_f32 v11, v11, v12
	v_mul_f32_e32 v12, 0x3fb8aa3b, v10
	v_exp_f32_e32 v13, v13
	s_wait_alu 0xfffd
	v_cndmask_b32_e32 v67, 0, v9, vcc_lo
	v_cndmask_b32_e64 v11, 0, v11, s3
	v_fma_f32 v15, 0x3fb8aa3b, v10, -v12
	v_rndne_f32_e32 v18, v12
	s_mul_u64 s[2:3], s[24:25], s[14:15]
	v_cvt_f16_f32_e32 v9, v67
	v_cndmask_b32_e64 v11, 0x7f800000, v11, s4
	s_wait_alu 0xfffe
	s_lshl_b64 s[2:3], s[2:3], 2
	v_dual_sub_f32 v12, v12, v18 :: v_dual_sub_f32 v3, v3, v7
	v_sub_f32_e32 v1, v1, v5
	v_dual_fmac_f32 v15, 0x32a5705f, v10 :: v_dual_cndmask_b32 v66, 0, v11
	s_delay_alu instid0(VALU_DEP_1) | instskip(SKIP_1) | instid1(VALU_DEP_2)
	v_add_f32_e32 v12, v12, v15
	v_cvt_i32_f32_e32 v15, v16
	v_exp_f32_e32 v10, v12
	v_cvt_i32_f32_e32 v12, v18
	s_delay_alu instid0(VALU_DEP_2)
	v_ldexp_f32 v13, v13, v15
	s_delay_alu instid0(TRANS32_DEP_1) | instid1(VALU_DEP_2)
	v_ldexp_f32 v10, v10, v12
	s_delay_alu instid0(VALU_DEP_2) | instskip(SKIP_2) | instid1(VALU_DEP_2)
	v_cndmask_b32_e64 v12, 0, v13, s5
	s_wait_alu 0xfffe
	s_add_nc_u64 s[4:5], s[26:27], s[2:3]
	v_cndmask_b32_e64 v10, 0, v10, s7
	s_delay_alu instid0(VALU_DEP_2) | instskip(SKIP_2) | instid1(VALU_DEP_3)
	v_cndmask_b32_e64 v12, 0x7f800000, v12, s6
	s_lshl_b32 s6, s14, 3
	v_cmp_ngt_f32_e64 s7, 0xc2ce8ed0, v3
	v_cndmask_b32_e64 v10, 0x7f800000, v10, s8
	s_delay_alu instid0(VALU_DEP_3) | instskip(SKIP_1) | instid1(VALU_DEP_3)
	v_cndmask_b32_e32 v65, 0, v12, vcc_lo
	v_cmp_nlt_f32_e64 s8, 0x42b17218, v3
	v_cndmask_b32_e32 v58, 0, v10, vcc_lo
	v_cvt_f16_f32_e32 v10, v66
	v_cmp_gt_i32_e32 vcc_lo, s29, v39
	s_delay_alu instid0(VALU_DEP_3) | instskip(NEXT) | instid1(VALU_DEP_3)
	v_cvt_f16_f32_e32 v11, v58
	v_pack_b32_f16 v9, v9, v10
	v_cvt_f16_f32_e32 v10, v65
	s_delay_alu instid0(VALU_DEP_1)
	v_pack_b32_f16 v10, v10, v11
	v_lshl_add_u32 v11, v17, 3, v14
	v_dual_mov_b32 v12, s40 :: v_dual_mov_b32 v13, s41
	v_mov_b32_e32 v14, s42
	scratch_store_b32 off, v76, off
	ds_store_b64 v11, v[9:10]
	v_ashrrev_i32_e32 v9, 31, v8
	scratch_store_b96 off, v[12:14], off offset:4
	v_lshlrev_b64_e32 v[15:16], 2, v[8:9]
	s_wait_alu 0xfffe
	s_delay_alu instid0(VALU_DEP_1) | instskip(SKIP_1) | instid1(VALU_DEP_2)
	v_add_co_u32 v9, s2, s4, v15
	s_wait_alu 0xf1ff
	v_add_co_ci_u32_e64 v10, null, s5, v16, s2
	s_delay_alu instid0(VALU_DEP_2) | instskip(SKIP_1) | instid1(VALU_DEP_2)
	v_add_co_u32 v9, s3, v9, v75
	s_wait_alu 0xf1ff
	v_add_co_ci_u32_e64 v10, null, 0, v10, s3
	s_wait_alu 0xfffd
	s_delay_alu instid0(VALU_DEP_2) | instskip(NEXT) | instid1(VALU_DEP_2)
	v_cndmask_b32_e32 v9, 0, v9, vcc_lo
	v_cndmask_b32_e32 v10, s9, v10, vcc_lo
	v_cmp_gt_i32_e32 vcc_lo, s29, v78
	flat_load_b128 v[17:20], v[9:10]
	s_wait_loadcnt_dscnt 0x0
	ds_store_b128 v77, v[17:20]
	v_add_nc_u32_e32 v19, s6, v8
	s_clause 0x1
	scratch_store_b32 off, v76, off
	scratch_store_b96 off, v[12:14], off offset:4
	v_ashrrev_i32_e32 v20, 31, v19
	v_add_nc_u32_e32 v21, s6, v19
	s_delay_alu instid0(VALU_DEP_2) | instskip(NEXT) | instid1(VALU_DEP_2)
	v_lshlrev_b64_e32 v[17:18], 2, v[19:20]
	v_ashrrev_i32_e32 v22, 31, v21
	s_delay_alu instid0(VALU_DEP_2) | instskip(SKIP_1) | instid1(VALU_DEP_3)
	v_add_co_u32 v8, s2, s4, v17
	s_wait_alu 0xf1ff
	v_add_co_ci_u32_e64 v9, null, s5, v18, s2
	s_delay_alu instid0(VALU_DEP_3) | instskip(NEXT) | instid1(VALU_DEP_3)
	v_lshlrev_b64_e32 v[19:20], 2, v[21:22]
	v_add_co_u32 v8, s3, v8, v75
	s_wait_alu 0xf1ff
	s_delay_alu instid0(VALU_DEP_3) | instskip(SKIP_1) | instid1(VALU_DEP_2)
	v_add_co_ci_u32_e64 v9, null, 0, v9, s3
	s_wait_alu 0xfffd
	v_cndmask_b32_e32 v8, 0, v8, vcc_lo
	s_delay_alu instid0(VALU_DEP_2)
	v_cndmask_b32_e32 v9, s9, v9, vcc_lo
	v_cmp_gt_i32_e32 vcc_lo, s29, v80
	flat_load_b128 v[8:11], v[8:9]
	s_wait_loadcnt_dscnt 0x0
	ds_store_b128 v79, v[8:11]
	v_add_co_u32 v8, s2, s4, v19
	s_wait_alu 0xf1ff
	v_add_co_ci_u32_e64 v9, null, s5, v20, s2
	s_clause 0x1
	scratch_store_b32 off, v76, off
	scratch_store_b96 off, v[12:14], off offset:4
	v_add_co_u32 v8, s3, v8, v75
	s_wait_alu 0xf1ff
	v_add_co_ci_u32_e64 v9, null, 0, v9, s3
	s_wait_alu 0xfffd
	s_delay_alu instid0(VALU_DEP_2) | instskip(NEXT) | instid1(VALU_DEP_2)
	v_cndmask_b32_e32 v8, 0, v8, vcc_lo
	v_cndmask_b32_e32 v9, s9, v9, vcc_lo
	v_cmp_gt_i32_e32 vcc_lo, s29, v82
	flat_load_b128 v[8:11], v[8:9]
	s_wait_loadcnt_dscnt 0x0
	ds_store_b128 v81, v[8:11]
	v_add_nc_u32_e32 v8, s6, v21
	s_clause 0x1
	scratch_store_b32 off, v76, off
	scratch_store_b96 off, v[12:14], off offset:4
	v_cmp_nlt_f32_e64 s6, 0x42b17218, v2
	v_ashrrev_i32_e32 v9, 31, v8
	s_delay_alu instid0(VALU_DEP_1) | instskip(NEXT) | instid1(VALU_DEP_1)
	v_lshlrev_b64_e32 v[21:22], 2, v[8:9]
	v_add_co_u32 v8, s2, s4, v21
	s_wait_alu 0xf1ff
	s_delay_alu instid0(VALU_DEP_2) | instskip(SKIP_1) | instid1(VALU_DEP_3)
	v_add_co_ci_u32_e64 v9, null, s5, v22, s2
	v_cmp_nlt_f32_e64 s2, 0x42b17218, v0
	v_add_co_u32 v8, s3, v8, v75
	s_wait_alu 0xf1ff
	s_delay_alu instid0(VALU_DEP_3)
	v_add_co_ci_u32_e64 v9, null, 0, v9, s3
	v_cmp_ngt_f32_e64 s3, 0xc2ce8ed0, v1
	s_wait_alu 0xfffd
	v_cndmask_b32_e32 v8, 0, v8, vcc_lo
	v_cmp_nlt_f32_e64 s4, 0x42b17218, v1
	v_cndmask_b32_e32 v9, s9, v9, vcc_lo
	v_cmp_ngt_f32_e32 vcc_lo, 0xc2ce8ed0, v0
	v_cmp_ngt_f32_e64 s5, 0xc2ce8ed0, v2
	flat_load_b128 v[8:11], v[8:9]
	s_wait_loadcnt_dscnt 0x0
	ds_store_b128 v83, v[8:11]
	v_mul_f32_e32 v8, 0x3fb8aa3b, v0
	s_wait_storecnt_dscnt 0x0
	s_barrier_signal -1
	s_barrier_wait -1
	global_inv scope:SCOPE_SE
	v_fma_f32 v9, 0x3fb8aa3b, v0, -v8
	s_delay_alu instid0(VALU_DEP_1) | instskip(SKIP_1) | instid1(VALU_DEP_1)
	v_fmac_f32_e32 v9, 0x32a5705f, v0
	v_mul_f32_e32 v0, 0x3fb8aa3b, v1
	v_fma_f32 v10, 0x3fb8aa3b, v1, -v0
	s_delay_alu instid0(VALU_DEP_1) | instskip(SKIP_1) | instid1(VALU_DEP_1)
	v_fmac_f32_e32 v10, 0x32a5705f, v1
	v_mul_f32_e32 v1, 0x3fb8aa3b, v2
	v_fma_f32 v11, 0x3fb8aa3b, v2, -v1
	s_delay_alu instid0(VALU_DEP_1) | instskip(SKIP_1) | instid1(VALU_DEP_1)
	v_fmac_f32_e32 v11, 0x32a5705f, v2
	v_rndne_f32_e32 v2, v8
	v_sub_f32_e32 v8, v8, v2
	v_cvt_i32_f32_e32 v2, v2
	s_delay_alu instid0(VALU_DEP_2) | instskip(SKIP_1) | instid1(VALU_DEP_2)
	v_add_f32_e32 v8, v8, v9
	v_rndne_f32_e32 v9, v0
	v_exp_f32_e32 v8, v8
	s_delay_alu instid0(VALU_DEP_1) | instskip(NEXT) | instid1(VALU_DEP_1)
	v_sub_f32_e32 v0, v0, v9
	v_add_f32_e32 v0, v0, v10
	v_rndne_f32_e32 v10, v1
	s_delay_alu instid0(TRANS32_DEP_1) | instskip(NEXT) | instid1(VALU_DEP_3)
	v_ldexp_f32 v72, v8, v2
	v_exp_f32_e32 v0, v0
	v_cvt_i32_f32_e32 v2, v9
	s_wait_alu 0xfffd
	s_delay_alu instid0(VALU_DEP_2) | instskip(NEXT) | instid1(VALU_DEP_1)
	v_dual_sub_f32 v1, v1, v10 :: v_dual_cndmask_b32 v72, 0, v72
	v_add_f32_e32 v1, v1, v11
	s_delay_alu instid0(TRANS32_DEP_1) | instid1(VALU_DEP_3)
	v_ldexp_f32 v73, v0, v2
	v_mul_f32_e32 v0, 0x3fb8aa3b, v3
	s_delay_alu instid0(VALU_DEP_3) | instskip(SKIP_1) | instid1(VALU_DEP_2)
	v_exp_f32_e32 v1, v1
	s_wait_alu 0xf1ff
	v_cndmask_b32_e64 v73, 0, v73, s3
	s_delay_alu instid0(VALU_DEP_2) | instskip(SKIP_1) | instid1(VALU_DEP_3)
	v_fma_f32 v2, 0x3fb8aa3b, v3, -v0
	v_rndne_f32_e32 v8, v0
	v_cndmask_b32_e64 v73, 0x7f800000, v73, s4
	s_delay_alu instid0(VALU_DEP_3) | instskip(NEXT) | instid1(VALU_DEP_3)
	v_fmac_f32_e32 v2, 0x32a5705f, v3
	v_sub_f32_e32 v0, v0, v8
	s_delay_alu instid0(VALU_DEP_3) | instskip(NEXT) | instid1(VALU_DEP_2)
	v_cvt_f16_f32_e32 v85, v73
	v_add_f32_e32 v0, v0, v2
	v_cvt_i32_f32_e32 v2, v10
	s_delay_alu instid0(VALU_DEP_3) | instskip(NEXT) | instid1(VALU_DEP_3)
	v_and_b32_e32 v85, 0xffff, v85
	v_exp_f32_e32 v0, v0
	s_delay_alu instid0(VALU_DEP_2) | instskip(SKIP_1) | instid1(VALU_DEP_3)
	v_ldexp_f32 v74, v1, v2
	v_cvt_i32_f32_e32 v1, v8
	v_mul_u32_u24_e32 v85, 0x10001, v85
	s_delay_alu instid0(VALU_DEP_1)
	v_pk_mul_f16 v61, v61, v85
	v_pk_mul_f16 v59, v59, v85
	s_delay_alu instid0(TRANS32_DEP_1) | instid1(VALU_DEP_4)
	v_ldexp_f32 v0, v0, v1
	v_pk_mul_f16 v60, v60, v85
	s_delay_alu instid0(VALU_DEP_2) | instskip(NEXT) | instid1(VALU_DEP_1)
	v_cndmask_b32_e64 v0, 0, v0, s7
	v_cndmask_b32_e64 v68, 0x7f800000, v0, s8
	s_delay_alu instid0(VALU_DEP_1) | instskip(NEXT) | instid1(VALU_DEP_1)
	v_cvt_f16_f32_e32 v0, v68
	v_and_b32_e32 v0, 0xffff, v0
	s_delay_alu instid0(VALU_DEP_1) | instskip(NEXT) | instid1(VALU_DEP_1)
	v_mul_u32_u24_e32 v0, 0x10001, v0
	v_pk_mul_f16 v53, v53, v0
	v_pk_mul_f16 v54, v54, v0
	;; [unrolled: 1-line block ×4, first 2 shown]
	ds_load_b128 v[0:3], v37 offset:33792
	s_wait_dscnt 0x0
	v_lshrrev_b32_e32 v8, 16, v1
	v_and_b32_e32 v87, 0xffff, v0
	v_lshrrev_b32_e32 v0, 16, v0
	v_and_b32_e32 v1, 0xffff, v1
	s_delay_alu instid0(VALU_DEP_4)
	v_mul_u32_u24_e32 v84, 0x10001, v8
	ds_load_2addr_b64 v[8:11], v38 offset1:32
	v_mul_u32_u24_e32 v87, 0x10001, v87
	v_mul_u32_u24_e32 v0, 0x10001, v0
	;; [unrolled: 1-line block ×3, first 2 shown]
	s_wait_dscnt 0x0
	v_pk_fma_f16 v53, v8, v84, v53
	v_pk_fma_f16 v54, v9, v84, v54
	;; [unrolled: 1-line block ×4, first 2 shown]
	v_cndmask_b32_e64 v84, 0, v74, s5
	v_cndmask_b32_e64 v74, 0x7f800000, v72, s2
	v_pk_fma_f16 v61, v9, v0, v61
	v_pk_fma_f16 v59, v10, v0, v59
	;; [unrolled: 1-line block ×3, first 2 shown]
	v_cndmask_b32_e64 v72, 0x7f800000, v84, s6
	v_cvt_f16_f32_e32 v84, v74
	v_pk_mul_f16 v0, v8, v0
	s_or_b32 s2, s24, 32
	s_delay_alu instid0(VALU_DEP_3) | instskip(NEXT) | instid1(VALU_DEP_3)
	v_cvt_f16_f32_e32 v86, v72
	v_and_b32_e32 v84, 0xffff, v84
	s_delay_alu instid0(VALU_DEP_3)
	v_pk_fma_f16 v49, v49, v85, v0
	s_wait_alu 0xfffe
	s_ashr_i32 s3, s2, 31
	v_and_b32_e32 v86, 0xffff, v86
	v_mul_u32_u24_e32 v84, 0x10001, v84
	s_wait_alu 0xfffe
	s_mul_u64 s[2:3], s[2:3], s[14:15]
	s_wait_alu 0xfffe
	s_lshl_b64 s[2:3], s[2:3], 2
	v_mul_u32_u24_e32 v86, 0x10001, v86
	v_pk_mul_f16 v64, v64, v84
	v_pk_mul_f16 v62, v62, v84
	;; [unrolled: 1-line block ×3, first 2 shown]
	s_wait_alu 0xfffe
	s_add_nc_u64 s[4:5], s[26:27], s[2:3]
	v_pk_mul_f16 v55, v55, v86
	v_pk_mul_f16 v51, v51, v86
	;; [unrolled: 1-line block ×3, first 2 shown]
	v_pk_fma_f16 v64, v9, v87, v64
	v_pk_fma_f16 v62, v10, v87, v62
	;; [unrolled: 1-line block ×6, first 2 shown]
	v_pk_mul_f16 v1, v8, v1
	v_pk_mul_f16 v87, v8, v87
	v_lshrrev_b32_e32 v8, 16, v2
	v_lshrrev_b32_e32 v51, 16, v3
	v_and_b32_e32 v52, 0xffff, v2
	v_and_b32_e32 v55, 0xffff, v3
	v_pk_fma_f16 v47, v47, v86, v1
	ds_load_2addr_b64 v[0:3], v38 offset0:64 offset1:96
	v_mul_u32_u24_e32 v51, 0x10001, v51
	v_pk_fma_f16 v56, v56, v84, v87
	v_mul_u32_u24_e32 v8, 0x10001, v8
	s_sub_co_i32 s3, s29, 32
	s_wait_dscnt 0x0
	v_pk_fma_f16 v53, v0, v51, v53
	v_pk_fma_f16 v54, v1, v51, v54
	;; [unrolled: 1-line block ×4, first 2 shown]
	v_mul_u32_u24_e32 v51, 0x10001, v52
	v_pk_fma_f16 v59, v2, v8, v59
	v_pk_fma_f16 v60, v3, v8, v60
	;; [unrolled: 1-line block ×3, first 2 shown]
	s_delay_alu instid0(VALU_DEP_4)
	v_pk_fma_f16 v52, v1, v51, v64
	v_pk_fma_f16 v62, v2, v51, v62
	;; [unrolled: 1-line block ×5, first 2 shown]
	v_mul_u32_u24_e32 v8, 0x10001, v55
	s_delay_alu instid0(VALU_DEP_1)
	v_pk_fma_f16 v55, v1, v8, v9
	v_pk_fma_f16 v61, v2, v8, v10
	;; [unrolled: 1-line block ×4, first 2 shown]
	ds_load_b128 v[0:3], v37 offset:33808
	s_wait_dscnt 0x0
	v_lshrrev_b32_e32 v8, 16, v1
	s_delay_alu instid0(VALU_DEP_1)
	v_mul_u32_u24_e32 v84, 0x10001, v8
	ds_load_2addr_b64 v[8:11], v38 offset0:128 offset1:160
	s_wait_dscnt 0x0
	v_pk_fma_f16 v53, v8, v84, v53
	v_pk_fma_f16 v54, v9, v84, v54
	;; [unrolled: 1-line block ×4, first 2 shown]
	v_and_b32_e32 v84, 0xffff, v0
	v_lshrrev_b32_e32 v0, 16, v0
	s_delay_alu instid0(VALU_DEP_2) | instskip(NEXT) | instid1(VALU_DEP_2)
	v_mul_u32_u24_e32 v84, 0x10001, v84
	v_mul_u32_u24_e32 v0, 0x10001, v0
	s_delay_alu instid0(VALU_DEP_2) | instskip(NEXT) | instid1(VALU_DEP_2)
	v_pk_fma_f16 v52, v9, v84, v52
	v_pk_fma_f16 v56, v9, v0, v56
	;; [unrolled: 1-line block ×5, first 2 shown]
	v_and_b32_e32 v0, 0xffff, v1
	v_pk_fma_f16 v62, v10, v84, v62
	v_pk_fma_f16 v63, v11, v84, v63
	;; [unrolled: 1-line block ×3, first 2 shown]
	s_delay_alu instid0(VALU_DEP_4) | instskip(NEXT) | instid1(VALU_DEP_1)
	v_mul_u32_u24_e32 v0, 0x10001, v0
	v_pk_fma_f16 v9, v9, v0, v55
	v_pk_fma_f16 v10, v10, v0, v61
	;; [unrolled: 1-line block ×4, first 2 shown]
	v_lshrrev_b32_e32 v0, 16, v3
	v_lshrrev_b32_e32 v47, 16, v2
	v_and_b32_e32 v55, 0xffff, v2
	v_and_b32_e32 v61, 0xffff, v3
	s_delay_alu instid0(VALU_DEP_4) | instskip(SKIP_4) | instid1(VALU_DEP_2)
	v_mul_u32_u24_e32 v64, 0x10001, v0
	ds_load_2addr_b64 v[0:3], v38 offset0:192 offset1:224
	v_mul_u32_u24_e32 v55, 0x10001, v55
	v_mul_u32_u24_e32 v47, 0x10001, v47
	s_wait_dscnt 0x0
	v_pk_fma_f16 v52, v1, v55, v52
	v_pk_fma_f16 v62, v2, v55, v62
	;; [unrolled: 1-line block ×8, first 2 shown]
	v_mul_u32_u24_e32 v47, 0x10001, v61
	v_pk_fma_f16 v53, v0, v64, v53
	v_pk_fma_f16 v54, v1, v64, v54
	;; [unrolled: 1-line block ×8, first 2 shown]
	ds_load_b128 v[0:3], v37 offset:33824
	v_add_nc_u32_e32 v47, 0x800, v38
	s_wait_dscnt 0x0
	v_lshrrev_b32_e32 v8, 16, v1
	s_delay_alu instid0(VALU_DEP_1)
	v_mul_u32_u24_e32 v85, 0x10001, v8
	ds_load_2addr_b64 v[8:11], v47 offset1:32
	s_wait_dscnt 0x0
	v_pk_fma_f16 v53, v8, v85, v53
	v_pk_fma_f16 v54, v9, v85, v54
	v_pk_fma_f16 v50, v10, v85, v50
	v_pk_fma_f16 v48, v11, v85, v48
	v_and_b32_e32 v85, 0xffff, v0
	v_lshrrev_b32_e32 v0, 16, v0
	s_delay_alu instid0(VALU_DEP_2) | instskip(NEXT) | instid1(VALU_DEP_2)
	v_mul_u32_u24_e32 v85, 0x10001, v85
	v_mul_u32_u24_e32 v0, 0x10001, v0
	s_delay_alu instid0(VALU_DEP_2) | instskip(NEXT) | instid1(VALU_DEP_2)
	v_pk_fma_f16 v52, v9, v85, v52
	v_pk_fma_f16 v55, v9, v0, v55
	;; [unrolled: 1-line block ×5, first 2 shown]
	v_and_b32_e32 v0, 0xffff, v1
	v_pk_fma_f16 v62, v10, v85, v62
	v_pk_fma_f16 v63, v11, v85, v63
	;; [unrolled: 1-line block ×3, first 2 shown]
	s_delay_alu instid0(VALU_DEP_4) | instskip(NEXT) | instid1(VALU_DEP_1)
	v_mul_u32_u24_e32 v0, 0x10001, v0
	v_pk_fma_f16 v9, v9, v0, v60
	v_pk_fma_f16 v10, v10, v0, v61
	;; [unrolled: 1-line block ×4, first 2 shown]
	v_lshrrev_b32_e32 v0, 16, v3
	v_lshrrev_b32_e32 v60, 16, v2
	v_and_b32_e32 v61, 0xffff, v2
	v_and_b32_e32 v64, 0xffff, v3
	s_delay_alu instid0(VALU_DEP_4) | instskip(SKIP_4) | instid1(VALU_DEP_2)
	v_mul_u32_u24_e32 v84, 0x10001, v0
	ds_load_2addr_b64 v[0:3], v47 offset0:64 offset1:96
	v_mul_u32_u24_e32 v60, 0x10001, v60
	v_mul_u32_u24_e32 v61, 0x10001, v61
	s_wait_dscnt 0x0
	v_pk_fma_f16 v55, v1, v60, v55
	v_pk_fma_f16 v56, v2, v60, v56
	;; [unrolled: 1-line block ×4, first 2 shown]
	v_mul_u32_u24_e32 v60, 0x10001, v64
	v_pk_fma_f16 v53, v0, v84, v53
	v_pk_fma_f16 v54, v1, v84, v54
	;; [unrolled: 1-line block ×12, first 2 shown]
	ds_load_b128 v[0:3], v37 offset:33840
	s_wait_dscnt 0x0
	v_lshrrev_b32_e32 v8, 16, v1
	s_delay_alu instid0(VALU_DEP_1)
	v_mul_u32_u24_e32 v85, 0x10001, v8
	ds_load_2addr_b64 v[8:11], v47 offset0:128 offset1:160
	s_wait_dscnt 0x0
	v_pk_fma_f16 v53, v8, v85, v53
	v_pk_fma_f16 v54, v9, v85, v54
	;; [unrolled: 1-line block ×4, first 2 shown]
	v_and_b32_e32 v85, 0xffff, v0
	v_lshrrev_b32_e32 v0, 16, v0
	s_delay_alu instid0(VALU_DEP_2) | instskip(NEXT) | instid1(VALU_DEP_2)
	v_mul_u32_u24_e32 v85, 0x10001, v85
	v_mul_u32_u24_e32 v0, 0x10001, v0
	s_delay_alu instid0(VALU_DEP_2) | instskip(NEXT) | instid1(VALU_DEP_2)
	v_pk_fma_f16 v52, v9, v85, v52
	v_pk_fma_f16 v55, v9, v0, v55
	;; [unrolled: 1-line block ×5, first 2 shown]
	v_and_b32_e32 v0, 0xffff, v1
	v_pk_fma_f16 v62, v10, v85, v62
	v_pk_fma_f16 v63, v11, v85, v63
	;; [unrolled: 1-line block ×3, first 2 shown]
	s_delay_alu instid0(VALU_DEP_4) | instskip(NEXT) | instid1(VALU_DEP_1)
	v_mul_u32_u24_e32 v0, 0x10001, v0
	v_pk_fma_f16 v9, v9, v0, v61
	v_pk_fma_f16 v10, v10, v0, v64
	;; [unrolled: 1-line block ×4, first 2 shown]
	v_lshrrev_b32_e32 v0, 16, v3
	v_lshrrev_b32_e32 v60, 16, v2
	v_and_b32_e32 v61, 0xffff, v2
	v_and_b32_e32 v64, 0xffff, v3
	s_delay_alu instid0(VALU_DEP_4)
	v_mul_u32_u24_e32 v84, 0x10001, v0
	ds_load_2addr_b64 v[0:3], v47 offset0:192 offset1:224
	s_wait_dscnt 0x0
	v_pk_fma_f16 v86, v3, v84, v48
	v_mul_u32_u24_e32 v48, 0x10001, v61
	v_pk_fma_f16 v53, v0, v84, v53
	v_pk_fma_f16 v54, v1, v84, v54
	;; [unrolled: 1-line block ×3, first 2 shown]
	s_delay_alu instid0(VALU_DEP_4) | instskip(SKIP_4) | instid1(VALU_DEP_1)
	v_pk_fma_f16 v61, v1, v48, v52
	v_pk_fma_f16 v87, v2, v48, v62
	;; [unrolled: 1-line block ×4, first 2 shown]
	v_mul_u32_u24_e32 v48, 0x10001, v60
	v_pk_fma_f16 v89, v1, v48, v55
	v_pk_fma_f16 v90, v2, v48, v56
	;; [unrolled: 1-line block ×4, first 2 shown]
	v_mul_u32_u24_e32 v48, 0x10001, v64
	s_delay_alu instid0(VALU_DEP_1)
	v_pk_fma_f16 v50, v1, v48, v9
	v_pk_fma_f16 v51, v2, v48, v10
	;; [unrolled: 1-line block ×4, first 2 shown]
	ds_load_b128 v[0:3], v37 offset:33856
	v_add_nc_u32_e32 v48, 0x1000, v38
	s_wait_dscnt 0x0
	v_lshrrev_b32_e32 v8, 16, v1
	v_and_b32_e32 v1, 0xffff, v1
	s_delay_alu instid0(VALU_DEP_2)
	v_mul_u32_u24_e32 v55, 0x10001, v8
	ds_load_2addr_b64 v[8:11], v48 offset1:32
	v_mul_u32_u24_e32 v1, 0x10001, v1
	s_wait_dscnt 0x0
	v_pk_fma_f16 v62, v9, v55, v54
	v_and_b32_e32 v54, 0xffff, v0
	v_lshrrev_b32_e32 v0, 16, v0
	v_pk_fma_f16 v84, v8, v55, v53
	v_pk_fma_f16 v56, v10, v55, v85
	;; [unrolled: 1-line block ×3, first 2 shown]
	v_mul_u32_u24_e32 v60, 0x10001, v54
	v_mul_u32_u24_e32 v0, 0x10001, v0
	v_pk_fma_f16 v50, v9, v1, v50
	v_pk_fma_f16 v51, v10, v1, v51
	;; [unrolled: 1-line block ×12, first 2 shown]
	v_lshrrev_b32_e32 v8, 16, v3
	v_lshrrev_b32_e32 v49, 16, v2
	v_and_b32_e32 v2, 0xffff, v2
	v_and_b32_e32 v3, 0xffff, v3
	s_delay_alu instid0(VALU_DEP_4) | instskip(SKIP_3) | instid1(VALU_DEP_1)
	v_mul_u32_u24_e32 v85, 0x10001, v8
	ds_load_2addr_b64 v[8:11], v48 offset0:64 offset1:96
	v_mul_u32_u24_e32 v2, 0x10001, v2
	s_wait_dscnt 0x0
	v_pk_fma_f16 v54, v9, v2, v54
	v_pk_fma_f16 v55, v10, v2, v55
	;; [unrolled: 1-line block ×4, first 2 shown]
	v_mul_u32_u24_e32 v2, 0x10001, v49
	v_pk_fma_f16 v84, v8, v85, v84
	v_pk_fma_f16 v62, v9, v85, v62
	;; [unrolled: 1-line block ×8, first 2 shown]
	v_mul_u32_u24_e32 v0, 0x10001, v3
	s_delay_alu instid0(VALU_DEP_1)
	v_pk_fma_f16 v50, v9, v0, v50
	v_pk_fma_f16 v51, v10, v0, v51
	;; [unrolled: 1-line block ×4, first 2 shown]
	ds_load_b128 v[0:3], v37 offset:33872
	s_wait_dscnt 0x0
	v_lshrrev_b32_e32 v8, 16, v1
	s_delay_alu instid0(VALU_DEP_1)
	v_mul_u32_u24_e32 v86, 0x10001, v8
	ds_load_2addr_b64 v[8:11], v48 offset0:128 offset1:160
	s_wait_dscnt 0x0
	v_pk_fma_f16 v84, v8, v86, v84
	v_pk_fma_f16 v62, v9, v86, v62
	;; [unrolled: 1-line block ×4, first 2 shown]
	v_and_b32_e32 v86, 0xffff, v0
	v_lshrrev_b32_e32 v0, 16, v0
	s_delay_alu instid0(VALU_DEP_2) | instskip(NEXT) | instid1(VALU_DEP_2)
	v_mul_u32_u24_e32 v86, 0x10001, v86
	v_mul_u32_u24_e32 v0, 0x10001, v0
	s_delay_alu instid0(VALU_DEP_2) | instskip(NEXT) | instid1(VALU_DEP_2)
	v_pk_fma_f16 v54, v9, v86, v54
	v_pk_fma_f16 v49, v9, v0, v49
	;; [unrolled: 1-line block ×5, first 2 shown]
	v_and_b32_e32 v0, 0xffff, v1
	v_pk_fma_f16 v55, v10, v86, v55
	v_pk_fma_f16 v59, v11, v86, v59
	;; [unrolled: 1-line block ×3, first 2 shown]
	s_delay_alu instid0(VALU_DEP_4) | instskip(NEXT) | instid1(VALU_DEP_1)
	v_mul_u32_u24_e32 v0, 0x10001, v0
	v_pk_fma_f16 v9, v9, v0, v50
	v_pk_fma_f16 v10, v10, v0, v51
	;; [unrolled: 1-line block ×4, first 2 shown]
	v_lshrrev_b32_e32 v0, 16, v3
	v_lshrrev_b32_e32 v50, 16, v2
	v_and_b32_e32 v51, 0xffff, v2
	v_and_b32_e32 v52, 0xffff, v3
	s_delay_alu instid0(VALU_DEP_4)
	v_mul_u32_u24_e32 v85, 0x10001, v0
	ds_load_2addr_b64 v[0:3], v48 offset0:192 offset1:224
	v_mul_u32_u24_e32 v50, 0x10001, v50
	v_mul_u32_u24_e32 v51, 0x10001, v51
	s_wait_dscnt 0x0
	v_pk_fma_f16 v84, v0, v85, v84
	v_pk_fma_f16 v62, v1, v85, v62
	;; [unrolled: 1-line block ×5, first 2 shown]
	v_mul_u32_u24_e32 v49, 0x10001, v52
	v_pk_fma_f16 v54, v1, v51, v54
	v_pk_fma_f16 v55, v2, v51, v55
	;; [unrolled: 1-line block ×9, first 2 shown]
	ds_load_b128 v[8:11], v37 offset:33888
	v_pk_fma_f16 v60, v0, v51, v60
	v_pk_fma_f16 v64, v0, v50, v64
	s_wait_dscnt 0x0
	v_lshrrev_b32_e32 v0, 16, v9
	s_delay_alu instid0(VALU_DEP_1)
	v_mul_u32_u24_e32 v87, 0x10001, v0
	v_add_nc_u32_e32 v0, 0x1800, v38
	ds_load_2addr_b64 v[49:52], v0 offset1:32
	s_wait_dscnt 0x0
	v_pk_fma_f16 v84, v49, v87, v84
	v_pk_fma_f16 v62, v50, v87, v62
	;; [unrolled: 1-line block ×4, first 2 shown]
	v_and_b32_e32 v87, 0xffff, v8
	v_lshrrev_b32_e32 v8, 16, v8
	s_delay_alu instid0(VALU_DEP_2) | instskip(NEXT) | instid1(VALU_DEP_2)
	v_mul_u32_u24_e32 v87, 0x10001, v87
	v_mul_u32_u24_e32 v8, 0x10001, v8
	s_delay_alu instid0(VALU_DEP_2) | instskip(NEXT) | instid1(VALU_DEP_2)
	v_pk_fma_f16 v60, v49, v87, v60
	v_pk_fma_f16 v85, v50, v8, v85
	v_pk_fma_f16 v61, v51, v8, v61
	v_pk_fma_f16 v63, v52, v8, v63
	v_pk_fma_f16 v64, v49, v8, v64
	v_and_b32_e32 v8, 0xffff, v9
	v_pk_fma_f16 v54, v50, v87, v54
	v_pk_fma_f16 v55, v51, v87, v55
	v_pk_fma_f16 v59, v52, v87, v59
	s_delay_alu instid0(VALU_DEP_4) | instskip(NEXT) | instid1(VALU_DEP_1)
	v_mul_u32_u24_e32 v8, 0x10001, v8
	v_pk_fma_f16 v1, v50, v8, v1
	v_pk_fma_f16 v2, v51, v8, v2
	;; [unrolled: 1-line block ×4, first 2 shown]
	v_lshrrev_b32_e32 v8, 16, v11
	v_lshrrev_b32_e32 v50, 16, v10
	v_and_b32_e32 v51, 0xffff, v10
	v_and_b32_e32 v52, 0xffff, v11
	s_delay_alu instid0(VALU_DEP_4) | instskip(SKIP_4) | instid1(VALU_DEP_2)
	v_mul_u32_u24_e32 v86, 0x10001, v8
	ds_load_2addr_b64 v[8:11], v0 offset0:64 offset1:96
	v_mul_u32_u24_e32 v50, 0x10001, v50
	v_mul_u32_u24_e32 v51, 0x10001, v51
	s_wait_dscnt 0x0
	v_pk_fma_f16 v85, v9, v50, v85
	v_pk_fma_f16 v61, v10, v50, v61
	;; [unrolled: 1-line block ×4, first 2 shown]
	v_mul_u32_u24_e32 v50, 0x10001, v52
	v_pk_fma_f16 v84, v8, v86, v84
	v_pk_fma_f16 v62, v9, v86, v62
	;; [unrolled: 1-line block ×12, first 2 shown]
	ds_load_b128 v[8:11], v37 offset:33904
	s_wait_dscnt 0x0
	v_lshrrev_b32_e32 v49, 16, v9
	s_delay_alu instid0(VALU_DEP_1)
	v_mul_u32_u24_e32 v87, 0x10001, v49
	ds_load_2addr_b64 v[49:52], v0 offset0:128 offset1:160
	s_wait_dscnt 0x0
	v_pk_fma_f16 v84, v49, v87, v84
	v_pk_fma_f16 v62, v50, v87, v62
	;; [unrolled: 1-line block ×4, first 2 shown]
	v_and_b32_e32 v87, 0xffff, v8
	v_lshrrev_b32_e32 v8, 16, v8
	s_delay_alu instid0(VALU_DEP_2) | instskip(NEXT) | instid1(VALU_DEP_2)
	v_mul_u32_u24_e32 v87, 0x10001, v87
	v_mul_u32_u24_e32 v8, 0x10001, v8
	s_delay_alu instid0(VALU_DEP_2) | instskip(NEXT) | instid1(VALU_DEP_2)
	v_pk_fma_f16 v60, v49, v87, v60
	v_pk_fma_f16 v85, v50, v8, v85
	;; [unrolled: 1-line block ×5, first 2 shown]
	v_and_b32_e32 v8, 0xffff, v9
	v_pk_fma_f16 v54, v50, v87, v54
	v_pk_fma_f16 v55, v51, v87, v55
	;; [unrolled: 1-line block ×3, first 2 shown]
	s_delay_alu instid0(VALU_DEP_4) | instskip(NEXT) | instid1(VALU_DEP_1)
	v_mul_u32_u24_e32 v8, 0x10001, v8
	v_pk_fma_f16 v1, v50, v8, v1
	v_pk_fma_f16 v2, v51, v8, v2
	;; [unrolled: 1-line block ×4, first 2 shown]
	v_lshrrev_b32_e32 v8, 16, v11
	v_lshrrev_b32_e32 v50, 16, v10
	v_and_b32_e32 v51, 0xffff, v10
	v_and_b32_e32 v52, 0xffff, v11
	s_delay_alu instid0(VALU_DEP_4) | instskip(SKIP_4) | instid1(VALU_DEP_2)
	v_mul_u32_u24_e32 v86, 0x10001, v8
	ds_load_2addr_b64 v[8:11], v0 offset0:192 offset1:224
	v_mul_u32_u24_e32 v50, 0x10001, v50
	v_mul_u32_u24_e32 v51, 0x10001, v51
	s_wait_dscnt 0x0
	v_pk_fma_f16 v85, v9, v50, v85
	v_pk_fma_f16 v61, v10, v50, v61
	;; [unrolled: 1-line block ×4, first 2 shown]
	v_mul_u32_u24_e32 v50, 0x10001, v52
	v_pk_fma_f16 v84, v8, v86, v84
	v_pk_fma_f16 v62, v9, v86, v62
	;; [unrolled: 1-line block ×12, first 2 shown]
	ds_load_b128 v[8:11], v37 offset:33920
	s_wait_dscnt 0x0
	v_lshrrev_b32_e32 v1, 16, v9
	s_delay_alu instid0(VALU_DEP_1)
	v_mul_u32_u24_e32 v88, 0x10001, v1
	v_add_nc_u32_e32 v1, 0x2000, v38
	ds_load_2addr_b64 v[49:52], v1 offset1:32
	s_wait_dscnt 0x0
	v_pk_fma_f16 v84, v49, v88, v84
	v_pk_fma_f16 v62, v50, v88, v62
	;; [unrolled: 1-line block ×4, first 2 shown]
	v_and_b32_e32 v88, 0xffff, v8
	v_lshrrev_b32_e32 v8, 16, v8
	s_delay_alu instid0(VALU_DEP_2) | instskip(NEXT) | instid1(VALU_DEP_2)
	v_mul_u32_u24_e32 v88, 0x10001, v88
	v_mul_u32_u24_e32 v8, 0x10001, v8
	s_delay_alu instid0(VALU_DEP_2) | instskip(NEXT) | instid1(VALU_DEP_2)
	v_pk_fma_f16 v54, v50, v88, v54
	v_pk_fma_f16 v85, v50, v8, v85
	;; [unrolled: 1-line block ×5, first 2 shown]
	v_and_b32_e32 v8, 0xffff, v9
	v_pk_fma_f16 v60, v49, v88, v60
	v_pk_fma_f16 v55, v51, v88, v55
	;; [unrolled: 1-line block ×3, first 2 shown]
	s_delay_alu instid0(VALU_DEP_4) | instskip(NEXT) | instid1(VALU_DEP_1)
	v_mul_u32_u24_e32 v8, 0x10001, v8
	v_pk_fma_f16 v50, v50, v8, v86
	v_pk_fma_f16 v2, v51, v8, v2
	;; [unrolled: 1-line block ×4, first 2 shown]
	v_lshrrev_b32_e32 v8, 16, v11
	v_lshrrev_b32_e32 v51, 16, v10
	v_and_b32_e32 v52, 0xffff, v10
	v_and_b32_e32 v86, 0xffff, v11
	s_delay_alu instid0(VALU_DEP_4) | instskip(SKIP_4) | instid1(VALU_DEP_2)
	v_mul_u32_u24_e32 v87, 0x10001, v8
	ds_load_2addr_b64 v[8:11], v1 offset0:64 offset1:96
	v_mul_u32_u24_e32 v51, 0x10001, v51
	v_mul_u32_u24_e32 v52, 0x10001, v52
	s_wait_dscnt 0x0
	v_pk_fma_f16 v85, v9, v51, v85
	v_pk_fma_f16 v61, v10, v51, v61
	;; [unrolled: 1-line block ×4, first 2 shown]
	v_mul_u32_u24_e32 v51, 0x10001, v86
	v_pk_fma_f16 v84, v8, v87, v84
	v_pk_fma_f16 v62, v9, v87, v62
	;; [unrolled: 1-line block ×12, first 2 shown]
	ds_load_b128 v[8:11], v37 offset:33936
	s_wait_dscnt 0x0
	v_lshrrev_b32_e32 v49, 16, v9
	s_delay_alu instid0(VALU_DEP_1)
	v_mul_u32_u24_e32 v88, 0x10001, v49
	ds_load_2addr_b64 v[49:52], v1 offset0:128 offset1:160
	s_wait_dscnt 0x0
	v_pk_fma_f16 v84, v49, v88, v84
	v_pk_fma_f16 v62, v50, v88, v62
	v_pk_fma_f16 v56, v51, v88, v56
	v_pk_fma_f16 v53, v52, v88, v53
	v_and_b32_e32 v88, 0xffff, v8
	v_lshrrev_b32_e32 v8, 16, v8
	s_delay_alu instid0(VALU_DEP_2) | instskip(NEXT) | instid1(VALU_DEP_2)
	v_mul_u32_u24_e32 v88, 0x10001, v88
	v_mul_u32_u24_e32 v8, 0x10001, v8
	s_delay_alu instid0(VALU_DEP_2) | instskip(NEXT) | instid1(VALU_DEP_2)
	v_pk_fma_f16 v54, v50, v88, v54
	v_pk_fma_f16 v85, v50, v8, v85
	;; [unrolled: 1-line block ×5, first 2 shown]
	v_and_b32_e32 v8, 0xffff, v9
	v_pk_fma_f16 v60, v49, v88, v60
	v_pk_fma_f16 v55, v51, v88, v55
	;; [unrolled: 1-line block ×3, first 2 shown]
	s_delay_alu instid0(VALU_DEP_4) | instskip(NEXT) | instid1(VALU_DEP_1)
	v_mul_u32_u24_e32 v8, 0x10001, v8
	v_pk_fma_f16 v50, v50, v8, v86
	v_pk_fma_f16 v2, v51, v8, v2
	;; [unrolled: 1-line block ×4, first 2 shown]
	v_lshrrev_b32_e32 v8, 16, v11
	v_lshrrev_b32_e32 v51, 16, v10
	v_and_b32_e32 v52, 0xffff, v10
	v_and_b32_e32 v86, 0xffff, v11
	s_delay_alu instid0(VALU_DEP_4) | instskip(SKIP_4) | instid1(VALU_DEP_2)
	v_mul_u32_u24_e32 v87, 0x10001, v8
	ds_load_2addr_b64 v[8:11], v1 offset0:192 offset1:224
	v_mul_u32_u24_e32 v51, 0x10001, v51
	v_mul_u32_u24_e32 v52, 0x10001, v52
	s_wait_dscnt 0x0
	v_pk_fma_f16 v85, v9, v51, v85
	v_pk_fma_f16 v61, v10, v51, v61
	v_pk_fma_f16 v63, v11, v51, v63
	v_pk_fma_f16 v64, v8, v51, v64
	v_mul_u32_u24_e32 v51, 0x10001, v86
	v_pk_fma_f16 v84, v8, v87, v84
	v_pk_fma_f16 v62, v9, v87, v62
	;; [unrolled: 1-line block ×12, first 2 shown]
	ds_load_b128 v[8:11], v37 offset:33952
	s_wait_dscnt 0x0
	v_lshrrev_b32_e32 v2, 16, v9
	s_delay_alu instid0(VALU_DEP_1)
	v_mul_u32_u24_e32 v89, 0x10001, v2
	v_add_nc_u32_e32 v2, 0x2800, v38
	ds_load_2addr_b64 v[49:52], v2 offset1:32
	s_wait_dscnt 0x0
	v_pk_fma_f16 v84, v49, v89, v84
	v_pk_fma_f16 v62, v50, v89, v62
	;; [unrolled: 1-line block ×4, first 2 shown]
	v_and_b32_e32 v89, 0xffff, v8
	v_lshrrev_b32_e32 v8, 16, v8
	s_delay_alu instid0(VALU_DEP_2) | instskip(NEXT) | instid1(VALU_DEP_2)
	v_mul_u32_u24_e32 v89, 0x10001, v89
	v_mul_u32_u24_e32 v8, 0x10001, v8
	s_delay_alu instid0(VALU_DEP_2) | instskip(NEXT) | instid1(VALU_DEP_2)
	v_pk_fma_f16 v54, v50, v89, v54
	v_pk_fma_f16 v85, v50, v8, v85
	v_pk_fma_f16 v61, v51, v8, v61
	v_pk_fma_f16 v63, v52, v8, v63
	v_pk_fma_f16 v64, v49, v8, v64
	v_and_b32_e32 v8, 0xffff, v9
	v_pk_fma_f16 v55, v51, v89, v55
	v_pk_fma_f16 v60, v49, v89, v60
	;; [unrolled: 1-line block ×3, first 2 shown]
	s_delay_alu instid0(VALU_DEP_4) | instskip(NEXT) | instid1(VALU_DEP_1)
	v_mul_u32_u24_e32 v8, 0x10001, v8
	v_pk_fma_f16 v50, v50, v8, v86
	v_pk_fma_f16 v51, v51, v8, v87
	;; [unrolled: 1-line block ×4, first 2 shown]
	v_lshrrev_b32_e32 v8, 16, v11
	v_lshrrev_b32_e32 v52, 16, v10
	v_and_b32_e32 v86, 0xffff, v10
	v_and_b32_e32 v87, 0xffff, v11
	s_delay_alu instid0(VALU_DEP_4) | instskip(SKIP_4) | instid1(VALU_DEP_2)
	v_mul_u32_u24_e32 v88, 0x10001, v8
	ds_load_2addr_b64 v[8:11], v2 offset0:64 offset1:96
	v_mul_u32_u24_e32 v52, 0x10001, v52
	v_mul_u32_u24_e32 v86, 0x10001, v86
	s_wait_dscnt 0x0
	v_pk_fma_f16 v85, v9, v52, v85
	v_pk_fma_f16 v61, v10, v52, v61
	;; [unrolled: 1-line block ×4, first 2 shown]
	v_mul_u32_u24_e32 v52, 0x10001, v87
	v_pk_fma_f16 v84, v8, v88, v84
	v_pk_fma_f16 v62, v9, v88, v62
	;; [unrolled: 1-line block ×12, first 2 shown]
	ds_load_b128 v[8:11], v37 offset:33968
	s_wait_dscnt 0x0
	v_lshrrev_b32_e32 v49, 16, v9
	s_delay_alu instid0(VALU_DEP_1)
	v_mul_u32_u24_e32 v89, 0x10001, v49
	ds_load_2addr_b64 v[49:52], v2 offset0:128 offset1:160
	s_wait_dscnt 0x0
	v_pk_fma_f16 v84, v49, v89, v84
	v_pk_fma_f16 v62, v50, v89, v62
	v_pk_fma_f16 v56, v51, v89, v56
	v_pk_fma_f16 v53, v52, v89, v53
	v_and_b32_e32 v89, 0xffff, v8
	v_lshrrev_b32_e32 v8, 16, v8
	s_delay_alu instid0(VALU_DEP_2) | instskip(NEXT) | instid1(VALU_DEP_2)
	v_mul_u32_u24_e32 v89, 0x10001, v89
	v_mul_u32_u24_e32 v8, 0x10001, v8
	s_delay_alu instid0(VALU_DEP_2) | instskip(NEXT) | instid1(VALU_DEP_2)
	v_pk_fma_f16 v54, v50, v89, v54
	v_pk_fma_f16 v85, v50, v8, v85
	;; [unrolled: 1-line block ×5, first 2 shown]
	v_and_b32_e32 v8, 0xffff, v9
	v_pk_fma_f16 v55, v51, v89, v55
	v_pk_fma_f16 v60, v49, v89, v60
	;; [unrolled: 1-line block ×3, first 2 shown]
	s_delay_alu instid0(VALU_DEP_4) | instskip(NEXT) | instid1(VALU_DEP_1)
	v_mul_u32_u24_e32 v8, 0x10001, v8
	v_pk_fma_f16 v50, v50, v8, v86
	v_pk_fma_f16 v51, v51, v8, v87
	;; [unrolled: 1-line block ×4, first 2 shown]
	v_lshrrev_b32_e32 v8, 16, v11
	v_lshrrev_b32_e32 v52, 16, v10
	v_and_b32_e32 v86, 0xffff, v10
	v_and_b32_e32 v87, 0xffff, v11
	s_delay_alu instid0(VALU_DEP_4) | instskip(SKIP_4) | instid1(VALU_DEP_2)
	v_mul_u32_u24_e32 v88, 0x10001, v8
	ds_load_2addr_b64 v[8:11], v2 offset0:192 offset1:224
	v_mul_u32_u24_e32 v52, 0x10001, v52
	v_mul_u32_u24_e32 v86, 0x10001, v86
	s_wait_dscnt 0x0
	v_pk_fma_f16 v85, v9, v52, v85
	v_pk_fma_f16 v61, v10, v52, v61
	;; [unrolled: 1-line block ×4, first 2 shown]
	v_mul_u32_u24_e32 v52, 0x10001, v87
	v_pk_fma_f16 v84, v8, v88, v84
	v_pk_fma_f16 v62, v9, v88, v62
	;; [unrolled: 1-line block ×12, first 2 shown]
	ds_load_b128 v[8:11], v37 offset:33984
	s_wait_dscnt 0x0
	v_lshrrev_b32_e32 v3, 16, v9
	s_delay_alu instid0(VALU_DEP_1)
	v_mul_u32_u24_e32 v90, 0x10001, v3
	v_add_nc_u32_e32 v3, 0x3000, v38
	ds_load_2addr_b64 v[49:52], v3 offset1:32
	s_wait_dscnt 0x0
	v_pk_fma_f16 v84, v49, v90, v84
	v_pk_fma_f16 v62, v50, v90, v62
	;; [unrolled: 1-line block ×4, first 2 shown]
	v_and_b32_e32 v90, 0xffff, v8
	v_lshrrev_b32_e32 v8, 16, v8
	s_delay_alu instid0(VALU_DEP_2) | instskip(NEXT) | instid1(VALU_DEP_2)
	v_mul_u32_u24_e32 v90, 0x10001, v90
	v_mul_u32_u24_e32 v8, 0x10001, v8
	s_delay_alu instid0(VALU_DEP_2) | instskip(NEXT) | instid1(VALU_DEP_2)
	v_pk_fma_f16 v54, v50, v90, v54
	v_pk_fma_f16 v85, v50, v8, v85
	;; [unrolled: 1-line block ×5, first 2 shown]
	v_and_b32_e32 v8, 0xffff, v9
	v_pk_fma_f16 v55, v51, v90, v55
	v_pk_fma_f16 v59, v52, v90, v59
	;; [unrolled: 1-line block ×3, first 2 shown]
	s_delay_alu instid0(VALU_DEP_4) | instskip(NEXT) | instid1(VALU_DEP_1)
	v_mul_u32_u24_e32 v8, 0x10001, v8
	v_pk_fma_f16 v50, v50, v8, v86
	v_pk_fma_f16 v51, v51, v8, v87
	;; [unrolled: 1-line block ×4, first 2 shown]
	v_lshrrev_b32_e32 v8, 16, v11
	v_lshrrev_b32_e32 v86, 16, v10
	v_and_b32_e32 v87, 0xffff, v10
	v_and_b32_e32 v88, 0xffff, v11
	s_delay_alu instid0(VALU_DEP_4) | instskip(SKIP_4) | instid1(VALU_DEP_2)
	v_mul_u32_u24_e32 v89, 0x10001, v8
	ds_load_2addr_b64 v[8:11], v3 offset0:64 offset1:96
	v_mul_u32_u24_e32 v86, 0x10001, v86
	v_mul_u32_u24_e32 v87, 0x10001, v87
	s_wait_dscnt 0x0
	v_pk_fma_f16 v85, v9, v86, v85
	v_pk_fma_f16 v61, v10, v86, v61
	;; [unrolled: 1-line block ×4, first 2 shown]
	v_mul_u32_u24_e32 v86, 0x10001, v88
	v_pk_fma_f16 v84, v8, v89, v84
	v_pk_fma_f16 v62, v9, v89, v62
	v_pk_fma_f16 v56, v10, v89, v56
	v_pk_fma_f16 v53, v11, v89, v53
	v_pk_fma_f16 v54, v9, v87, v54
	v_pk_fma_f16 v55, v10, v87, v55
	v_pk_fma_f16 v59, v11, v87, v59
	v_pk_fma_f16 v60, v8, v87, v60
	v_pk_fma_f16 v87, v9, v86, v50
	v_pk_fma_f16 v88, v10, v86, v51
	v_pk_fma_f16 v89, v11, v86, v52
	v_pk_fma_f16 v86, v8, v86, v49
	ds_load_b128 v[8:11], v37 offset:34000
	s_wait_dscnt 0x0
	v_lshrrev_b32_e32 v49, 16, v9
	s_delay_alu instid0(VALU_DEP_1)
	v_mul_u32_u24_e32 v90, 0x10001, v49
	ds_load_2addr_b64 v[49:52], v3 offset0:128 offset1:160
	s_wait_dscnt 0x0
	v_pk_fma_f16 v84, v49, v90, v84
	v_pk_fma_f16 v62, v50, v90, v62
	;; [unrolled: 1-line block ×4, first 2 shown]
	v_and_b32_e32 v90, 0xffff, v8
	v_lshrrev_b32_e32 v8, 16, v8
	s_delay_alu instid0(VALU_DEP_2) | instskip(NEXT) | instid1(VALU_DEP_2)
	v_mul_u32_u24_e32 v90, 0x10001, v90
	v_mul_u32_u24_e32 v8, 0x10001, v8
	s_delay_alu instid0(VALU_DEP_2) | instskip(NEXT) | instid1(VALU_DEP_2)
	v_pk_fma_f16 v54, v50, v90, v54
	v_pk_fma_f16 v85, v50, v8, v85
	;; [unrolled: 1-line block ×5, first 2 shown]
	v_and_b32_e32 v8, 0xffff, v9
	v_pk_fma_f16 v55, v51, v90, v55
	v_pk_fma_f16 v59, v52, v90, v59
	;; [unrolled: 1-line block ×3, first 2 shown]
	s_delay_alu instid0(VALU_DEP_4) | instskip(NEXT) | instid1(VALU_DEP_1)
	v_mul_u32_u24_e32 v8, 0x10001, v8
	v_pk_fma_f16 v50, v50, v8, v87
	v_pk_fma_f16 v51, v51, v8, v88
	;; [unrolled: 1-line block ×4, first 2 shown]
	v_lshrrev_b32_e32 v8, 16, v11
	v_lshrrev_b32_e32 v86, 16, v10
	v_and_b32_e32 v87, 0xffff, v10
	v_and_b32_e32 v88, 0xffff, v11
	s_delay_alu instid0(VALU_DEP_4)
	v_mul_u32_u24_e32 v89, 0x10001, v8
	ds_load_2addr_b64 v[8:11], v3 offset0:192 offset1:224
	s_wait_dscnt 0x0
	v_pk_fma_f16 v84, v8, v89, v84
	v_pk_fma_f16 v62, v9, v89, v62
	;; [unrolled: 1-line block ×4, first 2 shown]
	v_mul_u32_u24_e32 v53, 0x10001, v87
	s_delay_alu instid0(VALU_DEP_1) | instskip(SKIP_4) | instid1(VALU_DEP_1)
	v_pk_fma_f16 v87, v9, v53, v54
	v_pk_fma_f16 v91, v10, v53, v55
	;; [unrolled: 1-line block ×4, first 2 shown]
	v_mul_u32_u24_e32 v53, 0x10001, v86
	v_pk_fma_f16 v85, v9, v53, v85
	v_pk_fma_f16 v61, v10, v53, v61
	;; [unrolled: 1-line block ×4, first 2 shown]
	v_mul_u32_u24_e32 v53, 0x10001, v88
	s_delay_alu instid0(VALU_DEP_1)
	v_pk_fma_f16 v9, v9, v53, v50
	v_pk_fma_f16 v10, v10, v53, v51
	;; [unrolled: 1-line block ×4, first 2 shown]
	ds_load_b128 v[49:52], v37 offset:34016
	s_wait_dscnt 0x0
	v_lshrrev_b32_e32 v8, 16, v50
	s_delay_alu instid0(VALU_DEP_1)
	v_mul_u32_u24_e32 v88, 0x10001, v8
	v_add_nc_u32_e32 v8, 0x3800, v38
	ds_load_2addr_b64 v[53:56], v8 offset1:32
	s_wait_dscnt 0x0
	v_pk_fma_f16 v84, v53, v88, v84
	v_pk_fma_f16 v62, v54, v88, v62
	;; [unrolled: 1-line block ×4, first 2 shown]
	v_and_b32_e32 v89, 0xffff, v49
	v_lshrrev_b32_e32 v49, 16, v49
	s_delay_alu instid0(VALU_DEP_2) | instskip(NEXT) | instid1(VALU_DEP_2)
	v_mul_u32_u24_e32 v89, 0x10001, v89
	v_mul_u32_u24_e32 v49, 0x10001, v49
	s_delay_alu instid0(VALU_DEP_2) | instskip(NEXT) | instid1(VALU_DEP_2)
	v_pk_fma_f16 v60, v53, v89, v60
	v_pk_fma_f16 v85, v54, v49, v85
	v_pk_fma_f16 v61, v55, v49, v61
	v_pk_fma_f16 v63, v56, v49, v63
	v_pk_fma_f16 v64, v53, v49, v64
	v_and_b32_e32 v49, 0xffff, v50
	v_pk_fma_f16 v87, v54, v89, v87
	v_pk_fma_f16 v91, v55, v89, v91
	;; [unrolled: 1-line block ×3, first 2 shown]
	s_delay_alu instid0(VALU_DEP_4) | instskip(NEXT) | instid1(VALU_DEP_1)
	v_mul_u32_u24_e32 v49, 0x10001, v49
	v_pk_fma_f16 v9, v54, v49, v9
	v_pk_fma_f16 v10, v55, v49, v10
	;; [unrolled: 1-line block ×4, first 2 shown]
	v_lshrrev_b32_e32 v49, 16, v52
	v_lshrrev_b32_e32 v54, 16, v51
	v_and_b32_e32 v55, 0xffff, v51
	v_and_b32_e32 v56, 0xffff, v52
	s_delay_alu instid0(VALU_DEP_4) | instskip(SKIP_4) | instid1(VALU_DEP_2)
	v_mul_u32_u24_e32 v86, 0x10001, v49
	ds_load_2addr_b64 v[49:52], v8 offset0:64 offset1:96
	v_mul_u32_u24_e32 v54, 0x10001, v54
	v_mul_u32_u24_e32 v55, 0x10001, v55
	s_wait_dscnt 0x0
	v_pk_fma_f16 v85, v50, v54, v85
	v_pk_fma_f16 v61, v51, v54, v61
	;; [unrolled: 1-line block ×4, first 2 shown]
	v_mul_u32_u24_e32 v54, 0x10001, v56
	v_pk_fma_f16 v84, v49, v86, v84
	v_pk_fma_f16 v62, v50, v86, v62
	;; [unrolled: 1-line block ×12, first 2 shown]
	ds_load_b128 v[49:52], v37 offset:34032
	s_wait_dscnt 0x0
	v_lshrrev_b32_e32 v53, 16, v50
	s_delay_alu instid0(VALU_DEP_1)
	v_mul_u32_u24_e32 v91, 0x10001, v53
	ds_load_2addr_b64 v[53:56], v8 offset0:128 offset1:160
	s_wait_dscnt 0x0
	v_pk_fma_f16 v84, v53, v91, v84
	v_pk_fma_f16 v62, v54, v91, v62
	;; [unrolled: 1-line block ×4, first 2 shown]
	v_and_b32_e32 v91, 0xffff, v49
	v_lshrrev_b32_e32 v49, 16, v49
	s_delay_alu instid0(VALU_DEP_2) | instskip(NEXT) | instid1(VALU_DEP_2)
	v_mul_u32_u24_e32 v91, 0x10001, v91
	v_mul_u32_u24_e32 v49, 0x10001, v49
	s_delay_alu instid0(VALU_DEP_2) | instskip(NEXT) | instid1(VALU_DEP_2)
	v_pk_fma_f16 v60, v53, v91, v60
	v_pk_fma_f16 v85, v54, v49, v85
	;; [unrolled: 1-line block ×5, first 2 shown]
	v_and_b32_e32 v49, 0xffff, v50
	v_pk_fma_f16 v87, v54, v91, v87
	v_pk_fma_f16 v88, v55, v91, v88
	;; [unrolled: 1-line block ×3, first 2 shown]
	s_delay_alu instid0(VALU_DEP_4) | instskip(NEXT) | instid1(VALU_DEP_1)
	v_mul_u32_u24_e32 v49, 0x10001, v49
	v_pk_fma_f16 v9, v54, v49, v9
	v_pk_fma_f16 v10, v55, v49, v10
	;; [unrolled: 1-line block ×4, first 2 shown]
	v_lshrrev_b32_e32 v49, 16, v52
	v_lshrrev_b32_e32 v54, 16, v51
	v_and_b32_e32 v55, 0xffff, v51
	v_and_b32_e32 v56, 0xffff, v52
	s_delay_alu instid0(VALU_DEP_4)
	v_mul_u32_u24_e32 v90, 0x10001, v49
	ds_load_2addr_b64 v[49:52], v8 offset0:192 offset1:224
	v_mul_u32_u24_e32 v55, 0x10001, v55
	v_mul_u32_u24_e32 v54, 0x10001, v54
	;; [unrolled: 1-line block ×3, first 2 shown]
	s_wait_loadcnt_dscnt 0x0
	s_barrier_signal -1
	s_barrier_wait -1
	global_inv scope:SCOPE_SE
	s_clause 0x1
	scratch_store_b32 off, v76, off
	scratch_store_b96 off, v[12:14], off offset:4
	v_pk_fma_f16 v87, v50, v55, v87
	v_pk_fma_f16 v88, v51, v55, v88
	v_pk_fma_f16 v59, v52, v55, v59
	v_pk_fma_f16 v55, v49, v55, v60
	v_pk_fma_f16 v60, v50, v54, v85
	v_pk_fma_f16 v61, v51, v54, v61
	v_pk_fma_f16 v63, v52, v54, v63
	v_pk_fma_f16 v54, v49, v54, v64
	v_pk_fma_f16 v64, v50, v56, v9
	s_wait_alu 0xfffe
	v_add_co_u32 v9, vcc_lo, s4, v15
	v_pk_fma_f16 v85, v51, v56, v10
	s_wait_alu 0xfffd
	v_add_co_ci_u32_e64 v10, null, s5, v16, vcc_lo
	s_delay_alu instid0(VALU_DEP_3) | instskip(SKIP_2) | instid1(VALU_DEP_3)
	v_add_co_u32 v9, s2, v9, v75
	v_cmp_gt_i32_e32 vcc_lo, s3, v39
	s_wait_alu 0xf1ff
	v_add_co_ci_u32_e64 v10, null, 0, v10, s2
	v_pk_fma_f16 v84, v49, v90, v84
	v_pk_fma_f16 v62, v50, v90, v62
	s_wait_alu 0xfffd
	v_cndmask_b32_e32 v9, 0, v9, vcc_lo
	v_cndmask_b32_e32 v10, s9, v10, vcc_lo
	v_pk_fma_f16 v89, v51, v90, v89
	v_pk_fma_f16 v86, v52, v90, v86
	;; [unrolled: 1-line block ×4, first 2 shown]
	flat_load_b128 v[49:52], v[9:10]
	v_add_co_u32 v9, vcc_lo, s4, v17
	s_wait_alu 0xfffd
	v_add_co_ci_u32_e64 v10, null, s5, v18, vcc_lo
	v_cmp_gt_i32_e32 vcc_lo, s3, v78
	s_delay_alu instid0(VALU_DEP_3) | instskip(SKIP_1) | instid1(VALU_DEP_3)
	v_add_co_u32 v9, s2, v9, v75
	s_wait_alu 0xf1ff
	v_add_co_ci_u32_e64 v10, null, 0, v10, s2
	s_wait_alu 0xfffd
	s_delay_alu instid0(VALU_DEP_2) | instskip(NEXT) | instid1(VALU_DEP_2)
	v_cndmask_b32_e32 v9, 0, v9, vcc_lo
	v_cndmask_b32_e32 v10, s9, v10, vcc_lo
	s_wait_loadcnt_dscnt 0x0
	ds_store_b128 v77, v[49:52]
	s_clause 0x1
	scratch_store_b32 off, v76, off
	scratch_store_b96 off, v[12:14], off offset:4
	flat_load_b128 v[15:18], v[9:10]
	v_add_co_u32 v9, vcc_lo, s4, v19
	s_wait_alu 0xfffd
	v_add_co_ci_u32_e64 v10, null, s5, v20, vcc_lo
	v_cmp_gt_i32_e32 vcc_lo, s3, v80
	s_delay_alu instid0(VALU_DEP_3) | instskip(SKIP_1) | instid1(VALU_DEP_3)
	v_add_co_u32 v9, s2, v9, v75
	s_wait_alu 0xf1ff
	v_add_co_ci_u32_e64 v10, null, 0, v10, s2
	s_wait_alu 0xfffd
	s_delay_alu instid0(VALU_DEP_2) | instskip(NEXT) | instid1(VALU_DEP_2)
	v_cndmask_b32_e32 v9, 0, v9, vcc_lo
	v_cndmask_b32_e32 v10, s9, v10, vcc_lo
	s_wait_loadcnt_dscnt 0x0
	ds_store_b128 v79, v[15:18]
	s_clause 0x1
	scratch_store_b32 off, v76, off
	scratch_store_b96 off, v[12:14], off offset:4
	flat_load_b128 v[15:18], v[9:10]
	v_add_co_u32 v9, vcc_lo, s4, v21
	s_wait_alu 0xfffd
	v_add_co_ci_u32_e64 v10, null, s5, v22, vcc_lo
	v_cmp_gt_i32_e32 vcc_lo, s3, v82
	s_delay_alu instid0(VALU_DEP_3) | instskip(SKIP_1) | instid1(VALU_DEP_3)
	v_add_co_u32 v9, s2, v9, v75
	s_wait_alu 0xf1ff
	v_add_co_ci_u32_e64 v10, null, 0, v10, s2
	s_clause 0x1
	scratch_store_b96 off, v[12:14], off offset:4
	scratch_store_b32 off, v76, off
	s_wait_alu 0xfffd
	v_cndmask_b32_e32 v9, 0, v9, vcc_lo
	v_cndmask_b32_e32 v10, s9, v10, vcc_lo
	s_wait_loadcnt_dscnt 0x0
	ds_store_b128 v81, v[15:18]
	flat_load_b128 v[9:12], v[9:10]
	s_wait_loadcnt_dscnt 0x0
	ds_store_b128 v83, v[9:12]
	s_wait_storecnt_dscnt 0x0
	s_barrier_signal -1
	s_barrier_wait -1
	global_inv scope:SCOPE_SE
	ds_load_b128 v[9:12], v37 offset:34048
	s_wait_dscnt 0x0
	v_and_b32_e32 v13, 0xffff, v9
	v_lshrrev_b32_e32 v9, 16, v9
	v_and_b32_e32 v56, 0xffff, v12
	s_delay_alu instid0(VALU_DEP_3) | instskip(SKIP_3) | instid1(VALU_DEP_1)
	v_mul_u32_u24_e32 v17, 0x10001, v13
	ds_load_2addr_b64 v[13:16], v38 offset1:32
	v_mul_u32_u24_e32 v9, 0x10001, v9
	s_wait_dscnt 0x0
	v_pk_fma_f16 v21, v13, v9, v54
	v_pk_fma_f16 v22, v14, v9, v60
	;; [unrolled: 1-line block ×4, first 2 shown]
	v_and_b32_e32 v9, 0xffff, v10
	v_pk_fma_f16 v18, v13, v17, v55
	v_pk_fma_f16 v19, v14, v17, v87
	;; [unrolled: 1-line block ×4, first 2 shown]
	v_mul_u32_u24_e32 v9, 0x10001, v9
	v_lshrrev_b32_e32 v54, 16, v11
	v_lshrrev_b32_e32 v55, 16, v12
	s_delay_alu instid0(VALU_DEP_3)
	v_pk_fma_f16 v50, v13, v9, v53
	v_pk_fma_f16 v51, v14, v9, v64
	;; [unrolled: 1-line block ×4, first 2 shown]
	v_lshrrev_b32_e32 v9, 16, v10
	v_mul_u32_u24_e32 v54, 0x10001, v54
	s_delay_alu instid0(VALU_DEP_2) | instskip(NEXT) | instid1(VALU_DEP_1)
	v_mul_u32_u24_e32 v9, 0x10001, v9
	v_pk_fma_f16 v13, v13, v9, v84
	v_pk_fma_f16 v14, v14, v9, v62
	;; [unrolled: 1-line block ×4, first 2 shown]
	v_and_b32_e32 v9, 0xffff, v11
	s_delay_alu instid0(VALU_DEP_1)
	v_mul_u32_u24_e32 v59, 0x10001, v9
	ds_load_2addr_b64 v[9:12], v38 offset0:64 offset1:96
	s_wait_dscnt 0x0
	v_pk_fma_f16 v21, v9, v54, v21
	v_pk_fma_f16 v22, v10, v54, v22
	;; [unrolled: 1-line block ×4, first 2 shown]
	v_mul_u32_u24_e32 v54, 0x10001, v56
	v_pk_fma_f16 v18, v9, v59, v18
	v_pk_fma_f16 v19, v10, v59, v19
	v_pk_fma_f16 v20, v11, v59, v20
	v_pk_fma_f16 v17, v12, v59, v17
	v_pk_fma_f16 v50, v9, v54, v50
	v_pk_fma_f16 v51, v10, v54, v51
	v_pk_fma_f16 v52, v11, v54, v52
	v_pk_fma_f16 v53, v12, v54, v53
	v_mul_u32_u24_e32 v54, 0x10001, v55
	s_delay_alu instid0(VALU_DEP_1)
	v_pk_fma_f16 v55, v9, v54, v13
	v_pk_fma_f16 v56, v10, v54, v14
	;; [unrolled: 1-line block ×4, first 2 shown]
	ds_load_b128 v[9:12], v37 offset:34064
	s_wait_dscnt 0x0
	v_and_b32_e32 v13, 0xffff, v9
	v_lshrrev_b32_e32 v9, 16, v9
	s_delay_alu instid0(VALU_DEP_2) | instskip(SKIP_3) | instid1(VALU_DEP_1)
	v_mul_u32_u24_e32 v60, 0x10001, v13
	ds_load_2addr_b64 v[13:16], v38 offset0:128 offset1:160
	v_mul_u32_u24_e32 v9, 0x10001, v9
	s_wait_dscnt 0x0
	v_pk_fma_f16 v21, v13, v9, v21
	v_pk_fma_f16 v22, v14, v9, v22
	;; [unrolled: 1-line block ×4, first 2 shown]
	v_and_b32_e32 v9, 0xffff, v10
	v_pk_fma_f16 v18, v13, v60, v18
	v_pk_fma_f16 v19, v14, v60, v19
	;; [unrolled: 1-line block ×4, first 2 shown]
	v_mul_u32_u24_e32 v9, 0x10001, v9
	s_delay_alu instid0(VALU_DEP_1) | instskip(SKIP_4) | instid1(VALU_DEP_1)
	v_pk_fma_f16 v50, v13, v9, v50
	v_pk_fma_f16 v51, v14, v9, v51
	;; [unrolled: 1-line block ×4, first 2 shown]
	v_lshrrev_b32_e32 v9, 16, v10
	v_mul_u32_u24_e32 v9, 0x10001, v9
	s_delay_alu instid0(VALU_DEP_1)
	v_pk_fma_f16 v13, v13, v9, v55
	v_pk_fma_f16 v14, v14, v9, v56
	;; [unrolled: 1-line block ×4, first 2 shown]
	v_and_b32_e32 v9, 0xffff, v11
	v_lshrrev_b32_e32 v54, 16, v11
	v_lshrrev_b32_e32 v55, 16, v12
	v_and_b32_e32 v56, 0xffff, v12
	s_delay_alu instid0(VALU_DEP_4) | instskip(SKIP_3) | instid1(VALU_DEP_1)
	v_mul_u32_u24_e32 v59, 0x10001, v9
	ds_load_2addr_b64 v[9:12], v38 offset0:192 offset1:224
	v_mul_u32_u24_e32 v38, 0x10001, v54
	s_wait_dscnt 0x0
	v_pk_fma_f16 v21, v9, v38, v21
	v_pk_fma_f16 v22, v10, v38, v22
	;; [unrolled: 1-line block ×4, first 2 shown]
	v_mul_u32_u24_e32 v49, 0x10001, v56
	v_pk_fma_f16 v18, v9, v59, v18
	v_pk_fma_f16 v19, v10, v59, v19
	;; [unrolled: 1-line block ×8, first 2 shown]
	v_mul_u32_u24_e32 v53, 0x10001, v55
	s_delay_alu instid0(VALU_DEP_1)
	v_pk_fma_f16 v54, v9, v53, v13
	v_pk_fma_f16 v55, v10, v53, v14
	;; [unrolled: 1-line block ×4, first 2 shown]
	ds_load_b128 v[9:12], v37 offset:34080
	s_wait_dscnt 0x0
	v_and_b32_e32 v13, 0xffff, v9
	v_lshrrev_b32_e32 v9, 16, v9
	s_delay_alu instid0(VALU_DEP_2) | instskip(SKIP_3) | instid1(VALU_DEP_1)
	v_mul_u32_u24_e32 v59, 0x10001, v13
	ds_load_2addr_b64 v[13:16], v47 offset1:32
	v_mul_u32_u24_e32 v9, 0x10001, v9
	s_wait_dscnt 0x0
	v_pk_fma_f16 v21, v13, v9, v21
	v_pk_fma_f16 v22, v14, v9, v22
	;; [unrolled: 1-line block ×4, first 2 shown]
	v_and_b32_e32 v9, 0xffff, v10
	v_pk_fma_f16 v18, v13, v59, v18
	v_pk_fma_f16 v19, v14, v59, v19
	;; [unrolled: 1-line block ×4, first 2 shown]
	v_mul_u32_u24_e32 v9, 0x10001, v9
	s_delay_alu instid0(VALU_DEP_1) | instskip(SKIP_4) | instid1(VALU_DEP_1)
	v_pk_fma_f16 v50, v13, v9, v50
	v_pk_fma_f16 v51, v14, v9, v51
	;; [unrolled: 1-line block ×4, first 2 shown]
	v_lshrrev_b32_e32 v9, 16, v10
	v_mul_u32_u24_e32 v9, 0x10001, v9
	s_delay_alu instid0(VALU_DEP_1)
	v_pk_fma_f16 v13, v13, v9, v54
	v_pk_fma_f16 v14, v14, v9, v55
	;; [unrolled: 1-line block ×4, first 2 shown]
	v_and_b32_e32 v9, 0xffff, v11
	v_lshrrev_b32_e32 v53, 16, v11
	v_lshrrev_b32_e32 v54, 16, v12
	v_and_b32_e32 v55, 0xffff, v12
	s_delay_alu instid0(VALU_DEP_4) | instskip(SKIP_3) | instid1(VALU_DEP_1)
	v_mul_u32_u24_e32 v56, 0x10001, v9
	ds_load_2addr_b64 v[9:12], v47 offset0:64 offset1:96
	v_mul_u32_u24_e32 v53, 0x10001, v53
	s_wait_dscnt 0x0
	v_pk_fma_f16 v21, v9, v53, v21
	v_pk_fma_f16 v22, v10, v53, v22
	;; [unrolled: 1-line block ×4, first 2 shown]
	v_mul_u32_u24_e32 v53, 0x10001, v55
	v_pk_fma_f16 v18, v9, v56, v18
	v_pk_fma_f16 v19, v10, v56, v19
	;; [unrolled: 1-line block ×8, first 2 shown]
	v_mul_u32_u24_e32 v53, 0x10001, v54
	s_delay_alu instid0(VALU_DEP_1)
	v_pk_fma_f16 v54, v9, v53, v13
	v_pk_fma_f16 v55, v10, v53, v14
	;; [unrolled: 1-line block ×4, first 2 shown]
	ds_load_b128 v[9:12], v37 offset:34096
	s_wait_dscnt 0x0
	v_and_b32_e32 v13, 0xffff, v9
	v_lshrrev_b32_e32 v9, 16, v9
	s_delay_alu instid0(VALU_DEP_2) | instskip(SKIP_3) | instid1(VALU_DEP_1)
	v_mul_u32_u24_e32 v59, 0x10001, v13
	ds_load_2addr_b64 v[13:16], v47 offset0:128 offset1:160
	v_mul_u32_u24_e32 v9, 0x10001, v9
	s_wait_dscnt 0x0
	v_pk_fma_f16 v21, v13, v9, v21
	v_pk_fma_f16 v22, v14, v9, v22
	;; [unrolled: 1-line block ×4, first 2 shown]
	v_and_b32_e32 v9, 0xffff, v10
	v_pk_fma_f16 v18, v13, v59, v18
	v_pk_fma_f16 v19, v14, v59, v19
	;; [unrolled: 1-line block ×4, first 2 shown]
	v_mul_u32_u24_e32 v9, 0x10001, v9
	s_delay_alu instid0(VALU_DEP_1) | instskip(SKIP_4) | instid1(VALU_DEP_1)
	v_pk_fma_f16 v50, v13, v9, v50
	v_pk_fma_f16 v51, v14, v9, v51
	;; [unrolled: 1-line block ×4, first 2 shown]
	v_lshrrev_b32_e32 v9, 16, v10
	v_mul_u32_u24_e32 v9, 0x10001, v9
	s_delay_alu instid0(VALU_DEP_1)
	v_pk_fma_f16 v13, v13, v9, v54
	v_pk_fma_f16 v14, v14, v9, v55
	;; [unrolled: 1-line block ×4, first 2 shown]
	v_and_b32_e32 v9, 0xffff, v11
	v_lshrrev_b32_e32 v53, 16, v11
	v_lshrrev_b32_e32 v54, 16, v12
	v_and_b32_e32 v55, 0xffff, v12
	s_delay_alu instid0(VALU_DEP_4) | instskip(SKIP_3) | instid1(VALU_DEP_1)
	v_mul_u32_u24_e32 v56, 0x10001, v9
	ds_load_2addr_b64 v[9:12], v47 offset0:192 offset1:224
	v_mul_u32_u24_e32 v47, 0x10001, v53
	s_wait_dscnt 0x0
	v_pk_fma_f16 v21, v9, v47, v21
	v_pk_fma_f16 v22, v10, v47, v22
	;; [unrolled: 1-line block ×4, first 2 shown]
	v_mul_u32_u24_e32 v47, 0x10001, v55
	v_pk_fma_f16 v18, v9, v56, v18
	v_pk_fma_f16 v19, v10, v56, v19
	;; [unrolled: 1-line block ×8, first 2 shown]
	v_mul_u32_u24_e32 v49, 0x10001, v54
	s_delay_alu instid0(VALU_DEP_1)
	v_pk_fma_f16 v53, v9, v49, v13
	v_pk_fma_f16 v54, v10, v49, v14
	;; [unrolled: 1-line block ×4, first 2 shown]
	ds_load_b128 v[9:12], v37 offset:34112
	s_wait_dscnt 0x0
	v_and_b32_e32 v13, 0xffff, v9
	v_lshrrev_b32_e32 v9, 16, v9
	s_delay_alu instid0(VALU_DEP_2) | instskip(SKIP_3) | instid1(VALU_DEP_1)
	v_mul_u32_u24_e32 v56, 0x10001, v13
	ds_load_2addr_b64 v[13:16], v48 offset1:32
	v_mul_u32_u24_e32 v9, 0x10001, v9
	s_wait_dscnt 0x0
	v_pk_fma_f16 v21, v13, v9, v21
	v_pk_fma_f16 v22, v14, v9, v22
	;; [unrolled: 1-line block ×4, first 2 shown]
	v_and_b32_e32 v9, 0xffff, v10
	v_pk_fma_f16 v18, v13, v56, v18
	v_pk_fma_f16 v19, v14, v56, v19
	;; [unrolled: 1-line block ×4, first 2 shown]
	v_mul_u32_u24_e32 v9, 0x10001, v9
	s_delay_alu instid0(VALU_DEP_1) | instskip(SKIP_4) | instid1(VALU_DEP_1)
	v_pk_fma_f16 v50, v13, v9, v50
	v_pk_fma_f16 v51, v14, v9, v51
	;; [unrolled: 1-line block ×4, first 2 shown]
	v_lshrrev_b32_e32 v9, 16, v10
	v_mul_u32_u24_e32 v9, 0x10001, v9
	s_delay_alu instid0(VALU_DEP_1)
	v_pk_fma_f16 v13, v13, v9, v53
	v_pk_fma_f16 v14, v14, v9, v54
	;; [unrolled: 1-line block ×4, first 2 shown]
	v_and_b32_e32 v9, 0xffff, v11
	v_lshrrev_b32_e32 v49, 16, v11
	v_lshrrev_b32_e32 v53, 16, v12
	v_and_b32_e32 v54, 0xffff, v12
	s_delay_alu instid0(VALU_DEP_4) | instskip(SKIP_3) | instid1(VALU_DEP_1)
	v_mul_u32_u24_e32 v55, 0x10001, v9
	ds_load_2addr_b64 v[9:12], v48 offset0:64 offset1:96
	v_mul_u32_u24_e32 v49, 0x10001, v49
	s_wait_dscnt 0x0
	v_pk_fma_f16 v21, v9, v49, v21
	v_pk_fma_f16 v22, v10, v49, v22
	;; [unrolled: 1-line block ×4, first 2 shown]
	v_mul_u32_u24_e32 v49, 0x10001, v54
	v_pk_fma_f16 v18, v9, v55, v18
	v_pk_fma_f16 v19, v10, v55, v19
	v_pk_fma_f16 v20, v11, v55, v20
	v_pk_fma_f16 v17, v12, v55, v17
	v_pk_fma_f16 v50, v9, v49, v50
	v_pk_fma_f16 v51, v10, v49, v51
	v_pk_fma_f16 v52, v11, v49, v52
	v_pk_fma_f16 v47, v12, v49, v47
	v_mul_u32_u24_e32 v49, 0x10001, v53
	s_delay_alu instid0(VALU_DEP_1)
	v_pk_fma_f16 v53, v9, v49, v13
	v_pk_fma_f16 v54, v10, v49, v14
	;; [unrolled: 1-line block ×4, first 2 shown]
	ds_load_b128 v[9:12], v37 offset:34128
	s_wait_dscnt 0x0
	v_and_b32_e32 v13, 0xffff, v9
	v_lshrrev_b32_e32 v9, 16, v9
	s_delay_alu instid0(VALU_DEP_2) | instskip(SKIP_3) | instid1(VALU_DEP_1)
	v_mul_u32_u24_e32 v56, 0x10001, v13
	ds_load_2addr_b64 v[13:16], v48 offset0:128 offset1:160
	v_mul_u32_u24_e32 v9, 0x10001, v9
	s_wait_dscnt 0x0
	v_pk_fma_f16 v21, v13, v9, v21
	v_pk_fma_f16 v22, v14, v9, v22
	;; [unrolled: 1-line block ×4, first 2 shown]
	v_and_b32_e32 v9, 0xffff, v10
	v_pk_fma_f16 v18, v13, v56, v18
	v_pk_fma_f16 v19, v14, v56, v19
	;; [unrolled: 1-line block ×4, first 2 shown]
	v_mul_u32_u24_e32 v9, 0x10001, v9
	s_delay_alu instid0(VALU_DEP_1) | instskip(SKIP_4) | instid1(VALU_DEP_1)
	v_pk_fma_f16 v50, v13, v9, v50
	v_pk_fma_f16 v51, v14, v9, v51
	;; [unrolled: 1-line block ×4, first 2 shown]
	v_lshrrev_b32_e32 v9, 16, v10
	v_mul_u32_u24_e32 v9, 0x10001, v9
	s_delay_alu instid0(VALU_DEP_1)
	v_pk_fma_f16 v13, v13, v9, v53
	v_pk_fma_f16 v14, v14, v9, v54
	;; [unrolled: 1-line block ×4, first 2 shown]
	v_and_b32_e32 v9, 0xffff, v11
	v_lshrrev_b32_e32 v49, 16, v11
	v_lshrrev_b32_e32 v53, 16, v12
	v_and_b32_e32 v54, 0xffff, v12
	s_delay_alu instid0(VALU_DEP_4) | instskip(SKIP_3) | instid1(VALU_DEP_1)
	v_mul_u32_u24_e32 v55, 0x10001, v9
	ds_load_2addr_b64 v[9:12], v48 offset0:192 offset1:224
	v_mul_u32_u24_e32 v48, 0x10001, v49
	s_wait_dscnt 0x0
	v_pk_fma_f16 v21, v9, v48, v21
	v_pk_fma_f16 v22, v10, v48, v22
	;; [unrolled: 1-line block ×4, first 2 shown]
	v_mul_u32_u24_e32 v48, 0x10001, v54
	v_pk_fma_f16 v18, v9, v55, v18
	v_pk_fma_f16 v19, v10, v55, v19
	;; [unrolled: 1-line block ×8, first 2 shown]
	v_mul_u32_u24_e32 v48, 0x10001, v53
	s_delay_alu instid0(VALU_DEP_1)
	v_pk_fma_f16 v52, v9, v48, v13
	v_pk_fma_f16 v53, v10, v48, v14
	;; [unrolled: 1-line block ×4, first 2 shown]
	ds_load_b128 v[9:12], v37 offset:34144
	s_wait_dscnt 0x0
	v_and_b32_e32 v13, 0xffff, v9
	v_lshrrev_b32_e32 v9, 16, v9
	s_delay_alu instid0(VALU_DEP_2) | instskip(SKIP_3) | instid1(VALU_DEP_1)
	v_mul_u32_u24_e32 v55, 0x10001, v13
	ds_load_2addr_b64 v[13:16], v0 offset1:32
	v_mul_u32_u24_e32 v9, 0x10001, v9
	s_wait_dscnt 0x0
	v_pk_fma_f16 v21, v13, v9, v21
	v_pk_fma_f16 v22, v14, v9, v22
	;; [unrolled: 1-line block ×4, first 2 shown]
	v_and_b32_e32 v9, 0xffff, v10
	v_pk_fma_f16 v18, v13, v55, v18
	v_pk_fma_f16 v19, v14, v55, v19
	;; [unrolled: 1-line block ×4, first 2 shown]
	v_mul_u32_u24_e32 v9, 0x10001, v9
	s_delay_alu instid0(VALU_DEP_1) | instskip(SKIP_4) | instid1(VALU_DEP_1)
	v_pk_fma_f16 v49, v13, v9, v49
	v_pk_fma_f16 v50, v14, v9, v50
	;; [unrolled: 1-line block ×4, first 2 shown]
	v_lshrrev_b32_e32 v9, 16, v10
	v_mul_u32_u24_e32 v9, 0x10001, v9
	s_delay_alu instid0(VALU_DEP_1)
	v_pk_fma_f16 v13, v13, v9, v52
	v_pk_fma_f16 v14, v14, v9, v53
	;; [unrolled: 1-line block ×4, first 2 shown]
	v_and_b32_e32 v9, 0xffff, v11
	v_lshrrev_b32_e32 v48, 16, v11
	v_lshrrev_b32_e32 v52, 16, v12
	v_and_b32_e32 v53, 0xffff, v12
	s_delay_alu instid0(VALU_DEP_4) | instskip(SKIP_3) | instid1(VALU_DEP_1)
	v_mul_u32_u24_e32 v54, 0x10001, v9
	ds_load_2addr_b64 v[9:12], v0 offset0:64 offset1:96
	v_mul_u32_u24_e32 v48, 0x10001, v48
	s_wait_dscnt 0x0
	v_pk_fma_f16 v21, v9, v48, v21
	v_pk_fma_f16 v22, v10, v48, v22
	;; [unrolled: 1-line block ×4, first 2 shown]
	v_mul_u32_u24_e32 v48, 0x10001, v53
	v_pk_fma_f16 v18, v9, v54, v18
	v_pk_fma_f16 v19, v10, v54, v19
	;; [unrolled: 1-line block ×8, first 2 shown]
	v_mul_u32_u24_e32 v48, 0x10001, v52
	s_delay_alu instid0(VALU_DEP_1)
	v_pk_fma_f16 v52, v9, v48, v13
	v_pk_fma_f16 v53, v10, v48, v14
	;; [unrolled: 1-line block ×4, first 2 shown]
	ds_load_b128 v[9:12], v37 offset:34160
	s_wait_dscnt 0x0
	v_and_b32_e32 v13, 0xffff, v9
	v_lshrrev_b32_e32 v9, 16, v9
	s_delay_alu instid0(VALU_DEP_2) | instskip(SKIP_3) | instid1(VALU_DEP_1)
	v_mul_u32_u24_e32 v55, 0x10001, v13
	ds_load_2addr_b64 v[13:16], v0 offset0:128 offset1:160
	v_mul_u32_u24_e32 v9, 0x10001, v9
	s_wait_dscnt 0x0
	v_pk_fma_f16 v21, v13, v9, v21
	v_pk_fma_f16 v22, v14, v9, v22
	;; [unrolled: 1-line block ×4, first 2 shown]
	v_and_b32_e32 v9, 0xffff, v10
	v_pk_fma_f16 v18, v13, v55, v18
	v_pk_fma_f16 v19, v14, v55, v19
	;; [unrolled: 1-line block ×4, first 2 shown]
	v_mul_u32_u24_e32 v9, 0x10001, v9
	s_delay_alu instid0(VALU_DEP_1) | instskip(SKIP_4) | instid1(VALU_DEP_1)
	v_pk_fma_f16 v49, v13, v9, v49
	v_pk_fma_f16 v50, v14, v9, v50
	;; [unrolled: 1-line block ×4, first 2 shown]
	v_lshrrev_b32_e32 v9, 16, v10
	v_mul_u32_u24_e32 v9, 0x10001, v9
	s_delay_alu instid0(VALU_DEP_1)
	v_pk_fma_f16 v13, v13, v9, v52
	v_pk_fma_f16 v14, v14, v9, v53
	;; [unrolled: 1-line block ×4, first 2 shown]
	v_and_b32_e32 v9, 0xffff, v11
	v_lshrrev_b32_e32 v48, 16, v11
	v_lshrrev_b32_e32 v52, 16, v12
	v_and_b32_e32 v53, 0xffff, v12
	s_delay_alu instid0(VALU_DEP_4)
	v_mul_u32_u24_e32 v54, 0x10001, v9
	ds_load_2addr_b64 v[9:12], v0 offset0:192 offset1:224
	s_wait_dscnt 0x0
	v_pk_fma_f16 v0, v9, v54, v18
	v_pk_fma_f16 v18, v10, v54, v19
	v_pk_fma_f16 v19, v11, v54, v20
	v_mul_u32_u24_e32 v20, 0x10001, v48
	v_pk_fma_f16 v17, v12, v54, v17
	s_delay_alu instid0(VALU_DEP_2) | instskip(SKIP_4) | instid1(VALU_DEP_1)
	v_pk_fma_f16 v21, v9, v20, v21
	v_pk_fma_f16 v22, v10, v20, v22
	;; [unrolled: 1-line block ×4, first 2 shown]
	v_mul_u32_u24_e32 v38, 0x10001, v53
	v_pk_fma_f16 v48, v9, v38, v49
	v_pk_fma_f16 v49, v10, v38, v50
	;; [unrolled: 1-line block ×4, first 2 shown]
	v_mul_u32_u24_e32 v47, 0x10001, v52
	s_delay_alu instid0(VALU_DEP_1)
	v_pk_fma_f16 v51, v9, v47, v13
	v_pk_fma_f16 v52, v10, v47, v14
	;; [unrolled: 1-line block ×4, first 2 shown]
	ds_load_b128 v[9:12], v37 offset:34176
	s_wait_dscnt 0x0
	v_and_b32_e32 v13, 0xffff, v9
	v_lshrrev_b32_e32 v9, 16, v9
	s_delay_alu instid0(VALU_DEP_2) | instskip(SKIP_3) | instid1(VALU_DEP_1)
	v_mul_u32_u24_e32 v54, 0x10001, v13
	ds_load_2addr_b64 v[13:16], v1 offset1:32
	v_mul_u32_u24_e32 v9, 0x10001, v9
	s_wait_dscnt 0x0
	v_pk_fma_f16 v21, v13, v9, v21
	v_pk_fma_f16 v22, v14, v9, v22
	;; [unrolled: 1-line block ×4, first 2 shown]
	v_and_b32_e32 v9, 0xffff, v10
	v_pk_fma_f16 v0, v13, v54, v0
	v_pk_fma_f16 v18, v14, v54, v18
	;; [unrolled: 1-line block ×4, first 2 shown]
	v_mul_u32_u24_e32 v9, 0x10001, v9
	s_delay_alu instid0(VALU_DEP_1) | instskip(SKIP_4) | instid1(VALU_DEP_1)
	v_pk_fma_f16 v48, v13, v9, v48
	v_pk_fma_f16 v49, v14, v9, v49
	v_pk_fma_f16 v50, v15, v9, v50
	v_pk_fma_f16 v38, v16, v9, v38
	v_lshrrev_b32_e32 v9, 16, v10
	v_mul_u32_u24_e32 v9, 0x10001, v9
	s_delay_alu instid0(VALU_DEP_1)
	v_pk_fma_f16 v13, v13, v9, v51
	v_pk_fma_f16 v14, v14, v9, v52
	;; [unrolled: 1-line block ×4, first 2 shown]
	v_and_b32_e32 v9, 0xffff, v11
	v_lshrrev_b32_e32 v47, 16, v11
	v_lshrrev_b32_e32 v51, 16, v12
	v_and_b32_e32 v52, 0xffff, v12
	s_delay_alu instid0(VALU_DEP_4) | instskip(SKIP_3) | instid1(VALU_DEP_1)
	v_mul_u32_u24_e32 v53, 0x10001, v9
	ds_load_2addr_b64 v[9:12], v1 offset0:64 offset1:96
	v_mul_u32_u24_e32 v47, 0x10001, v47
	s_wait_dscnt 0x0
	v_pk_fma_f16 v21, v9, v47, v21
	v_pk_fma_f16 v22, v10, v47, v22
	;; [unrolled: 1-line block ×4, first 2 shown]
	v_mul_u32_u24_e32 v47, 0x10001, v52
	v_pk_fma_f16 v0, v9, v53, v0
	v_pk_fma_f16 v18, v10, v53, v18
	v_pk_fma_f16 v19, v11, v53, v19
	v_pk_fma_f16 v17, v12, v53, v17
	v_pk_fma_f16 v48, v9, v47, v48
	v_pk_fma_f16 v49, v10, v47, v49
	v_pk_fma_f16 v50, v11, v47, v50
	v_pk_fma_f16 v38, v12, v47, v38
	v_mul_u32_u24_e32 v47, 0x10001, v51
	s_delay_alu instid0(VALU_DEP_1)
	v_pk_fma_f16 v51, v9, v47, v13
	v_pk_fma_f16 v52, v10, v47, v14
	;; [unrolled: 1-line block ×4, first 2 shown]
	ds_load_b128 v[9:12], v37 offset:34192
	s_wait_dscnt 0x0
	v_and_b32_e32 v13, 0xffff, v9
	v_lshrrev_b32_e32 v9, 16, v9
	s_delay_alu instid0(VALU_DEP_2) | instskip(SKIP_3) | instid1(VALU_DEP_1)
	v_mul_u32_u24_e32 v54, 0x10001, v13
	ds_load_2addr_b64 v[13:16], v1 offset0:128 offset1:160
	v_mul_u32_u24_e32 v9, 0x10001, v9
	s_wait_dscnt 0x0
	v_pk_fma_f16 v21, v13, v9, v21
	v_pk_fma_f16 v22, v14, v9, v22
	;; [unrolled: 1-line block ×4, first 2 shown]
	v_and_b32_e32 v9, 0xffff, v10
	v_pk_fma_f16 v0, v13, v54, v0
	v_pk_fma_f16 v18, v14, v54, v18
	;; [unrolled: 1-line block ×4, first 2 shown]
	v_mul_u32_u24_e32 v9, 0x10001, v9
	s_delay_alu instid0(VALU_DEP_1) | instskip(SKIP_4) | instid1(VALU_DEP_1)
	v_pk_fma_f16 v48, v13, v9, v48
	v_pk_fma_f16 v49, v14, v9, v49
	;; [unrolled: 1-line block ×4, first 2 shown]
	v_lshrrev_b32_e32 v9, 16, v10
	v_mul_u32_u24_e32 v9, 0x10001, v9
	s_delay_alu instid0(VALU_DEP_1)
	v_pk_fma_f16 v13, v13, v9, v51
	v_pk_fma_f16 v14, v14, v9, v52
	;; [unrolled: 1-line block ×4, first 2 shown]
	v_and_b32_e32 v9, 0xffff, v11
	v_lshrrev_b32_e32 v47, 16, v11
	v_lshrrev_b32_e32 v51, 16, v12
	v_and_b32_e32 v52, 0xffff, v12
	s_delay_alu instid0(VALU_DEP_4)
	v_mul_u32_u24_e32 v53, 0x10001, v9
	ds_load_2addr_b64 v[9:12], v1 offset0:192 offset1:224
	s_wait_dscnt 0x0
	v_pk_fma_f16 v1, v10, v53, v18
	v_pk_fma_f16 v18, v11, v53, v19
	v_mul_u32_u24_e32 v19, 0x10001, v47
	v_pk_fma_f16 v0, v9, v53, v0
	v_pk_fma_f16 v17, v12, v53, v17
	s_delay_alu instid0(VALU_DEP_3) | instskip(SKIP_4) | instid1(VALU_DEP_1)
	v_pk_fma_f16 v21, v9, v19, v21
	v_pk_fma_f16 v22, v10, v19, v22
	;; [unrolled: 1-line block ×4, first 2 shown]
	v_mul_u32_u24_e32 v20, 0x10001, v52
	v_pk_fma_f16 v47, v9, v20, v48
	v_pk_fma_f16 v48, v10, v20, v49
	;; [unrolled: 1-line block ×4, first 2 shown]
	v_mul_u32_u24_e32 v38, 0x10001, v51
	s_delay_alu instid0(VALU_DEP_1)
	v_pk_fma_f16 v50, v9, v38, v13
	v_pk_fma_f16 v51, v10, v38, v14
	;; [unrolled: 1-line block ×4, first 2 shown]
	ds_load_b128 v[9:12], v37 offset:34208
	s_wait_dscnt 0x0
	v_and_b32_e32 v13, 0xffff, v9
	v_lshrrev_b32_e32 v9, 16, v9
	s_delay_alu instid0(VALU_DEP_2) | instskip(SKIP_3) | instid1(VALU_DEP_1)
	v_mul_u32_u24_e32 v53, 0x10001, v13
	ds_load_2addr_b64 v[13:16], v2 offset1:32
	v_mul_u32_u24_e32 v9, 0x10001, v9
	s_wait_dscnt 0x0
	v_pk_fma_f16 v21, v13, v9, v21
	v_pk_fma_f16 v22, v14, v9, v22
	;; [unrolled: 1-line block ×4, first 2 shown]
	v_and_b32_e32 v9, 0xffff, v10
	v_pk_fma_f16 v0, v13, v53, v0
	v_pk_fma_f16 v1, v14, v53, v1
	;; [unrolled: 1-line block ×4, first 2 shown]
	v_mul_u32_u24_e32 v9, 0x10001, v9
	s_delay_alu instid0(VALU_DEP_1) | instskip(SKIP_4) | instid1(VALU_DEP_1)
	v_pk_fma_f16 v47, v13, v9, v47
	v_pk_fma_f16 v48, v14, v9, v48
	;; [unrolled: 1-line block ×4, first 2 shown]
	v_lshrrev_b32_e32 v9, 16, v10
	v_mul_u32_u24_e32 v9, 0x10001, v9
	s_delay_alu instid0(VALU_DEP_1)
	v_pk_fma_f16 v13, v13, v9, v50
	v_pk_fma_f16 v14, v14, v9, v51
	;; [unrolled: 1-line block ×4, first 2 shown]
	v_and_b32_e32 v9, 0xffff, v11
	v_lshrrev_b32_e32 v38, 16, v11
	v_lshrrev_b32_e32 v50, 16, v12
	v_and_b32_e32 v51, 0xffff, v12
	s_delay_alu instid0(VALU_DEP_4) | instskip(SKIP_3) | instid1(VALU_DEP_1)
	v_mul_u32_u24_e32 v52, 0x10001, v9
	ds_load_2addr_b64 v[9:12], v2 offset0:64 offset1:96
	v_mul_u32_u24_e32 v38, 0x10001, v38
	s_wait_dscnt 0x0
	v_pk_fma_f16 v21, v9, v38, v21
	v_pk_fma_f16 v22, v10, v38, v22
	v_pk_fma_f16 v39, v11, v38, v39
	v_pk_fma_f16 v19, v12, v38, v19
	v_mul_u32_u24_e32 v38, 0x10001, v51
	v_pk_fma_f16 v0, v9, v52, v0
	v_pk_fma_f16 v1, v10, v52, v1
	;; [unrolled: 1-line block ×8, first 2 shown]
	v_mul_u32_u24_e32 v38, 0x10001, v50
	s_delay_alu instid0(VALU_DEP_1)
	v_pk_fma_f16 v50, v9, v38, v13
	v_pk_fma_f16 v51, v10, v38, v14
	;; [unrolled: 1-line block ×4, first 2 shown]
	ds_load_b128 v[9:12], v37 offset:34224
	s_wait_dscnt 0x0
	v_and_b32_e32 v13, 0xffff, v9
	v_lshrrev_b32_e32 v9, 16, v9
	s_delay_alu instid0(VALU_DEP_2) | instskip(SKIP_3) | instid1(VALU_DEP_1)
	v_mul_u32_u24_e32 v53, 0x10001, v13
	ds_load_2addr_b64 v[13:16], v2 offset0:128 offset1:160
	v_mul_u32_u24_e32 v9, 0x10001, v9
	s_wait_dscnt 0x0
	v_pk_fma_f16 v21, v13, v9, v21
	v_pk_fma_f16 v22, v14, v9, v22
	;; [unrolled: 1-line block ×4, first 2 shown]
	v_and_b32_e32 v9, 0xffff, v10
	v_pk_fma_f16 v0, v13, v53, v0
	v_pk_fma_f16 v1, v14, v53, v1
	;; [unrolled: 1-line block ×4, first 2 shown]
	v_mul_u32_u24_e32 v9, 0x10001, v9
	s_delay_alu instid0(VALU_DEP_1) | instskip(SKIP_4) | instid1(VALU_DEP_1)
	v_pk_fma_f16 v47, v13, v9, v47
	v_pk_fma_f16 v48, v14, v9, v48
	;; [unrolled: 1-line block ×4, first 2 shown]
	v_lshrrev_b32_e32 v9, 16, v10
	v_mul_u32_u24_e32 v9, 0x10001, v9
	s_delay_alu instid0(VALU_DEP_1)
	v_pk_fma_f16 v13, v13, v9, v50
	v_pk_fma_f16 v14, v14, v9, v51
	;; [unrolled: 1-line block ×4, first 2 shown]
	v_and_b32_e32 v9, 0xffff, v11
	v_lshrrev_b32_e32 v38, 16, v11
	v_lshrrev_b32_e32 v50, 16, v12
	v_and_b32_e32 v51, 0xffff, v12
	s_delay_alu instid0(VALU_DEP_4)
	v_mul_u32_u24_e32 v52, 0x10001, v9
	ds_load_2addr_b64 v[9:12], v2 offset0:192 offset1:224
	s_wait_dscnt 0x0
	v_pk_fma_f16 v2, v11, v52, v18
	v_mul_u32_u24_e32 v18, 0x10001, v38
	v_pk_fma_f16 v0, v9, v52, v0
	v_pk_fma_f16 v1, v10, v52, v1
	;; [unrolled: 1-line block ×3, first 2 shown]
	s_delay_alu instid0(VALU_DEP_4) | instskip(SKIP_4) | instid1(VALU_DEP_1)
	v_pk_fma_f16 v21, v9, v18, v21
	v_pk_fma_f16 v22, v10, v18, v22
	;; [unrolled: 1-line block ×4, first 2 shown]
	v_mul_u32_u24_e32 v19, 0x10001, v51
	v_pk_fma_f16 v39, v9, v19, v47
	v_pk_fma_f16 v47, v10, v19, v48
	v_pk_fma_f16 v48, v11, v19, v49
	v_pk_fma_f16 v19, v12, v19, v20
	v_mul_u32_u24_e32 v20, 0x10001, v50
	s_delay_alu instid0(VALU_DEP_1)
	v_pk_fma_f16 v49, v9, v20, v13
	v_pk_fma_f16 v50, v10, v20, v14
	;; [unrolled: 1-line block ×4, first 2 shown]
	ds_load_b128 v[9:12], v37 offset:34240
	s_wait_dscnt 0x0
	v_and_b32_e32 v13, 0xffff, v9
	v_lshrrev_b32_e32 v9, 16, v9
	s_delay_alu instid0(VALU_DEP_2) | instskip(SKIP_3) | instid1(VALU_DEP_1)
	v_mul_u32_u24_e32 v52, 0x10001, v13
	ds_load_2addr_b64 v[13:16], v3 offset1:32
	v_mul_u32_u24_e32 v9, 0x10001, v9
	s_wait_dscnt 0x0
	v_pk_fma_f16 v21, v13, v9, v21
	v_pk_fma_f16 v22, v14, v9, v22
	;; [unrolled: 1-line block ×4, first 2 shown]
	v_and_b32_e32 v9, 0xffff, v10
	v_pk_fma_f16 v0, v13, v52, v0
	v_pk_fma_f16 v1, v14, v52, v1
	;; [unrolled: 1-line block ×4, first 2 shown]
	v_mul_u32_u24_e32 v9, 0x10001, v9
	s_delay_alu instid0(VALU_DEP_1) | instskip(SKIP_4) | instid1(VALU_DEP_1)
	v_pk_fma_f16 v39, v13, v9, v39
	v_pk_fma_f16 v47, v14, v9, v47
	;; [unrolled: 1-line block ×4, first 2 shown]
	v_lshrrev_b32_e32 v9, 16, v10
	v_mul_u32_u24_e32 v9, 0x10001, v9
	s_delay_alu instid0(VALU_DEP_1)
	v_pk_fma_f16 v13, v13, v9, v49
	v_pk_fma_f16 v14, v14, v9, v50
	;; [unrolled: 1-line block ×4, first 2 shown]
	v_and_b32_e32 v9, 0xffff, v11
	v_lshrrev_b32_e32 v20, 16, v11
	v_lshrrev_b32_e32 v49, 16, v12
	v_and_b32_e32 v50, 0xffff, v12
	s_delay_alu instid0(VALU_DEP_4) | instskip(SKIP_3) | instid1(VALU_DEP_1)
	v_mul_u32_u24_e32 v51, 0x10001, v9
	ds_load_2addr_b64 v[9:12], v3 offset0:64 offset1:96
	v_mul_u32_u24_e32 v20, 0x10001, v20
	s_wait_dscnt 0x0
	v_pk_fma_f16 v21, v9, v20, v21
	v_pk_fma_f16 v22, v10, v20, v22
	;; [unrolled: 1-line block ×4, first 2 shown]
	v_mul_u32_u24_e32 v20, 0x10001, v50
	v_pk_fma_f16 v0, v9, v51, v0
	v_pk_fma_f16 v1, v10, v51, v1
	;; [unrolled: 1-line block ×8, first 2 shown]
	v_mul_u32_u24_e32 v20, 0x10001, v49
	s_delay_alu instid0(VALU_DEP_1)
	v_pk_fma_f16 v49, v9, v20, v13
	v_pk_fma_f16 v50, v10, v20, v14
	;; [unrolled: 1-line block ×4, first 2 shown]
	ds_load_b128 v[9:12], v37 offset:34256
	s_wait_dscnt 0x0
	v_and_b32_e32 v13, 0xffff, v9
	s_delay_alu instid0(VALU_DEP_1)
	v_mul_u32_u24_e32 v52, 0x10001, v13
	ds_load_2addr_b64 v[13:16], v3 offset0:128 offset1:160
	s_wait_dscnt 0x0
	v_pk_fma_f16 v53, v13, v52, v0
	v_lshrrev_b32_e32 v0, 16, v9
	v_pk_fma_f16 v54, v14, v52, v1
	v_pk_fma_f16 v55, v15, v52, v2
	;; [unrolled: 1-line block ×3, first 2 shown]
	s_delay_alu instid0(VALU_DEP_4) | instskip(NEXT) | instid1(VALU_DEP_1)
	v_mul_u32_u24_e32 v0, 0x10001, v0
	v_pk_fma_f16 v9, v13, v0, v21
	v_pk_fma_f16 v21, v14, v0, v22
	;; [unrolled: 1-line block ×4, first 2 shown]
	v_and_b32_e32 v0, 0xffff, v10
	s_delay_alu instid0(VALU_DEP_1) | instskip(NEXT) | instid1(VALU_DEP_1)
	v_mul_u32_u24_e32 v0, 0x10001, v0
	v_pk_fma_f16 v38, v13, v0, v39
	v_pk_fma_f16 v39, v14, v0, v47
	;; [unrolled: 1-line block ×4, first 2 shown]
	v_lshrrev_b32_e32 v0, 16, v10
	s_delay_alu instid0(VALU_DEP_1) | instskip(NEXT) | instid1(VALU_DEP_1)
	v_mul_u32_u24_e32 v0, 0x10001, v0
	v_pk_fma_f16 v10, v13, v0, v49
	v_pk_fma_f16 v13, v14, v0, v50
	;; [unrolled: 1-line block ×4, first 2 shown]
	v_and_b32_e32 v0, 0xffff, v11
	v_lshrrev_b32_e32 v11, 16, v11
	v_lshrrev_b32_e32 v16, 16, v12
	v_and_b32_e32 v12, 0xffff, v12
	s_delay_alu instid0(VALU_DEP_4)
	v_mul_u32_u24_e32 v20, 0x10001, v0
	ds_load_2addr_b64 v[0:3], v3 offset0:192 offset1:224
	v_mul_u32_u24_e32 v11, 0x10001, v11
	s_wait_dscnt 0x0
	v_pk_fma_f16 v48, v0, v20, v53
	v_pk_fma_f16 v49, v1, v20, v54
	;; [unrolled: 1-line block ×5, first 2 shown]
	v_mul_u32_u24_e32 v9, 0x10001, v12
	v_pk_fma_f16 v21, v1, v11, v21
	v_pk_fma_f16 v22, v2, v11, v22
	v_pk_fma_f16 v18, v3, v11, v18
	s_delay_alu instid0(VALU_DEP_4) | instskip(SKIP_4) | instid1(VALU_DEP_1)
	v_pk_fma_f16 v38, v0, v9, v38
	v_pk_fma_f16 v39, v1, v9, v39
	;; [unrolled: 1-line block ×4, first 2 shown]
	v_mul_u32_u24_e32 v9, 0x10001, v16
	v_pk_fma_f16 v16, v0, v9, v10
	v_pk_fma_f16 v13, v1, v9, v13
	;; [unrolled: 1-line block ×4, first 2 shown]
	ds_load_b128 v[0:3], v37 offset:34272
	s_wait_dscnt 0x0
	v_and_b32_e32 v9, 0xffff, v0
	v_lshrrev_b32_e32 v0, 16, v0
	s_delay_alu instid0(VALU_DEP_2) | instskip(SKIP_3) | instid1(VALU_DEP_1)
	v_mul_u32_u24_e32 v51, 0x10001, v9
	ds_load_2addr_b64 v[9:12], v8 offset1:32
	v_mul_u32_u24_e32 v0, 0x10001, v0
	s_wait_dscnt 0x0
	v_pk_fma_f16 v20, v9, v0, v20
	v_pk_fma_f16 v21, v10, v0, v21
	;; [unrolled: 1-line block ×4, first 2 shown]
	v_and_b32_e32 v0, 0xffff, v1
	v_pk_fma_f16 v48, v9, v51, v48
	v_pk_fma_f16 v49, v10, v51, v49
	;; [unrolled: 1-line block ×4, first 2 shown]
	v_mul_u32_u24_e32 v0, 0x10001, v0
	s_delay_alu instid0(VALU_DEP_1) | instskip(SKIP_4) | instid1(VALU_DEP_1)
	v_pk_fma_f16 v38, v9, v0, v38
	v_pk_fma_f16 v39, v10, v0, v39
	;; [unrolled: 1-line block ×4, first 2 shown]
	v_lshrrev_b32_e32 v0, 16, v1
	v_mul_u32_u24_e32 v0, 0x10001, v0
	s_delay_alu instid0(VALU_DEP_1)
	v_pk_fma_f16 v9, v9, v0, v16
	v_pk_fma_f16 v10, v10, v0, v13
	;; [unrolled: 1-line block ×4, first 2 shown]
	v_and_b32_e32 v0, 0xffff, v2
	v_lshrrev_b32_e32 v13, 16, v2
	v_lshrrev_b32_e32 v14, 16, v3
	v_and_b32_e32 v15, 0xffff, v3
	s_delay_alu instid0(VALU_DEP_4)
	v_mul_u32_u24_e32 v16, 0x10001, v0
	ds_load_2addr_b64 v[0:3], v8 offset0:64 offset1:96
	v_mul_u32_u24_e32 v13, 0x10001, v13
	v_mul_u32_u24_e32 v15, 0x10001, v15
	;; [unrolled: 1-line block ×3, first 2 shown]
	s_wait_dscnt 0x0
	v_pk_fma_f16 v48, v0, v16, v48
	v_pk_fma_f16 v49, v1, v16, v49
	;; [unrolled: 1-line block ×16, first 2 shown]
	ds_load_b128 v[0:3], v37 offset:34288
	s_wait_dscnt 0x0
	v_and_b32_e32 v9, 0xffff, v0
	v_lshrrev_b32_e32 v0, 16, v0
	s_delay_alu instid0(VALU_DEP_2) | instskip(SKIP_3) | instid1(VALU_DEP_1)
	v_mul_u32_u24_e32 v37, 0x10001, v9
	ds_load_2addr_b64 v[9:12], v8 offset0:128 offset1:160
	v_mul_u32_u24_e32 v0, 0x10001, v0
	s_wait_dscnt 0x0
	v_pk_fma_f16 v17, v9, v0, v17
	v_pk_fma_f16 v20, v10, v0, v20
	;; [unrolled: 1-line block ×4, first 2 shown]
	v_and_b32_e32 v0, 0xffff, v1
	v_pk_fma_f16 v48, v9, v37, v48
	v_pk_fma_f16 v49, v10, v37, v49
	;; [unrolled: 1-line block ×4, first 2 shown]
	v_mul_u32_u24_e32 v0, 0x10001, v0
	s_delay_alu instid0(VALU_DEP_1)
	v_pk_fma_f16 v18, v9, v0, v18
	v_pk_fma_f16 v22, v10, v0, v22
	;; [unrolled: 1-line block ×4, first 2 shown]
	v_lshrrev_b32_e32 v0, 16, v1
	v_and_b32_e32 v38, 0xffff, v3
	s_delay_alu instid0(VALU_DEP_2) | instskip(NEXT) | instid1(VALU_DEP_1)
	v_mul_u32_u24_e32 v0, 0x10001, v0
	v_pk_fma_f16 v9, v9, v0, v19
	v_pk_fma_f16 v10, v10, v0, v39
	;; [unrolled: 1-line block ×4, first 2 shown]
	v_and_b32_e32 v0, 0xffff, v2
	v_lshrrev_b32_e32 v14, 16, v2
	v_lshrrev_b32_e32 v19, 16, v3
	s_delay_alu instid0(VALU_DEP_3)
	v_mul_u32_u24_e32 v39, 0x10001, v0
	ds_load_2addr_b64 v[0:3], v8 offset0:192 offset1:224
	v_mul_u32_u24_e32 v8, 0x10001, v14
	s_wait_loadcnt_dscnt 0x0
	s_barrier_signal -1
	s_barrier_wait -1
	global_inv scope:SCOPE_SE
	v_pk_fma_f16 v64, v1, v39, v49
	v_pk_fma_f16 v49, v0, v8, v17
	v_pk_fma_f16 v61, v1, v8, v20
	v_pk_fma_f16 v59, v2, v8, v21
	v_pk_fma_f16 v60, v3, v8, v13
	v_mul_u32_u24_e32 v8, 0x10001, v38
	v_pk_fma_f16 v56, v0, v39, v48
	v_pk_fma_f16 v62, v2, v39, v50
	v_pk_fma_f16 v63, v3, v39, v16
	s_delay_alu instid0(VALU_DEP_4) | instskip(SKIP_4) | instid1(VALU_DEP_1)
	v_pk_fma_f16 v47, v0, v8, v18
	v_pk_fma_f16 v55, v1, v8, v22
	;; [unrolled: 1-line block ×4, first 2 shown]
	v_mul_u32_u24_e32 v8, 0x10001, v19
	v_pk_fma_f16 v53, v0, v8, v9
	v_pk_fma_f16 v54, v1, v8, v10
	;; [unrolled: 1-line block ×4, first 2 shown]
	v_dual_add_f32 v0, v46, v67 :: v_dual_add_f32 v1, v45, v66
	v_dual_add_f32 v2, v40, v65 :: v_dual_add_f32 v3, v57, v58
	s_delay_alu instid0(VALU_DEP_2) | instskip(NEXT) | instid1(VALU_DEP_2)
	v_dual_fmac_f32 v0, v44, v74 :: v_dual_fmac_f32 v1, v43, v73
	v_fmac_f32_e32 v2, v42, v72
	s_delay_alu instid0(VALU_DEP_2) | instskip(NEXT) | instid1(VALU_DEP_2)
	v_dual_fmac_f32 v3, v41, v68 :: v_dual_mov_b32 v44, v0
	v_dual_mov_b32 v43, v1 :: v_dual_mov_b32 v42, v2
	s_delay_alu instid0(VALU_DEP_2)
	v_dual_mov_b32 v41, v3 :: v_dual_mov_b32 v0, v4
	v_dual_mov_b32 v1, v5 :: v_dual_mov_b32 v2, v6
	v_mov_b32_e32 v3, v7
.LBB70_140:
	v_cmp_lt_i32_e32 vcc_lo, v71, v23
	s_cmp_eq_u64 s[12:13], 0
	s_cselect_b32 s2, -1, 0
	s_cmp_lg_u32 s10, 0
	s_wait_alu 0xfffd
	v_cndmask_b32_e32 v4, v36, v71, vcc_lo
	v_cmp_lt_i32_e32 vcc_lo, v70, v23
	s_cselect_b32 s3, -1, 0
	s_wait_alu 0xfffe
	s_or_b32 s2, s3, s2
	v_lshlrev_b32_e32 v4, 2, v4
	ds_bpermute_b32 v5, v4, v44
	s_wait_dscnt 0x0
	v_add_f32_e32 v5, v44, v5
	ds_bpermute_b32 v7, v4, v42
	s_wait_alu 0xfffd
	v_cndmask_b32_e32 v8, v36, v70, vcc_lo
	ds_bpermute_b32 v6, v4, v43
	ds_bpermute_b32 v4, v4, v41
	v_cmp_lt_i32_e32 vcc_lo, v69, v23
	s_wait_alu 0xfffd
	v_cndmask_b32_e32 v12, v36, v69, vcc_lo
	v_cmp_lt_i32_e32 vcc_lo, v25, v23
	s_wait_dscnt 0x2
	s_delay_alu instid0(VALU_DEP_2)
	v_dual_add_f32 v7, v42, v7 :: v_dual_lshlrev_b32 v12, 2, v12
	v_lshlrev_b32_e32 v8, 2, v8
	ds_bpermute_b32 v11, v8, v7
	s_wait_dscnt 0x0
	v_add_f32_e32 v7, v7, v11
	ds_bpermute_b32 v9, v8, v5
	v_add_f32_e32 v4, v41, v4
	s_wait_dscnt 0x0
	v_dual_add_f32 v5, v5, v9 :: v_dual_add_f32 v6, v43, v6
	ds_bpermute_b32 v10, v8, v6
	ds_bpermute_b32 v8, v8, v4
	s_wait_dscnt 0x0
	v_add_f32_e32 v4, v4, v8
	ds_bpermute_b32 v8, v12, v5
	ds_bpermute_b32 v11, v12, v4
	s_wait_dscnt 0x1
	v_dual_add_f32 v5, v5, v8 :: v_dual_add_f32 v6, v6, v10
	ds_bpermute_b32 v10, v12, v7
	s_wait_dscnt 0x1
	v_add_f32_e32 v4, v4, v11
	ds_bpermute_b32 v9, v12, v6
	s_wait_alu 0xfffd
	v_cndmask_b32_e32 v12, v36, v25, vcc_lo
	v_cmp_lt_i32_e32 vcc_lo, v24, v23
	s_delay_alu instid0(VALU_DEP_2)
	v_lshlrev_b32_e32 v12, 2, v12
	ds_bpermute_b32 v8, v12, v5
	ds_bpermute_b32 v11, v12, v4
	s_wait_dscnt 0x2
	v_dual_add_f32 v7, v7, v10 :: v_dual_add_f32 v6, v6, v9
	ds_bpermute_b32 v10, v12, v7
	ds_bpermute_b32 v9, v12, v6
	s_wait_alu 0xfffd
	v_cndmask_b32_e32 v12, v36, v24, vcc_lo
	s_wait_alu 0xfffe
	s_and_b32 vcc_lo, exec_lo, s2
	s_delay_alu instid0(VALU_DEP_1)
	v_lshlrev_b32_e32 v12, 2, v12
	s_wait_dscnt 0x2
	v_dual_add_f32 v5, v5, v8 :: v_dual_add_f32 v8, v4, v11
	ds_bpermute_b32 v4, v12, v5
	ds_bpermute_b32 v11, v12, v8
	s_wait_dscnt 0x2
	v_dual_add_f32 v7, v7, v10 :: v_dual_add_f32 v6, v6, v9
	ds_bpermute_b32 v10, v12, v7
	ds_bpermute_b32 v9, v12, v6
	s_wait_dscnt 0x0
	v_dual_add_f32 v4, v5, v4 :: v_dual_add_f32 v5, v6, v9
	v_dual_add_f32 v6, v7, v10 :: v_dual_add_f32 v7, v8, v11
	s_wait_alu 0xfffe
	s_cbranch_vccnz .LBB70_142
; %bb.141:
	v_dual_mov_b32 v8, 0 :: v_dual_max_num_f32 v9, v0, v0
	s_lshl_b64 s[2:3], s[34:35], 2
	v_dual_max_num_f32 v14, v2, v2 :: v_dual_max_num_f32 v15, v3, v3
	s_wait_alu 0xfffe
	s_add_nc_u64 s[2:3], s[12:13], s[2:3]
	v_max_num_f32_e32 v11, v1, v1
	global_load_b32 v8, v8, s[2:3]
	s_wait_loadcnt 0x0
	v_max_num_f32_e32 v10, v8, v8
	s_delay_alu instid0(VALU_DEP_1) | instskip(NEXT) | instid1(VALU_DEP_1)
	v_max_num_f32_e32 v15, v15, v10
	v_dual_max_num_f32 v12, v9, v10 :: v_dual_sub_f32 v3, v3, v15
	s_delay_alu instid0(VALU_DEP_1) | instskip(SKIP_1) | instid1(VALU_DEP_2)
	v_dual_max_num_f32 v13, v11, v10 :: v_dual_sub_f32 v0, v0, v12
	v_dual_max_num_f32 v14, v14, v10 :: v_dual_sub_f32 v9, v8, v12
	v_sub_f32_e32 v1, v1, v13
	v_sub_f32_e32 v10, v8, v13
	s_delay_alu instid0(VALU_DEP_3) | instskip(SKIP_2) | instid1(VALU_DEP_4)
	v_sub_f32_e32 v2, v2, v14
	v_sub_f32_e32 v11, v8, v14
	v_dual_sub_f32 v16, v8, v15 :: v_dual_mul_f32 v17, 0x3fb8aa3b, v9
	v_dual_mul_f32 v18, 0x3fb8aa3b, v1 :: v_dual_mul_f32 v19, 0x3fb8aa3b, v10
	v_mul_f32_e32 v8, 0x3fb8aa3b, v0
	s_delay_alu instid0(VALU_DEP_4) | instskip(NEXT) | instid1(VALU_DEP_3)
	v_dual_mul_f32 v20, 0x3fb8aa3b, v2 :: v_dual_mul_f32 v21, 0x3fb8aa3b, v11
	v_rndne_f32_e32 v39, v18
	s_delay_alu instid0(VALU_DEP_4)
	v_fma_f32 v40, 0x3fb8aa3b, v10, -v19
	v_rndne_f32_e32 v41, v19
	v_fma_f32 v24, 0x3fb8aa3b, v0, -v8
	v_rndne_f32_e32 v25, v8
	;; [unrolled: 2-line block ×4, first 2 shown]
	v_dual_sub_f32 v18, v18, v39 :: v_dual_sub_f32 v19, v19, v41
	v_fmac_f32_e32 v40, 0x32a5705f, v10
	v_fma_f32 v44, 0x3fb8aa3b, v11, -v21
	v_dual_fmac_f32 v24, 0x32a5705f, v0 :: v_dual_sub_f32 v17, v17, v37
	v_sub_f32_e32 v21, v21, v45
	s_delay_alu instid0(VALU_DEP_4) | instskip(SKIP_3) | instid1(VALU_DEP_4)
	v_dual_fmac_f32 v36, 0x32a5705f, v9 :: v_dual_add_f32 v19, v19, v40
	v_sub_f32_e32 v8, v8, v25
	v_cvt_i32_f32_e32 v25, v25
	v_cvt_i32_f32_e32 v37, v37
	v_add_f32_e32 v17, v17, v36
	v_cmp_ngt_f32_e32 vcc_lo, 0xc2ce8ed0, v0
	v_add_f32_e32 v8, v8, v24
	v_dual_mul_f32 v22, 0x3fb8aa3b, v3 :: v_dual_mul_f32 v23, 0x3fb8aa3b, v16
	s_delay_alu instid0(VALU_DEP_4) | instskip(SKIP_1) | instid1(VALU_DEP_3)
	v_exp_f32_e32 v17, v17
	v_fma_f32 v42, 0x3fb8aa3b, v2, -v20
	v_exp_f32_e32 v8, v8
	v_rndne_f32_e32 v43, v20
	v_fma_f32 v58, 0x3fb8aa3b, v16, -v23
	v_rndne_f32_e32 v65, v23
	v_fmac_f32_e32 v42, 0x32a5705f, v2
	v_cvt_i32_f32_e32 v39, v39
	v_exp_f32_e32 v19, v19
	v_fmac_f32_e32 v58, 0x32a5705f, v16
	v_ldexp_f32 v17, v17, v37
	v_sub_f32_e32 v23, v23, v65
	v_ldexp_f32 v8, v8, v25
	v_sub_f32_e32 v20, v20, v43
	v_cvt_i32_f32_e32 v41, v41
	v_rndne_f32_e32 v57, v22
	s_wait_alu 0xfffd
	v_dual_add_f32 v23, v23, v58 :: v_dual_cndmask_b32 v8, 0, v8
	v_cmp_ngt_f32_e32 vcc_lo, 0xc2ce8ed0, v9
	v_fmac_f32_e32 v44, 0x32a5705f, v11
	v_add_f32_e32 v20, v20, v42
	v_cvt_i32_f32_e32 v43, v43
	v_ldexp_f32 v19, v19, v41
	s_wait_alu 0xfffd
	v_cndmask_b32_e32 v17, 0, v17, vcc_lo
	v_dual_fmac_f32 v38, 0x32a5705f, v1 :: v_dual_add_f32 v21, v21, v44
	v_exp_f32_e32 v20, v20
	v_cmp_ngt_f32_e32 vcc_lo, 0xc2ce8ed0, v1
	v_fma_f32 v46, 0x3fb8aa3b, v3, -v22
	s_delay_alu instid0(VALU_DEP_3)
	v_add_f32_e32 v18, v18, v38
	v_exp_f32_e32 v21, v21
	v_cvt_i32_f32_e32 v45, v45
	v_exp_f32_e32 v23, v23
	v_cvt_i32_f32_e32 v24, v57
	;; [unrolled: 2-line block ×3, first 2 shown]
	v_ldexp_f32 v20, v20, v43
	s_delay_alu instid0(TRANS32_DEP_3)
	v_ldexp_f32 v21, v21, v45
	s_delay_alu instid0(TRANS32_DEP_2) | instid1(VALU_DEP_3)
	v_ldexp_f32 v23, v23, v36
	s_delay_alu instid0(TRANS32_DEP_1) | instskip(SKIP_1) | instid1(VALU_DEP_1)
	v_ldexp_f32 v18, v18, v39
	s_wait_alu 0xfffd
	v_cndmask_b32_e32 v18, 0, v18, vcc_lo
	v_cmp_ngt_f32_e32 vcc_lo, 0xc2ce8ed0, v10
	s_wait_alu 0xfffd
	v_dual_sub_f32 v22, v22, v57 :: v_dual_cndmask_b32 v19, 0, v19
	v_cmp_ngt_f32_e32 vcc_lo, 0xc2ce8ed0, v2
	s_wait_alu 0xfffd
	v_cndmask_b32_e32 v20, 0, v20, vcc_lo
	v_cmp_ngt_f32_e32 vcc_lo, 0xc2ce8ed0, v11
	s_wait_alu 0xfffd
	v_dual_fmac_f32 v46, 0x32a5705f, v3 :: v_dual_cndmask_b32 v21, 0, v21
	s_delay_alu instid0(VALU_DEP_1) | instskip(SKIP_1) | instid1(VALU_DEP_2)
	v_add_f32_e32 v22, v22, v46
	v_cmp_ngt_f32_e32 vcc_lo, 0xc2ce8ed0, v3
	v_exp_f32_e32 v22, v22
	s_delay_alu instid0(TRANS32_DEP_1) | instskip(SKIP_1) | instid1(VALU_DEP_1)
	v_ldexp_f32 v22, v22, v24
	s_wait_alu 0xfffd
	v_cndmask_b32_e32 v22, 0, v22, vcc_lo
	v_cmp_ngt_f32_e32 vcc_lo, 0xc2ce8ed0, v16
	s_wait_alu 0xfffd
	v_cndmask_b32_e32 v23, 0, v23, vcc_lo
	v_cmp_nlt_f32_e32 vcc_lo, 0x42b17218, v0
	s_wait_alu 0xfffd
	v_cndmask_b32_e32 v0, 0x7f800000, v8, vcc_lo
	v_cmp_nlt_f32_e32 vcc_lo, 0x42b17218, v9
	;; [unrolled: 3-line block ×3, first 2 shown]
	s_wait_alu 0xfffd
	s_delay_alu instid0(VALU_DEP_2)
	v_dual_fmac_f32 v8, v4, v0 :: v_dual_cndmask_b32 v1, 0x7f800000, v18
	v_cmp_nlt_f32_e32 vcc_lo, 0x42b17218, v10
	s_wait_alu 0xfffd
	v_cndmask_b32_e32 v9, 0x7f800000, v19, vcc_lo
	v_cmp_nlt_f32_e32 vcc_lo, 0x42b17218, v2
	s_wait_alu 0xfffd
	s_delay_alu instid0(VALU_DEP_2)
	v_dual_fmac_f32 v9, v5, v1 :: v_dual_cndmask_b32 v2, 0x7f800000, v20
	v_cmp_nlt_f32_e32 vcc_lo, 0x42b17218, v11
	v_cvt_f16_f32_e32 v1, v1
	s_wait_alu 0xfffd
	v_cndmask_b32_e32 v10, 0x7f800000, v21, vcc_lo
	v_cmp_nlt_f32_e32 vcc_lo, 0x42b17218, v3
	s_delay_alu instid0(VALU_DEP_2)
	v_dual_fmac_f32 v10, v6, v2 :: v_dual_and_b32 v1, 0xffff, v1
	s_wait_alu 0xfffd
	v_cndmask_b32_e32 v3, 0x7f800000, v22, vcc_lo
	v_cmp_nlt_f32_e32 vcc_lo, 0x42b17218, v16
	v_cvt_f16_f32_e32 v2, v2
	v_mul_u32_u24_e32 v1, 0x10001, v1
	s_delay_alu instid0(VALU_DEP_4)
	v_cvt_f16_f32_e32 v4, v3
	s_wait_alu 0xfffd
	v_cndmask_b32_e32 v11, 0x7f800000, v23, vcc_lo
	v_and_b32_e32 v2, 0xffff, v2
	v_pk_mul_f16 v49, v49, v1
	v_pk_mul_f16 v61, v61, v1
	;; [unrolled: 1-line block ×3, first 2 shown]
	v_fmac_f32_e32 v11, v7, v3
	v_dual_mov_b32 v4, v8 :: v_dual_and_b32 v3, 0xffff, v4
	v_mul_u32_u24_e32 v2, 0x10001, v2
	v_pk_mul_f16 v60, v60, v1
	s_delay_alu instid0(VALU_DEP_4)
	v_mov_b32_e32 v7, v11
	v_cvt_f16_f32_e32 v0, v0
	v_mul_u32_u24_e32 v3, 0x10001, v3
	v_pk_mul_f16 v47, v47, v2
	v_pk_mul_f16 v55, v55, v2
	;; [unrolled: 1-line block ×3, first 2 shown]
	v_and_b32_e32 v0, 0xffff, v0
	v_pk_mul_f16 v52, v52, v2
	v_pk_mul_f16 v53, v53, v3
	;; [unrolled: 1-line block ×4, first 2 shown]
	v_mul_u32_u24_e32 v0, 0x10001, v0
	v_pk_mul_f16 v48, v48, v3
	v_dual_mov_b32 v5, v9 :: v_dual_mov_b32 v6, v10
	s_delay_alu instid0(VALU_DEP_3)
	v_pk_mul_f16 v56, v56, v0
	v_pk_mul_f16 v64, v64, v0
	;; [unrolled: 1-line block ×4, first 2 shown]
	v_dual_mov_b32 v0, v12 :: v_dual_mov_b32 v1, v13
	v_dual_mov_b32 v2, v14 :: v_dual_mov_b32 v3, v15
	s_mov_b32 s2, exec_lo
	v_cmpx_gt_i32_e64 s22, v34
	s_cbranch_execnz .LBB70_143
	s_branch .LBB70_162
.LBB70_142:
	s_delay_alu instid0(VALU_DEP_2) | instskip(NEXT) | instid1(VALU_DEP_2)
	v_dual_mov_b32 v8, v4 :: v_dual_mov_b32 v9, v5
	v_dual_mov_b32 v10, v6 :: v_dual_mov_b32 v11, v7
	s_mov_b32 s2, exec_lo
	v_cmpx_gt_i32_e64 s22, v34
	s_cbranch_execz .LBB70_162
.LBB70_143:
	s_load_b32 s1, s[0:1], 0xd4
	v_mov_b32_e32 v14, 1.0
	s_wait_kmcnt 0x0
	s_cmp_lg_u32 s1, 1
	s_cselect_b32 s4, -1, 0
	s_cmp_eq_u32 s1, 1
	s_cselect_b32 s3, -1, 0
	s_wait_alu 0xfffe
	s_and_b32 vcc_lo, exec_lo, s4
	s_wait_alu 0xfffe
	s_cbranch_vccnz .LBB70_145
; %bb.144:
	v_div_scale_f32 v12, null, v8, v8, 1.0
	s_delay_alu instid0(VALU_DEP_1) | instskip(NEXT) | instid1(TRANS32_DEP_1)
	v_rcp_f32_e32 v13, v12
	v_fma_f32 v14, -v12, v13, 1.0
	s_delay_alu instid0(VALU_DEP_1) | instskip(SKIP_1) | instid1(VALU_DEP_1)
	v_fmac_f32_e32 v13, v14, v13
	v_div_scale_f32 v14, vcc_lo, 1.0, v8, 1.0
	v_mul_f32_e32 v15, v14, v13
	s_delay_alu instid0(VALU_DEP_1) | instskip(NEXT) | instid1(VALU_DEP_1)
	v_fma_f32 v16, -v12, v15, v14
	v_fmac_f32_e32 v15, v16, v13
	s_delay_alu instid0(VALU_DEP_1) | instskip(SKIP_1) | instid1(VALU_DEP_1)
	v_fma_f32 v12, -v12, v15, v14
	s_wait_alu 0xfffd
	v_div_fmas_f32 v12, v12, v13, v15
	s_delay_alu instid0(VALU_DEP_1)
	v_div_fixup_f32 v14, v12, v8, 1.0
.LBB70_145:
	s_mul_i32 s2, s36, s22
	v_cvt_f32_f16_e32 v15, v64
	s_wait_alu 0xfffe
	s_add_co_i32 s2, s2, s33
	v_lshrrev_b32_e32 v16, 16, v56
	s_wait_alu 0xfffe
	v_add_nc_u32_e32 v8, s2, v33
	v_cvt_f32_f16_e32 v18, v56
	v_dual_mul_f32 v17, v14, v15 :: v_dual_mov_b32 v24, 0
	v_lshrrev_b32_e32 v19, 16, v63
	s_delay_alu instid0(VALU_DEP_4)
	v_mad_co_u64_u32 v[12:13], null, v8, s23, s[34:35]
	v_lshrrev_b32_e32 v8, 16, v64
	v_lshrrev_b32_e32 v20, 16, v62
	v_cvt_f32_f16_e32 v22, v62
	v_cvt_f32_f16_e32 v16, v16
	v_mul_f32_e32 v15, v14, v18
	v_cvt_f32_f16_e32 v8, v8
	v_mad_co_u64_u32 v[12:13], null, s1, v12, s[10:11]
	v_cvt_f32_f16_e32 v13, v63
	v_cvt_f32_f16_e32 v25, v19
	v_mul_f32_e32 v19, v14, v22
	v_mul_f32_e32 v16, v14, v16
	v_cmp_eq_u32_e32 vcc_lo, 0, v35
	v_mul_f32_e32 v21, v14, v13
	v_lshl_add_u32 v23, v12, 8, v28
	v_cvt_f32_f16_e32 v13, v20
	v_mul_f32_e32 v22, v14, v25
	v_mul_f32_e32 v18, v14, v8
	s_delay_alu instid0(VALU_DEP_4) | instskip(NEXT) | instid1(VALU_DEP_4)
	v_lshlrev_b64_e32 v[33:34], 2, v[23:24]
	v_dual_mul_f32 v20, v14, v13 :: v_dual_add_nc_u32 v23, 0x80, v23
	s_delay_alu instid0(VALU_DEP_1) | instskip(NEXT) | instid1(VALU_DEP_3)
	v_lshlrev_b64_e32 v[13:14], 2, v[23:24]
	v_add_co_u32 v23, s0, s16, v33
	s_wait_alu 0xf1ff
	s_delay_alu instid0(VALU_DEP_4) | instskip(NEXT) | instid1(VALU_DEP_3)
	v_add_co_ci_u32_e64 v24, null, s17, v34, s0
	v_add_co_u32 v13, s0, s16, v13
	s_wait_alu 0xf1ff
	v_add_co_ci_u32_e64 v14, null, s17, v14, s0
	s_and_b32 s0, vcc_lo, s4
	s_clause 0x1
	global_store_b128 v[23:24], v[15:18], off
	global_store_b128 v[13:14], v[19:22], off
	s_wait_alu 0xfffe
	s_and_saveexec_b32 s4, s0
	s_cbranch_execz .LBB70_147
; %bb.146:
	v_ashrrev_i32_e32 v13, 31, v12
	v_dual_mov_b32 v14, v0 :: v_dual_mov_b32 v15, v4
	s_delay_alu instid0(VALU_DEP_2) | instskip(NEXT) | instid1(VALU_DEP_1)
	v_lshlrev_b64_e32 v[12:13], 3, v[12:13]
	v_add_co_u32 v12, vcc_lo, s18, v12
	s_wait_alu 0xfffd
	s_delay_alu instid0(VALU_DEP_2)
	v_add_co_ci_u32_e64 v13, null, s19, v13, vcc_lo
	global_store_b64 v[12:13], v[14:15], off
.LBB70_147:
	s_wait_alu 0xfffe
	s_or_b32 exec_lo, exec_lo, s4
	v_cmp_gt_i32_e32 vcc_lo, s22, v32
	s_and_b32 exec_lo, exec_lo, vcc_lo
	s_cbranch_execz .LBB70_162
; %bb.148:
	v_cndmask_b32_e64 v12, 0, 1, s3
	v_mov_b32_e32 v0, 1.0
	s_and_not1_b32 vcc_lo, exec_lo, s3
	s_wait_alu 0xfffe
	s_cbranch_vccnz .LBB70_150
; %bb.149:
	v_div_scale_f32 v0, null, v9, v9, 1.0
	s_delay_alu instid0(VALU_DEP_1) | instskip(NEXT) | instid1(TRANS32_DEP_1)
	v_rcp_f32_e32 v4, v0
	v_fma_f32 v8, -v0, v4, 1.0
	s_delay_alu instid0(VALU_DEP_1) | instskip(SKIP_1) | instid1(VALU_DEP_1)
	v_fmac_f32_e32 v4, v8, v4
	v_div_scale_f32 v8, vcc_lo, 1.0, v9, 1.0
	v_mul_f32_e32 v13, v8, v4
	s_delay_alu instid0(VALU_DEP_1) | instskip(NEXT) | instid1(VALU_DEP_1)
	v_fma_f32 v14, -v0, v13, v8
	v_fmac_f32_e32 v13, v14, v4
	s_delay_alu instid0(VALU_DEP_1) | instskip(SKIP_1) | instid1(VALU_DEP_1)
	v_fma_f32 v0, -v0, v13, v8
	s_wait_alu 0xfffd
	v_div_fmas_f32 v0, v0, v4, v13
	s_delay_alu instid0(VALU_DEP_1)
	v_div_fixup_f32 v0, v0, v9, 1.0
.LBB70_150:
	v_cvt_f32_f16_e32 v13, v61
	v_add_nc_u32_e32 v4, s2, v30
	v_cvt_f32_f16_e32 v16, v49
	v_mov_b32_e32 v22, 0
	v_lshrrev_b32_e32 v14, 16, v49
	v_mul_f32_e32 v15, v0, v13
	v_mad_co_u64_u32 v[8:9], null, v4, s23, s[34:35]
	v_lshrrev_b32_e32 v4, 16, v61
	v_mul_f32_e32 v13, v0, v16
	v_lshrrev_b32_e32 v17, 16, v60
	v_lshrrev_b32_e32 v18, 16, v59
	v_cvt_f32_f16_e32 v14, v14
	v_cvt_f32_f16_e32 v4, v4
	v_mad_co_u64_u32 v[8:9], null, s1, v8, s[10:11]
	v_cvt_f32_f16_e32 v9, v60
	v_cvt_f32_f16_e32 v20, v59
	;; [unrolled: 1-line block ×3, first 2 shown]
	v_mul_f32_e32 v14, v0, v14
	v_mul_f32_e32 v16, v0, v4
	;; [unrolled: 1-line block ×3, first 2 shown]
	v_lshl_add_u32 v21, v8, 8, v28
	v_cvt_f32_f16_e32 v9, v18
	v_mul_f32_e32 v17, v0, v20
	v_mul_f32_e32 v20, v0, v25
	s_delay_alu instid0(VALU_DEP_4) | instskip(SKIP_2) | instid1(VALU_DEP_2)
	v_lshlrev_b64_e32 v[23:24], 2, v[21:22]
	v_add_nc_u32_e32 v21, 0x80, v21
	v_mul_f32_e32 v18, v0, v9
	v_lshlrev_b64_e32 v[21:22], 2, v[21:22]
	s_delay_alu instid0(VALU_DEP_4) | instskip(SKIP_2) | instid1(VALU_DEP_3)
	v_add_co_u32 v23, vcc_lo, s16, v23
	s_wait_alu 0xfffd
	v_add_co_ci_u32_e64 v24, null, s17, v24, vcc_lo
	v_add_co_u32 v21, vcc_lo, s16, v21
	s_wait_alu 0xfffd
	v_add_co_ci_u32_e64 v22, null, s17, v22, vcc_lo
	s_clause 0x1
	global_store_b128 v[23:24], v[13:16], off
	global_store_b128 v[21:22], v[17:20], off
	s_and_saveexec_b32 s3, s0
	s_cbranch_execz .LBB70_152
; %bb.151:
	v_ashrrev_i32_e32 v9, 31, v8
	v_mov_b32_e32 v4, v1
	s_delay_alu instid0(VALU_DEP_2) | instskip(NEXT) | instid1(VALU_DEP_1)
	v_lshlrev_b64_e32 v[8:9], 3, v[8:9]
	v_add_co_u32 v8, vcc_lo, s18, v8
	s_wait_alu 0xfffd
	s_delay_alu instid0(VALU_DEP_2)
	v_add_co_ci_u32_e64 v9, null, s19, v9, vcc_lo
	global_store_b64 v[8:9], v[4:5], off
.LBB70_152:
	s_wait_alu 0xfffe
	s_or_b32 exec_lo, exec_lo, s3
	v_cmp_gt_i32_e32 vcc_lo, s22, v31
	s_and_b32 exec_lo, exec_lo, vcc_lo
	s_cbranch_execz .LBB70_162
; %bb.153:
	v_cmp_ne_u32_e32 vcc_lo, 1, v12
	v_mov_b32_e32 v4, 1.0
	s_cbranch_vccnz .LBB70_155
; %bb.154:
	v_div_scale_f32 v0, null, v10, v10, 1.0
	s_delay_alu instid0(VALU_DEP_1) | instskip(NEXT) | instid1(TRANS32_DEP_1)
	v_rcp_f32_e32 v1, v0
	v_fma_f32 v4, -v0, v1, 1.0
	s_delay_alu instid0(VALU_DEP_1) | instskip(SKIP_1) | instid1(VALU_DEP_1)
	v_fmac_f32_e32 v1, v4, v1
	v_div_scale_f32 v4, vcc_lo, 1.0, v10, 1.0
	v_mul_f32_e32 v5, v4, v1
	s_delay_alu instid0(VALU_DEP_1) | instskip(NEXT) | instid1(VALU_DEP_1)
	v_fma_f32 v8, -v0, v5, v4
	v_fmac_f32_e32 v5, v8, v1
	s_delay_alu instid0(VALU_DEP_1) | instskip(SKIP_1) | instid1(VALU_DEP_1)
	v_fma_f32 v0, -v0, v5, v4
	s_wait_alu 0xfffd
	v_div_fmas_f32 v0, v0, v1, v5
	s_delay_alu instid0(VALU_DEP_1)
	v_div_fixup_f32 v4, v0, v10, 1.0
.LBB70_155:
	v_dual_mov_b32 v9, 0 :: v_dual_add_nc_u32 v0, s2, v29
	v_cvt_f32_f16_e32 v8, v55
	v_lshrrev_b32_e32 v5, 16, v55
	v_lshrrev_b32_e32 v10, 16, v47
	s_delay_alu instid0(VALU_DEP_4)
	v_mad_co_u64_u32 v[0:1], null, v0, s23, s[34:35]
	v_cvt_f32_f16_e32 v13, v47
	v_lshrrev_b32_e32 v14, 16, v52
	v_lshrrev_b32_e32 v16, 16, v51
	v_mul_f32_e32 v15, v4, v8
	v_cvt_f32_f16_e32 v17, v51
	v_cvt_f32_f16_e32 v5, v5
	v_mad_co_u64_u32 v[0:1], null, s1, v0, s[10:11]
	v_cvt_f32_f16_e32 v1, v52
	v_cvt_f32_f16_e32 v10, v10
	;; [unrolled: 1-line block ×3, first 2 shown]
	v_mul_f32_e32 v17, v4, v17
	s_delay_alu instid0(VALU_DEP_4)
	v_mul_f32_e32 v19, v4, v1
	v_lshl_add_u32 v8, v0, 8, v28
	v_mul_f32_e32 v13, v4, v13
	v_cvt_f32_f16_e32 v1, v16
	v_mul_f32_e32 v16, v4, v5
	v_mul_f32_e32 v14, v4, v10
	v_lshlrev_b64_e32 v[21:22], 2, v[8:9]
	v_add_nc_u32_e32 v8, 0x80, v8
	v_mul_f32_e32 v20, v4, v18
	v_mul_f32_e32 v18, v4, v1
	s_delay_alu instid0(VALU_DEP_3) | instskip(SKIP_3) | instid1(VALU_DEP_3)
	v_lshlrev_b64_e32 v[4:5], 2, v[8:9]
	v_add_co_u32 v8, vcc_lo, s16, v21
	s_wait_alu 0xfffd
	v_add_co_ci_u32_e64 v9, null, s17, v22, vcc_lo
	v_add_co_u32 v4, vcc_lo, s16, v4
	s_wait_alu 0xfffd
	v_add_co_ci_u32_e64 v5, null, s17, v5, vcc_lo
	s_clause 0x1
	global_store_b128 v[8:9], v[13:16], off
	global_store_b128 v[4:5], v[17:20], off
	s_and_saveexec_b32 s3, s0
	s_cbranch_execz .LBB70_157
; %bb.156:
	v_ashrrev_i32_e32 v1, 31, v0
	v_mov_b32_e32 v5, v2
	s_delay_alu instid0(VALU_DEP_2) | instskip(NEXT) | instid1(VALU_DEP_1)
	v_lshlrev_b64_e32 v[0:1], 3, v[0:1]
	v_add_co_u32 v0, vcc_lo, s18, v0
	s_wait_alu 0xfffd
	s_delay_alu instid0(VALU_DEP_2)
	v_add_co_ci_u32_e64 v1, null, s19, v1, vcc_lo
	global_store_b64 v[0:1], v[5:6], off
.LBB70_157:
	s_wait_alu 0xfffe
	s_or_b32 exec_lo, exec_lo, s3
	v_cmp_gt_i32_e32 vcc_lo, s22, v27
	s_and_b32 exec_lo, exec_lo, vcc_lo
	s_cbranch_execz .LBB70_162
; %bb.158:
	v_cmp_ne_u32_e32 vcc_lo, 1, v12
	v_mov_b32_e32 v2, 1.0
	s_cbranch_vccnz .LBB70_160
; %bb.159:
	v_div_scale_f32 v0, null, v11, v11, 1.0
	s_delay_alu instid0(VALU_DEP_1) | instskip(NEXT) | instid1(TRANS32_DEP_1)
	v_rcp_f32_e32 v1, v0
	v_fma_f32 v2, -v0, v1, 1.0
	s_delay_alu instid0(VALU_DEP_1) | instskip(SKIP_1) | instid1(VALU_DEP_1)
	v_fmac_f32_e32 v1, v2, v1
	v_div_scale_f32 v2, vcc_lo, 1.0, v11, 1.0
	v_mul_f32_e32 v4, v2, v1
	s_delay_alu instid0(VALU_DEP_1) | instskip(NEXT) | instid1(VALU_DEP_1)
	v_fma_f32 v5, -v0, v4, v2
	v_fmac_f32_e32 v4, v5, v1
	s_delay_alu instid0(VALU_DEP_1) | instskip(SKIP_1) | instid1(VALU_DEP_1)
	v_fma_f32 v0, -v0, v4, v2
	s_wait_alu 0xfffd
	v_div_fmas_f32 v0, v0, v1, v4
	s_delay_alu instid0(VALU_DEP_1)
	v_div_fixup_f32 v2, v0, v11, 1.0
.LBB70_160:
	v_dual_mov_b32 v5, 0 :: v_dual_add_nc_u32 v0, s2, v26
	v_lshrrev_b32_e32 v4, 16, v54
	v_cvt_f32_f16_e32 v6, v54
	v_lshrrev_b32_e32 v8, 16, v53
	s_delay_alu instid0(VALU_DEP_4)
	v_mad_co_u64_u32 v[0:1], null, v0, s23, s[34:35]
	v_lshrrev_b32_e32 v11, 16, v48
	v_lshrrev_b32_e32 v12, 16, v50
	v_cvt_f32_f16_e32 v15, v4
	v_cvt_f32_f16_e32 v9, v53
	;; [unrolled: 1-line block ×3, first 2 shown]
	v_mul_f32_e32 v10, v2, v6
	v_mad_co_u64_u32 v[0:1], null, s1, v0, s[10:11]
	v_cvt_f32_f16_e32 v1, v48
	v_cvt_f32_f16_e32 v6, v8
	;; [unrolled: 1-line block ×3, first 2 shown]
	v_mul_f32_e32 v8, v2, v9
	v_mul_f32_e32 v11, v2, v15
	;; [unrolled: 1-line block ×3, first 2 shown]
	v_lshl_add_u32 v4, v0, 8, v28
	v_cvt_f32_f16_e32 v1, v12
	v_mul_f32_e32 v12, v2, v13
	v_mul_f32_e32 v9, v2, v6
	;; [unrolled: 1-line block ×3, first 2 shown]
	v_lshlrev_b64_e32 v[16:17], 2, v[4:5]
	v_dual_mul_f32 v13, v2, v1 :: v_dual_add_nc_u32 v4, 0x80, v4
	s_delay_alu instid0(VALU_DEP_1) | instskip(NEXT) | instid1(VALU_DEP_3)
	v_lshlrev_b64_e32 v[1:2], 2, v[4:5]
	v_add_co_u32 v4, vcc_lo, s16, v16
	s_wait_alu 0xfffd
	s_delay_alu instid0(VALU_DEP_4) | instskip(NEXT) | instid1(VALU_DEP_3)
	v_add_co_ci_u32_e64 v5, null, s17, v17, vcc_lo
	v_add_co_u32 v1, vcc_lo, s16, v1
	s_wait_alu 0xfffd
	v_add_co_ci_u32_e64 v2, null, s17, v2, vcc_lo
	s_clause 0x1
	global_store_b128 v[4:5], v[8:11], off
	global_store_b128 v[1:2], v[12:15], off
	s_and_b32 exec_lo, exec_lo, s0
	s_cbranch_execz .LBB70_162
; %bb.161:
	v_ashrrev_i32_e32 v1, 31, v0
	v_mov_b32_e32 v6, v3
	s_delay_alu instid0(VALU_DEP_2) | instskip(NEXT) | instid1(VALU_DEP_1)
	v_lshlrev_b64_e32 v[0:1], 3, v[0:1]
	v_add_co_u32 v0, vcc_lo, s18, v0
	s_wait_alu 0xfffd
	s_delay_alu instid0(VALU_DEP_2)
	v_add_co_ci_u32_e64 v1, null, s19, v1, vcc_lo
	global_store_b64 v[0:1], v[6:7], off
	s_nop 0
	s_sendmsg sendmsg(MSG_DEALLOC_VGPRS)
	s_endpgm
.LBB70_162:
	s_nop 0
	s_sendmsg sendmsg(MSG_DEALLOC_VGPRS)
	s_endpgm
	.section	.rodata,"a",@progbits
	.p2align	6, 0x0
	.amdhsa_kernel _ZL15flash_attn_tileILi256ELi256ELi32ELi1ELb1EEvPKcS1_S1_S1_S1_PKiPfP15HIP_vector_typeIfLj2EEffffjfiS5_IjLj3EEiiiiiiiiiiiliiliiiiil
		.amdhsa_group_segment_fixed_size 37888
		.amdhsa_private_segment_fixed_size 32
		.amdhsa_kernarg_size 464
		.amdhsa_user_sgpr_count 2
		.amdhsa_user_sgpr_dispatch_ptr 0
		.amdhsa_user_sgpr_queue_ptr 0
		.amdhsa_user_sgpr_kernarg_segment_ptr 1
		.amdhsa_user_sgpr_dispatch_id 0
		.amdhsa_user_sgpr_private_segment_size 0
		.amdhsa_wavefront_size32 1
		.amdhsa_uses_dynamic_stack 0
		.amdhsa_enable_private_segment 1
		.amdhsa_system_sgpr_workgroup_id_x 1
		.amdhsa_system_sgpr_workgroup_id_y 1
		.amdhsa_system_sgpr_workgroup_id_z 1
		.amdhsa_system_sgpr_workgroup_info 0
		.amdhsa_system_vgpr_workitem_id 1
		.amdhsa_next_free_vgpr 217
		.amdhsa_next_free_sgpr 48
		.amdhsa_reserve_vcc 1
		.amdhsa_float_round_mode_32 0
		.amdhsa_float_round_mode_16_64 0
		.amdhsa_float_denorm_mode_32 3
		.amdhsa_float_denorm_mode_16_64 3
		.amdhsa_fp16_overflow 0
		.amdhsa_workgroup_processor_mode 1
		.amdhsa_memory_ordered 1
		.amdhsa_forward_progress 1
		.amdhsa_inst_pref_size 255
		.amdhsa_round_robin_scheduling 0
		.amdhsa_exception_fp_ieee_invalid_op 0
		.amdhsa_exception_fp_denorm_src 0
		.amdhsa_exception_fp_ieee_div_zero 0
		.amdhsa_exception_fp_ieee_overflow 0
		.amdhsa_exception_fp_ieee_underflow 0
		.amdhsa_exception_fp_ieee_inexact 0
		.amdhsa_exception_int_div_zero 0
	.end_amdhsa_kernel
	.section	.text._ZL15flash_attn_tileILi256ELi256ELi32ELi1ELb1EEvPKcS1_S1_S1_S1_PKiPfP15HIP_vector_typeIfLj2EEffffjfiS5_IjLj3EEiiiiiiiiiiiliiliiiiil,"axG",@progbits,_ZL15flash_attn_tileILi256ELi256ELi32ELi1ELb1EEvPKcS1_S1_S1_S1_PKiPfP15HIP_vector_typeIfLj2EEffffjfiS5_IjLj3EEiiiiiiiiiiiliiliiiiil,comdat
.Lfunc_end70:
	.size	_ZL15flash_attn_tileILi256ELi256ELi32ELi1ELb1EEvPKcS1_S1_S1_S1_PKiPfP15HIP_vector_typeIfLj2EEffffjfiS5_IjLj3EEiiiiiiiiiiiliiliiiiil, .Lfunc_end70-_ZL15flash_attn_tileILi256ELi256ELi32ELi1ELb1EEvPKcS1_S1_S1_S1_PKiPfP15HIP_vector_typeIfLj2EEffffjfiS5_IjLj3EEiiiiiiiiiiiliiliiiiil
                                        ; -- End function
	.set _ZL15flash_attn_tileILi256ELi256ELi32ELi1ELb1EEvPKcS1_S1_S1_S1_PKiPfP15HIP_vector_typeIfLj2EEffffjfiS5_IjLj3EEiiiiiiiiiiiliiliiiiil.num_vgpr, 197
	.set _ZL15flash_attn_tileILi256ELi256ELi32ELi1ELb1EEvPKcS1_S1_S1_S1_PKiPfP15HIP_vector_typeIfLj2EEffffjfiS5_IjLj3EEiiiiiiiiiiiliiliiiiil.num_agpr, 0
	.set _ZL15flash_attn_tileILi256ELi256ELi32ELi1ELb1EEvPKcS1_S1_S1_S1_PKiPfP15HIP_vector_typeIfLj2EEffffjfiS5_IjLj3EEiiiiiiiiiiiliiliiiiil.numbered_sgpr, 48
	.set _ZL15flash_attn_tileILi256ELi256ELi32ELi1ELb1EEvPKcS1_S1_S1_S1_PKiPfP15HIP_vector_typeIfLj2EEffffjfiS5_IjLj3EEiiiiiiiiiiiliiliiiiil.num_named_barrier, 0
	.set _ZL15flash_attn_tileILi256ELi256ELi32ELi1ELb1EEvPKcS1_S1_S1_S1_PKiPfP15HIP_vector_typeIfLj2EEffffjfiS5_IjLj3EEiiiiiiiiiiiliiliiiiil.private_seg_size, 32
	.set _ZL15flash_attn_tileILi256ELi256ELi32ELi1ELb1EEvPKcS1_S1_S1_S1_PKiPfP15HIP_vector_typeIfLj2EEffffjfiS5_IjLj3EEiiiiiiiiiiiliiliiiiil.uses_vcc, 1
	.set _ZL15flash_attn_tileILi256ELi256ELi32ELi1ELb1EEvPKcS1_S1_S1_S1_PKiPfP15HIP_vector_typeIfLj2EEffffjfiS5_IjLj3EEiiiiiiiiiiiliiliiiiil.uses_flat_scratch, 1
	.set _ZL15flash_attn_tileILi256ELi256ELi32ELi1ELb1EEvPKcS1_S1_S1_S1_PKiPfP15HIP_vector_typeIfLj2EEffffjfiS5_IjLj3EEiiiiiiiiiiiliiliiiiil.has_dyn_sized_stack, 0
	.set _ZL15flash_attn_tileILi256ELi256ELi32ELi1ELb1EEvPKcS1_S1_S1_S1_PKiPfP15HIP_vector_typeIfLj2EEffffjfiS5_IjLj3EEiiiiiiiiiiiliiliiiiil.has_recursion, 0
	.set _ZL15flash_attn_tileILi256ELi256ELi32ELi1ELb1EEvPKcS1_S1_S1_S1_PKiPfP15HIP_vector_typeIfLj2EEffffjfiS5_IjLj3EEiiiiiiiiiiiliiliiiiil.has_indirect_call, 0
	.section	.AMDGPU.csdata,"",@progbits
; Kernel info:
; codeLenInByte = 53436
; TotalNumSgprs: 50
; NumVgprs: 197
; ScratchSize: 32
; MemoryBound: 0
; FloatMode: 240
; IeeeMode: 1
; LDSByteSize: 37888 bytes/workgroup (compile time only)
; SGPRBlocks: 0
; VGPRBlocks: 27
; NumSGPRsForWavesPerEU: 50
; NumVGPRsForWavesPerEU: 217
; Occupancy: 6
; WaveLimiterHint : 1
; COMPUTE_PGM_RSRC2:SCRATCH_EN: 1
; COMPUTE_PGM_RSRC2:USER_SGPR: 2
; COMPUTE_PGM_RSRC2:TRAP_HANDLER: 0
; COMPUTE_PGM_RSRC2:TGID_X_EN: 1
; COMPUTE_PGM_RSRC2:TGID_Y_EN: 1
; COMPUTE_PGM_RSRC2:TGID_Z_EN: 1
; COMPUTE_PGM_RSRC2:TIDIG_COMP_CNT: 1
	.section	.text._ZL15flash_attn_tileILi256ELi256ELi16ELi1ELb1EEvPKcS1_S1_S1_S1_PKiPfP15HIP_vector_typeIfLj2EEffffjfiS5_IjLj3EEiiiiiiiiiiiliiliiiiil,"axG",@progbits,_ZL15flash_attn_tileILi256ELi256ELi16ELi1ELb1EEvPKcS1_S1_S1_S1_PKiPfP15HIP_vector_typeIfLj2EEffffjfiS5_IjLj3EEiiiiiiiiiiiliiliiiiil,comdat
	.globl	_ZL15flash_attn_tileILi256ELi256ELi16ELi1ELb1EEvPKcS1_S1_S1_S1_PKiPfP15HIP_vector_typeIfLj2EEffffjfiS5_IjLj3EEiiiiiiiiiiiliiliiiiil ; -- Begin function _ZL15flash_attn_tileILi256ELi256ELi16ELi1ELb1EEvPKcS1_S1_S1_S1_PKiPfP15HIP_vector_typeIfLj2EEffffjfiS5_IjLj3EEiiiiiiiiiiiliiliiiiil
	.p2align	8
	.type	_ZL15flash_attn_tileILi256ELi256ELi16ELi1ELb1EEvPKcS1_S1_S1_S1_PKiPfP15HIP_vector_typeIfLj2EEffffjfiS5_IjLj3EEiiiiiiiiiiiliiliiiiil,@function
_ZL15flash_attn_tileILi256ELi256ELi16ELi1ELb1EEvPKcS1_S1_S1_S1_PKiPfP15HIP_vector_typeIfLj2EEffffjfiS5_IjLj3EEiiiiiiiiiiiliiliiiiil: ; @_ZL15flash_attn_tileILi256ELi256ELi16ELi1ELb1EEvPKcS1_S1_S1_S1_PKiPfP15HIP_vector_typeIfLj2EEffffjfiS5_IjLj3EEiiiiiiiiiiiliiliiiiil
; %bb.0:
	s_clause 0x1
	s_load_b128 s[20:23], s[0:1], 0x5c
	s_load_b64 s[2:3], s[0:1], 0x80
	s_lshr_b32 s6, ttmp7, 16
	s_load_b64 s[30:31], s[0:1], 0xb8
	s_mov_b32 s41, 0
	s_mov_b64 s[38:39], 0
	s_wait_kmcnt 0x0
	s_cvt_f32_u32 s4, s23
	s_sub_co_i32 s5, 0, s23
	s_delay_alu instid0(SALU_CYCLE_2) | instskip(NEXT) | instid1(TRANS32_DEP_1)
	v_rcp_iflag_f32_e32 v1, s4
	v_readfirstlane_b32 s4, v1
	s_mul_f32 s4, s4, 0x4f7ffffe
	s_wait_alu 0xfffe
	s_delay_alu instid0(SALU_CYCLE_2) | instskip(SKIP_1) | instid1(SALU_CYCLE_2)
	s_cvt_u32_f32 s4, s4
	s_wait_alu 0xfffe
	s_mul_i32 s5, s5, s4
	s_wait_alu 0xfffe
	s_mul_hi_u32 s5, s4, s5
	s_wait_alu 0xfffe
	s_add_co_i32 s4, s4, s5
	s_wait_alu 0xfffe
	s_mul_hi_u32 s4, s6, s4
	s_wait_alu 0xfffe
	s_mul_i32 s5, s4, s23
	s_add_co_i32 s7, s4, 1
	s_wait_alu 0xfffe
	s_sub_co_i32 s5, s6, s5
	s_wait_alu 0xfffe
	s_sub_co_i32 s8, s5, s23
	s_cmp_ge_u32 s5, s23
	s_cselect_b32 s4, s7, s4
	s_cselect_b32 s5, s8, s5
	s_wait_alu 0xfffe
	s_add_co_i32 s7, s4, 1
	s_cmp_ge_u32 s5, s23
	s_cselect_b32 s36, s7, s4
	s_abs_i32 s4, s3
	s_abs_i32 s9, s23
	s_wait_alu 0xfffe
	s_cvt_f32_u32 s5, s4
	s_sub_co_i32 s7, 0, s4
	s_mul_i32 s8, s36, s23
	s_xor_b32 s3, s23, s3
	s_wait_alu 0xfffe
	v_rcp_iflag_f32_e32 v1, s5
	s_sub_co_i32 s34, s6, s8
	s_ashr_i32 s3, s3, 31
	s_delay_alu instid0(TRANS32_DEP_1) | instskip(SKIP_2) | instid1(SALU_CYCLE_2)
	v_readfirstlane_b32 s5, v1
	s_mul_f32 s5, s5, 0x4f7ffffe
	s_wait_alu 0xfffe
	s_cvt_u32_f32 s5, s5
	s_wait_alu 0xfffe
	s_delay_alu instid0(SALU_CYCLE_2) | instskip(NEXT) | instid1(SALU_CYCLE_1)
	s_mul_i32 s7, s7, s5
	s_mul_hi_u32 s7, s5, s7
	s_delay_alu instid0(SALU_CYCLE_1)
	s_add_co_i32 s5, s5, s7
	s_wait_alu 0xfffe
	s_mul_hi_u32 s5, s9, s5
	s_wait_alu 0xfffe
	s_mul_i32 s6, s5, s4
	s_add_co_i32 s7, s5, 1
	s_sub_co_i32 s6, s9, s6
	s_delay_alu instid0(SALU_CYCLE_1)
	s_sub_co_i32 s8, s6, s4
	s_cmp_ge_u32 s6, s4
	s_cselect_b32 s5, s7, s5
	s_cselect_b32 s6, s8, s6
	s_wait_alu 0xfffe
	s_add_co_i32 s7, s5, 1
	s_cmp_ge_u32 s6, s4
	s_cselect_b32 s4, s7, s5
	s_abs_i32 s40, s34
	s_wait_alu 0xfffe
	s_xor_b32 s4, s4, s3
	s_wait_alu 0xfffe
	s_sub_co_i32 s33, s4, s3
	s_delay_alu instid0(SALU_CYCLE_1) | instskip(NEXT) | instid1(SALU_CYCLE_1)
	s_abs_i32 s3, s33
	s_cvt_f32_u32 s4, s3
	s_sub_co_i32 s25, 0, s3
	s_wait_alu 0xfffe
	s_delay_alu instid0(SALU_CYCLE_1) | instskip(SKIP_1) | instid1(TRANS32_DEP_1)
	v_rcp_iflag_f32_e32 v1, s4
	s_load_b512 s[4:19], s[0:1], 0x0
	v_readfirstlane_b32 s24, v1
	s_mul_f32 s24, s24, 0x4f7ffffe
	s_delay_alu instid0(SALU_CYCLE_3) | instskip(NEXT) | instid1(SALU_CYCLE_3)
	s_cvt_u32_f32 s24, s24
	s_mul_i32 s25, s25, s24
	s_delay_alu instid0(SALU_CYCLE_1) | instskip(NEXT) | instid1(SALU_CYCLE_1)
	s_mul_hi_u32 s25, s24, s25
	s_add_co_i32 s42, s24, s25
	s_wait_kmcnt 0x0
	s_cmp_eq_u64 s[10:11], 0
	s_cbranch_scc1 .LBB71_2
; %bb.1:
	s_abs_i32 s26, s30
	s_delay_alu instid0(SALU_CYCLE_1) | instskip(NEXT) | instid1(SALU_CYCLE_3)
	s_cvt_f32_u32 s24, s26
	v_rcp_iflag_f32_e32 v1, s24
	s_delay_alu instid0(TRANS32_DEP_1) | instskip(SKIP_2) | instid1(SALU_CYCLE_2)
	v_readfirstlane_b32 s24, v1
	s_mul_f32 s24, s24, 0x4f7ffffe
	s_wait_alu 0xfffe
	s_cvt_u32_f32 s27, s24
	s_sub_co_i32 s24, 0, s26
	s_wait_alu 0xfffe
	s_delay_alu instid0(SALU_CYCLE_1) | instskip(SKIP_4) | instid1(SALU_CYCLE_1)
	s_mul_i32 s24, s24, s27
	s_wait_alu 0xfffe
	s_mul_hi_u32 s28, s27, s24
	s_load_b64 s[24:25], s[0:1], 0xc8
	s_add_co_i32 s27, s27, s28
	s_mul_hi_u32 s27, s36, s27
	s_delay_alu instid0(SALU_CYCLE_1) | instskip(NEXT) | instid1(SALU_CYCLE_1)
	s_mul_i32 s27, s27, s26
	s_sub_co_i32 s27, s36, s27
	s_delay_alu instid0(SALU_CYCLE_1) | instskip(SKIP_2) | instid1(SALU_CYCLE_1)
	s_sub_co_i32 s28, s27, s26
	s_cmp_ge_u32 s27, s26
	s_cselect_b32 s27, s28, s27
	s_sub_co_i32 s28, s27, s26
	s_cmp_ge_u32 s27, s26
	s_cselect_b32 s26, s28, s27
	s_delay_alu instid0(SALU_CYCLE_1)
	s_ashr_i32 s27, s26, 31
	s_wait_kmcnt 0x0
	s_mul_u64 s[24:25], s[24:25], s[26:27]
	s_wait_alu 0xfffe
	s_add_nc_u64 s[38:39], s[10:11], s[24:25]
.LBB71_2:
	s_clause 0x1
	s_load_b128 s[24:27], s[0:1], 0x40
	s_load_b64 s[10:11], s[0:1], 0x50
	v_mov_b32_e32 v40, 1.0
	s_mov_b32 s43, s41
	s_wait_kmcnt 0x0
	s_cmp_le_f32 s25, 0
	s_cbranch_scc1 .LBB71_4
; %bb.3:
	v_sub_co_u32 v1, s10, s34, s10
	s_and_b32 s28, s10, exec_lo
	s_cselect_b32 s26, s26, s27
	s_add_co_i32 s27, s34, 1
	v_readfirstlane_b32 s25, v1
	s_lshl_b32 s25, s25, 1
	s_wait_alu 0xfffe
	s_or_b32 s25, s25, 1
	s_and_b32 s10, s10, exec_lo
	s_wait_alu 0xfffe
	s_cselect_b32 s10, s27, s25
	s_cmp_neq_f32 s26, 1.0
	s_wait_alu 0xfffe
	s_cvt_f32_i32 s10, s10
	s_wait_alu 0xfffe
	s_delay_alu instid0(SALU_CYCLE_2)
	s_cselect_b32 s25, s10, 1.0
	s_wait_alu 0xfffe
	s_cmp_neq_f32 s25, 0
	s_cselect_b32 s10, s26, 1.0
	s_wait_alu 0xfffe
	v_frexp_mant_f32_e64 v1, |s10|
	s_delay_alu instid0(VALU_DEP_1) | instskip(SKIP_3) | instid1(SALU_CYCLE_1)
	v_readfirstlane_b32 s26, v1
	v_cvt_f64_f32_e64 v[1:2], |s10|
	s_cmp_lt_f32 s26, 0x3f2aaaab
	s_cselect_b32 s27, -1, 0
	s_and_b32 s28, s27, exec_lo
	s_cselect_b32 s28, 2.0, 1.0
	s_delay_alu instid0(SALU_CYCLE_1) | instskip(NEXT) | instid1(SALU_CYCLE_3)
	s_mul_f32 s26, s26, s28
	s_add_f32 s28, s26, 1.0
	s_add_f32 s30, s26, -1.0
	s_delay_alu instid0(SALU_CYCLE_2) | instskip(SKIP_1) | instid1(SALU_CYCLE_3)
	v_s_rcp_f32 s29, s28
	s_add_f32 s44, s28, -1.0
	s_sub_f32 s26, s26, s44
	s_delay_alu instid0(TRANS32_DEP_1) | instskip(SKIP_1) | instid1(SALU_CYCLE_2)
	s_mul_f32 s35, s30, s29
	s_wait_alu 0xfffe
	s_mul_f32 s37, s28, s35
	s_delay_alu instid0(SALU_CYCLE_3) | instskip(NEXT) | instid1(VALU_DEP_1)
	s_xor_b32 s45, s37, 0x80000000
	v_frexp_exp_i32_f64_e32 v1, v[1:2]
	s_fmac_f32 s45, s35, s28
	s_delay_alu instid0(SALU_CYCLE_3) | instskip(NEXT) | instid1(SALU_CYCLE_3)
	s_fmac_f32 s45, s35, s26
	s_add_f32 s26, s37, s45
	s_delay_alu instid0(SALU_CYCLE_3) | instskip(SKIP_2) | instid1(SALU_CYCLE_1)
	s_sub_f32 s28, s30, s26
	s_sub_f32 s37, s26, s37
	s_wait_alu 0xfffe
	s_sub_f32 s30, s30, s28
	s_delay_alu instid0(SALU_CYCLE_1) | instskip(NEXT) | instid1(SALU_CYCLE_2)
	s_sub_f32 s37, s37, s45
	s_sub_f32 s26, s30, s26
	s_delay_alu instid0(SALU_CYCLE_3) | instskip(SKIP_1) | instid1(SALU_CYCLE_2)
	s_add_f32 s26, s37, s26
	s_mov_b32 s37, 0x3e76c4e1
	s_add_f32 s26, s28, s26
	s_delay_alu instid0(SALU_CYCLE_3) | instskip(NEXT) | instid1(SALU_CYCLE_3)
	s_mul_f32 s26, s29, s26
	s_add_f32 s28, s35, s26
	s_wait_alu 0xfffe
	s_delay_alu instid0(SALU_CYCLE_2) | instskip(SKIP_2) | instid1(SALU_CYCLE_1)
	s_sub_f32 s29, s28, s35
	s_mul_f32 s30, s28, s28
	s_wait_alu 0xfffe
	s_sub_f32 s26, s26, s29
	s_delay_alu instid0(SALU_CYCLE_1) | instskip(SKIP_4) | instid1(SALU_CYCLE_2)
	s_xor_b32 s29, s30, 0x80000000
	s_wait_alu 0xfffe
	s_fmac_f32 s29, s28, s28
	s_add_f32 s35, s26, s26
	s_wait_alu 0xfffe
	s_fmac_f32 s29, s28, s35
	s_wait_alu 0xfffe
	s_delay_alu instid0(SALU_CYCLE_2) | instskip(SKIP_1) | instid1(SALU_CYCLE_2)
	s_add_f32 s35, s30, s29
	s_wait_alu 0xfffe
	s_fmaak_f32 s37, s35, s37, 0x3e91f4c4
	s_sub_f32 s30, s35, s30
	s_delay_alu instid0(SALU_CYCLE_2) | instskip(NEXT) | instid1(SALU_CYCLE_2)
	s_fmaak_f32 s37, s35, s37, 0x3ecccdef
	s_sub_f32 s29, s29, s30
	s_mul_f32 s30, s28, s35
	s_delay_alu instid0(SALU_CYCLE_1) | instskip(NEXT) | instid1(SALU_CYCLE_2)
	s_mul_f32 s44, s35, s37
	s_xor_b32 s46, s30, 0x80000000
	s_delay_alu instid0(SALU_CYCLE_2) | instskip(SKIP_2) | instid1(SALU_CYCLE_2)
	s_xor_b32 s45, s44, 0x80000000
	s_fmac_f32 s46, s35, s28
	s_fmac_f32 s45, s35, s37
	;; [unrolled: 1-line block ×3, first 2 shown]
	s_wait_alu 0xfffe
	s_delay_alu instid0(SALU_CYCLE_1) | instskip(NEXT) | instid1(SALU_CYCLE_1)
	s_fmac_f32 s45, s29, s37
	s_fmac_f32 s46, s29, s28
	s_delay_alu instid0(SALU_CYCLE_2) | instskip(NEXT) | instid1(SALU_CYCLE_3)
	s_add_f32 s37, s44, s45
	s_sub_f32 s44, s37, s44
	s_add_f32 s47, s37, 0x3f2aaaaa
	s_delay_alu instid0(SALU_CYCLE_2) | instskip(NEXT) | instid1(SALU_CYCLE_2)
	s_sub_f32 s44, s45, s44
	s_add_f32 s45, s47, 0xbf2aaaaa
	s_delay_alu instid0(SALU_CYCLE_2) | instskip(NEXT) | instid1(SALU_CYCLE_2)
	s_add_f32 s35, s44, 0x31739010
	s_sub_f32 s37, s37, s45
	s_wait_alu 0xfffe
	s_delay_alu instid0(SALU_CYCLE_2) | instskip(SKIP_2) | instid1(SALU_CYCLE_1)
	s_add_f32 s29, s35, s37
	s_add_f32 s35, s30, s46
	s_wait_alu 0xfffe
	s_add_f32 s37, s47, s29
	s_delay_alu instid0(SALU_CYCLE_1) | instskip(NEXT) | instid1(SALU_CYCLE_2)
	s_sub_f32 s30, s35, s30
	s_mul_f32 s44, s35, s37
	s_sub_f32 s45, s47, s37
	s_delay_alu instid0(SALU_CYCLE_1) | instskip(NEXT) | instid1(SALU_CYCLE_1)
	s_sub_f32 s30, s46, s30
	s_xor_b32 s47, s44, 0x80000000
	s_delay_alu instid0(SALU_CYCLE_1)
	s_add_f32 s29, s29, s45
	s_fmac_f32 s47, s35, s37
	v_readfirstlane_b32 s45, v1
	v_ldexp_f32 v1, s28, 1
	s_cmp_lg_u32 s27, 0
	s_wait_alu 0xfffe
	s_fmac_f32 s47, s35, s29
	s_sub_co_ci_u32 s27, s45, 0
	v_readfirstlane_b32 s28, v1
	s_delay_alu instid0(SALU_CYCLE_1) | instskip(SKIP_2) | instid1(SALU_CYCLE_1)
	s_fmac_f32 s47, s30, s37
	s_cvt_f32_i32 s27, s27
	v_ldexp_f32 v1, s26, 1
	s_add_f32 s29, s44, s47
	s_delay_alu instid0(SALU_CYCLE_1) | instskip(NEXT) | instid1(VALU_DEP_1)
	s_mul_f32 s26, s27, 0x3f317218
	v_readfirstlane_b32 s37, v1
	s_wait_alu 0xfffe
	s_add_f32 s30, s28, s29
	s_sub_f32 s35, s29, s44
	s_xor_b32 s44, s26, 0x80000000
	s_delay_alu instid0(SALU_CYCLE_1)
	s_sub_f32 s28, s30, s28
	s_wait_alu 0xfffe
	s_sub_f32 s35, s47, s35
	s_fmamk_f32 s44, s27, 0x3f317218, s44
	s_sub_f32 s28, s29, s28
	s_wait_alu 0xfffe
	s_add_f32 s29, s37, s35
	s_fmamk_f32 s27, s27, 0xb102e308, s44
	s_wait_alu 0xfffe
	s_delay_alu instid0(SALU_CYCLE_1) | instskip(NEXT) | instid1(SALU_CYCLE_1)
	s_add_f32 s28, s29, s28
	s_add_f32 s29, s26, s27
	s_wait_alu 0xfffe
	s_delay_alu instid0(SALU_CYCLE_1) | instskip(NEXT) | instid1(SALU_CYCLE_1)
	s_add_f32 s35, s30, s28
	s_sub_f32 s26, s29, s26
	s_wait_alu 0xfffe
	s_delay_alu instid0(SALU_CYCLE_1) | instskip(SKIP_2) | instid1(SALU_CYCLE_1)
	s_add_f32 s37, s29, s35
	s_sub_f32 s30, s35, s30
	s_sub_f32 s26, s27, s26
	;; [unrolled: 1-line block ×3, first 2 shown]
	s_delay_alu instid0(SALU_CYCLE_1) | instskip(NEXT) | instid1(SALU_CYCLE_2)
	s_sub_f32 s27, s28, s30
	s_sub_f32 s45, s37, s44
	;; [unrolled: 1-line block ×3, first 2 shown]
	s_wait_alu 0xfffe
	s_add_f32 s30, s26, s27
	s_sub_f32 s29, s29, s45
	s_wait_alu 0xfffe
	s_delay_alu instid0(SALU_CYCLE_2) | instskip(SKIP_2) | instid1(SALU_CYCLE_1)
	s_add_f32 s28, s28, s29
	s_sub_f32 s29, s30, s26
	s_wait_alu 0xfffe
	s_add_f32 s28, s30, s28
	s_delay_alu instid0(SALU_CYCLE_1)
	s_sub_f32 s30, s30, s29
	s_sub_f32 s27, s27, s29
	s_wait_alu 0xfffe
	s_add_f32 s35, s37, s28
	s_sub_f32 s26, s26, s30
	s_wait_alu 0xfffe
	s_delay_alu instid0(SALU_CYCLE_1) | instskip(NEXT) | instid1(SALU_CYCLE_1)
	s_sub_f32 s29, s35, s37
	s_add_f32 s26, s27, s26
	s_wait_alu 0xfffe
	s_delay_alu instid0(SALU_CYCLE_1) | instskip(SKIP_1) | instid1(SALU_CYCLE_2)
	s_sub_f32 s27, s28, s29
	s_wait_alu 0xfffe
	s_add_f32 s26, s26, s27
	s_wait_alu 0xfffe
	s_delay_alu instid0(SALU_CYCLE_2) | instskip(SKIP_1) | instid1(SALU_CYCLE_2)
	s_add_f32 s27, s35, s26
	s_wait_alu 0xfffe
	s_mul_f32 s28, s25, s27
	s_sub_f32 s29, s27, s35
	s_wait_alu 0xfffe
	s_delay_alu instid0(SALU_CYCLE_1) | instskip(NEXT) | instid1(SALU_CYCLE_1)
	s_xor_b32 s30, s28, 0x80000000
	s_sub_f32 s26, s26, s29
	s_fmac_f32 s30, s25, s27
	s_wait_alu 0xfffe
	s_delay_alu instid0(SALU_CYCLE_2) | instskip(SKIP_1) | instid1(SALU_CYCLE_2)
	s_fmac_f32 s30, s25, s26
	v_cmp_class_f32_e64 s26, s28, 0x204
	s_add_f32 s27, s28, s30
	s_and_b32 s26, s26, exec_lo
	s_wait_alu 0xfffe
	s_delay_alu instid0(SALU_CYCLE_1)
	s_sub_f32 s26, s27, s28
	s_cselect_b32 s27, s28, s27
	s_wait_alu 0xfffe
	s_and_b32 s28, s27, 0x7fffffff
	s_sub_f32 s26, s30, s26
	s_wait_alu 0xfffe
	s_cmp_neq_f32 s28, 0x7f800000
	s_delay_alu instid0(SALU_CYCLE_1)
	s_cselect_b32 s26, s26, 0
	s_cmp_eq_f32 s27, 0x42b17218
	s_cselect_b32 s28, 0x37000000, 0
	s_wait_alu 0xfffe
	s_sub_f32 s27, s27, s28
	s_add_f32 s26, s28, s26
	s_wait_alu 0xfffe
	s_delay_alu instid0(SALU_CYCLE_1) | instskip(SKIP_1) | instid1(SALU_CYCLE_2)
	s_mul_f32 s29, s27, 0x3fb8aa3b
	s_wait_alu 0xfffe
	s_xor_b32 s30, s29, 0x80000000
	s_rndne_f32 s35, s29
	s_fmamk_f32 s30, s27, 0x3fb8aa3b, s30
	s_cmp_nlt_f32 s27, 0xc2ce8ed0
	s_wait_alu 0xfffe
	s_sub_f32 s29, s29, s35
	s_fmamk_f32 s30, s27, 0x32a5705f, s30
	s_cselect_b32 vcc_lo, -1, 0
	s_cmp_ngt_f32 s27, 0x42b17218
	s_trunc_f32 s27, s25
	s_wait_alu 0xfffe
	s_add_f32 s29, s29, s30
	s_cvt_i32_f32 s30, s35
	s_wait_alu 0xfffe
	s_delay_alu instid0(SALU_CYCLE_1) | instskip(SKIP_1) | instid1(TRANS32_DEP_1)
	v_s_exp_f32 s29, s29
	s_wait_alu 0xf1ff
	v_ldexp_f32 v1, s29, s30
	s_mul_f32 s29, s25, 0.5
	s_delay_alu instid0(VALU_DEP_1)
	v_cndmask_b32_e32 v1, 0, v1, vcc_lo
	s_cselect_b32 vcc_lo, -1, 0
	s_cmp_eq_f32 s27, s25
	s_wait_alu 0xfffe
	s_trunc_f32 s30, s29
	v_cndmask_b32_e32 v1, 0x7f800000, v1, vcc_lo
	s_cselect_b32 s35, -1, 0
	s_wait_alu 0xfffe
	s_cmp_neq_f32 s30, s29
	s_delay_alu instid0(VALU_DEP_1)
	v_fma_f32 v2, s26, v1, v1
	v_cmp_class_f32_e64 vcc_lo, v1, 0x204
	s_cselect_b32 s28, -1, 0
	s_wait_alu 0xfffe
	s_and_b32 s26, s35, s28
	s_wait_alu 0xfffd
	v_cndmask_b32_e32 v1, v2, v1, vcc_lo
	s_wait_alu 0xfffe
	s_and_b32 s28, s26, exec_lo
	s_cselect_b32 s28, s10, 1.0
	s_cmp_eq_f32 s27, s25
	v_cmp_class_f32_e64 s27, s10, 0x204
	s_wait_alu 0xfffe
	v_bfi_b32 v1, 0x7fffffff, v1, s28
	s_cselect_b32 vcc_lo, -1, 0
	s_cmp_lt_f32 s10, 0
	s_wait_alu 0xfffe
	s_delay_alu instid0(VALU_DEP_1) | instskip(SKIP_3) | instid1(VALU_DEP_1)
	v_cndmask_b32_e32 v2, 0x7fc00000, v1, vcc_lo
	s_cselect_b32 vcc_lo, -1, 0
	s_cmp_eq_f32 s10, 0
	s_wait_alu 0xfffe
	v_cndmask_b32_e32 v1, v1, v2, vcc_lo
	s_cselect_b32 s28, -1, 0
	s_wait_alu 0xfffe
	s_or_b32 vcc_lo, s28, s27
	s_cmp_lt_f32 s25, 0
	s_cselect_b32 s25, -1, 0
	s_wait_alu 0xfffe
	s_xor_b32 s25, s25, s28
	s_wait_alu 0xfffe
	s_and_b32 s25, s25, exec_lo
	s_cselect_b32 s25, 0, 0x7f800000
	s_and_b32 s26, s26, exec_lo
	s_cselect_b32 s26, s10, 0
	s_cmp_o_f32 s10, s10
	s_wait_alu 0xfffe
	v_mov_b32_e32 v2, s26
	s_delay_alu instid0(VALU_DEP_1) | instskip(NEXT) | instid1(VALU_DEP_1)
	v_bfi_b32 v2, 0x7fffffff, s25, v2
	v_cndmask_b32_e32 v1, v1, v2, vcc_lo
	s_cselect_b32 vcc_lo, -1, 0
	s_wait_alu 0xfffe
	s_delay_alu instid0(VALU_DEP_1)
	v_cndmask_b32_e32 v40, 0x7fc00000, v1, vcc_lo
.LBB71_4:
	v_bfe_u32 v35, v0, 10, 10
	s_lshl_b32 s10, ttmp9, 4
	s_load_b96 s[28:30], s[0:1], 0x70
	v_and_b32_e32 v27, 0x3ff, v0
	s_ashr_i32 s35, s34, 31
	v_dual_mov_b32 v43, 0 :: v_dual_lshlrev_b32 v24, 1, v35
	v_lshlrev_b32_e32 v42, 10, v35
	s_delay_alu instid0(VALU_DEP_3) | instskip(SKIP_1) | instid1(VALU_DEP_4)
	v_lshlrev_b32_e32 v31, 3, v27
	v_lshlrev_b32_e32 v25, 2, v27
	v_or_b32_e32 v22, 1, v24
	v_add_nc_u32_e32 v26, s10, v24
	s_mov_b32 s37, 0
	v_add_nc_u32_e32 v16, 0x4200, v31
	s_delay_alu instid0(VALU_DEP_3) | instskip(NEXT) | instid1(VALU_DEP_3)
	v_add_nc_u32_e32 v23, s10, v22
	v_mul_hi_u32 v1, v26, s20
	s_delay_alu instid0(VALU_DEP_3) | instskip(SKIP_1) | instid1(VALU_DEP_4)
	v_add_nc_u32_e32 v17, v16, v42
	v_lshl_add_u32 v16, v22, 9, v16
	v_mul_hi_u32 v2, v23, s20
	s_wait_kmcnt 0x0
	s_mul_i32 s26, s34, s29
	s_ashr_i32 s29, s28, 31
	s_wait_alu 0xfffe
	s_ashr_i32 s27, s26, 31
	s_lshr_b64 s[44:45], s[28:29], 2
	s_lshr_b32 s25, s29, 2
	s_mul_i32 s28, s36, s30
	v_add_nc_u32_e32 v2, v23, v2
	s_wait_alu 0xfffe
	s_ashr_i32 s29, s28, 31
	s_wait_alu 0xfffe
	s_add_nc_u64 s[4:5], s[4:5], s[28:29]
	s_ashr_i32 s28, s33, 31
	v_lshrrev_b32_e32 v3, s21, v2
	s_wait_alu 0xfffe
	s_add_nc_u64 s[4:5], s[4:5], s[26:27]
	s_cmp_eq_u64 s[14:15], 0
	s_delay_alu instid0(VALU_DEP_1) | instskip(NEXT) | instid1(VALU_DEP_1)
	v_mul_lo_u32 v3, v3, s22
	v_sub_nc_u32_e32 v6, v23, v3
	s_delay_alu instid0(VALU_DEP_1) | instskip(NEXT) | instid1(VALU_DEP_1)
	v_mad_co_u64_u32 v[4:5], null, s44, v6, 0
	v_dual_mov_b32 v0, v5 :: v_dual_add_nc_u32 v1, v26, v1
	s_delay_alu instid0(VALU_DEP_1) | instskip(NEXT) | instid1(VALU_DEP_1)
	v_lshrrev_b32_e32 v1, s21, v1
	v_mul_lo_u32 v1, v1, s22
	s_delay_alu instid0(VALU_DEP_1) | instskip(NEXT) | instid1(VALU_DEP_1)
	v_sub_nc_u32_e32 v41, v26, v1
	v_mad_co_u64_u32 v[1:2], null, s44, v41, 0
	s_delay_alu instid0(VALU_DEP_1) | instskip(SKIP_2) | instid1(VALU_DEP_1)
	v_mad_co_u64_u32 v[2:3], null, s25, v41, v[2:3]
	v_lshlrev_b32_e32 v3, 4, v27
	s_wait_alu 0xfffe
	v_add_co_u32 v10, s4, s4, v3
	s_delay_alu instid0(VALU_DEP_3)
	v_lshlrev_b64_e32 v[1:2], 2, v[1:2]
	s_wait_alu 0xf1ff
	v_add_co_ci_u32_e64 v11, null, s5, 0, s4
	s_mul_u64 s[4:5], s[40:41], s[42:43]
	v_mad_co_u64_u32 v[5:6], null, s25, v6, v[0:1]
	v_add_co_u32 v6, vcc_lo, v10, v1
	s_wait_alu 0xfffd
	v_add_co_ci_u32_e64 v7, null, v11, v2, vcc_lo
	s_delay_alu instid0(VALU_DEP_3)
	v_lshlrev_b64_e32 v[8:9], 2, v[4:5]
	s_clause 0x1
	global_load_b128 v[0:3], v[6:7], off
	global_load_b128 v[4:7], v[6:7], off offset:512
	v_add_co_u32 v12, vcc_lo, v10, v8
	s_wait_alu 0xfffd
	v_add_co_ci_u32_e64 v13, null, v11, v9, vcc_lo
	s_clause 0x1
	global_load_b128 v[8:11], v[12:13], off
	global_load_b128 v[12:15], v[12:13], off offset:512
	s_wait_loadcnt 0x3
	v_fma_mixlo_f16 v0, s24, v0, 0
	v_fma_mixlo_f16 v1, s24, v1, 0
	;; [unrolled: 1-line block ×4, first 2 shown]
	s_wait_loadcnt 0x2
	v_fma_mixlo_f16 v4, s24, v4, 0
	v_fma_mixlo_f16 v5, s24, v5, 0
	;; [unrolled: 1-line block ×4, first 2 shown]
	v_lshlrev_b32_e32 v1, 16, v1
	v_and_b32_e32 v0, 0xffff, v0
	v_lshlrev_b32_e32 v3, 16, v3
	v_and_b32_e32 v2, 0xffff, v2
	;; [unrolled: 2-line block ×3, first 2 shown]
	s_wait_loadcnt 0x1
	v_fma_mixlo_f16 v8, s24, v8, 0
	v_fma_mixlo_f16 v9, s24, v9, 0
	s_wait_loadcnt 0x0
	v_fma_mixlo_f16 v12, s24, v12, 0
	v_fma_mixlo_f16 v13, s24, v13, 0
	v_lshlrev_b32_e32 v7, 16, v7
	v_and_b32_e32 v6, 0xffff, v6
	v_fma_mixlo_f16 v10, s24, v10, 0
	v_fma_mixlo_f16 v11, s24, v11, 0
	;; [unrolled: 1-line block ×4, first 2 shown]
	v_or_b32_e32 v0, v1, v0
	v_or3_b32 v1, v3, v2, 0
	v_or_b32_e32 v2, v5, v4
	v_lshlrev_b32_e32 v4, 16, v9
	v_and_b32_e32 v5, 0xffff, v8
	v_lshlrev_b32_e32 v8, 16, v13
	v_and_b32_e32 v9, 0xffff, v12
	v_or3_b32 v3, v7, v6, 0
	v_lshlrev_b32_e32 v6, 16, v11
	v_and_b32_e32 v7, 0xffff, v10
	v_lshlrev_b32_e32 v10, 16, v15
	v_and_b32_e32 v11, 0xffff, v14
	v_or_b32_e32 v4, v4, v5
	v_or_b32_e32 v8, v8, v9
	v_or3_b32 v0, 0, 0, v0
	v_or3_b32 v2, 0, 0, v2
	;; [unrolled: 1-line block ×6, first 2 shown]
	ds_store_2addr_b64 v17, v[0:1], v[2:3] offset1:32
	ds_store_2addr_b64 v16, v[4:5], v[6:7] offset1:32
	s_wait_dscnt 0x0
	s_barrier_signal -1
	s_barrier_wait -1
	global_inv scope:SCOPE_SE
	s_cbranch_scc1 .LBB71_6
; %bb.5:
	s_load_b32 s2, s[0:1], 0xd0
	s_mov_b32 s25, s37
	s_wait_kmcnt 0x0
	s_mul_i32 s2, s2, s36
	s_delay_alu instid0(SALU_CYCLE_1)
	s_add_co_i32 s24, s2, ttmp9
	s_wait_alu 0xfffe
	s_lshl_b64 s[24:25], s[24:25], 2
	s_wait_alu 0xfffe
	s_add_nc_u64 s[14:15], s[14:15], s[24:25]
	s_load_b32 s2, s[14:15], 0x0
.LBB71_6:
	s_clause 0x2
	s_load_b64 s[14:15], s[0:1], 0x8c
	s_load_b128 s[24:27], s[0:1], 0x98
	s_load_b64 s[42:43], s[0:1], 0xa8
	s_mul_i32 s4, s5, s3
	s_ashr_i32 s30, s31, 1
	s_wait_alu 0xfffe
	s_sub_co_i32 s40, s40, s4
	s_xor_b32 s31, s35, s28
	s_add_co_i32 s33, s5, 1
	s_sub_co_i32 s41, s40, s3
	v_lshlrev_b32_e32 v37, 2, v25
	v_mul_u32_u24_e32 v44, 0x210, v27
	v_mbcnt_lo_u32_b32 v28, -1, 0
	s_wait_kmcnt 0x0
	s_ashr_i32 s4, s14, 2
	s_ashr_i32 s14, s26, 2
	s_cmp_ge_u32 s40, s3
	s_mul_u64 s[24:25], s[24:25], s[36:37]
	s_mul_u64 s[28:29], s[42:43], s[36:37]
	s_cselect_b32 s5, s33, s5
	s_wait_alu 0xfffe
	s_add_nc_u64 s[6:7], s[6:7], s[24:25]
	s_add_nc_u64 s[24:25], s[8:9], s[28:29]
	s_cselect_b32 s8, s41, s40
	s_add_co_i32 s9, s5, 1
	s_cmp_ge_u32 s8, s3
	v_mul_lo_u32 v2, s4, v35
	v_mul_lo_u32 v0, s14, v35
	s_cselect_b32 s5, s9, s5
	s_and_b32 s8, ttmp7, 0xffff
	s_wait_alu 0xfffe
	s_xor_b32 s5, s5, s31
	s_sub_co_i32 s3, s2, 32
	s_wait_alu 0xfffe
	s_sub_co_i32 s5, s5, s31
	s_lshl_b32 s26, s8, 5
	s_wait_alu 0xfffe
	s_mul_i32 s28, s5, s15
	s_mul_i32 s40, s5, s27
	v_ashrrev_i32_e32 v3, 31, v2
	v_ashrrev_i32_e32 v1, 31, v0
	s_wait_alu 0xfffe
	s_ashr_i32 s29, s28, 31
	s_ashr_i32 s41, s40, 31
	s_cmp_ge_i32 s26, s3
	s_wait_alu 0xfffe
	s_add_nc_u64 s[6:7], s[6:7], s[28:29]
	s_add_nc_u64 s[24:25], s[24:25], s[40:41]
	s_cbranch_scc1 .LBB71_24
; %bb.7:
	v_or_b32_e32 v6, 1, v26
	s_ashr_i32 s5, s4, 31
	s_lshl_b32 s15, s4, 3
	s_cmp_lg_u64 s[38:39], 0
	s_wait_alu 0xfffe
	v_dual_mov_b32 v33, 0 :: v_dual_add_nc_u32 v4, s15, v2
	v_mul_hi_u32 v5, s20, v6
	s_cselect_b32 s9, -1, 0
	s_lshl_b32 s27, s14, 3
	s_delay_alu instid0(VALU_DEP_2) | instskip(SKIP_2) | instid1(VALU_DEP_3)
	v_dual_mov_b32 v61, 0xfeffffff :: v_dual_add_nc_u32 v10, s15, v4
	s_wait_alu 0xfffe
	v_dual_mov_b32 v39, 0 :: v_dual_add_nc_u32 v16, s27, v0
	v_dual_mov_b32 v34, 0 :: v_dual_add_nc_u32 v5, v6, v5
	s_delay_alu instid0(VALU_DEP_3) | instskip(NEXT) | instid1(VALU_DEP_3)
	v_add_nc_u32_e32 v12, s15, v10
	v_add_nc_u32_e32 v18, s27, v16
	v_ashrrev_i32_e32 v17, 31, v16
	v_ashrrev_i32_e32 v11, 31, v10
	v_lshrrev_b32_e32 v5, s21, v5
	v_ashrrev_i32_e32 v13, 31, v12
	v_add_nc_u32_e32 v20, s27, v18
	v_ashrrev_i32_e32 v19, 31, v18
	v_mad_u32_u24 v46, 0x210, v35, v37
	v_mul_lo_u32 v7, v5, s22
	v_ashrrev_i32_e32 v5, 31, v4
	v_ashrrev_i32_e32 v21, 31, v20
	v_lshl_add_u32 v50, v35, 9, v37
	v_mul_lo_u32 v48, v41, s30
	v_lshlrev_b64_e32 v[10:11], 2, v[10:11]
	v_lshlrev_b64_e32 v[8:9], 2, v[4:5]
	;; [unrolled: 1-line block ×3, first 2 shown]
	v_sub_nc_u32_e32 v6, v6, v7
	v_lshlrev_b64_e32 v[14:15], 2, v[0:1]
	v_lshlrev_b64_e32 v[16:17], 2, v[16:17]
	;; [unrolled: 1-line block ×4, first 2 shown]
	v_mul_lo_u32 v57, v6, s30
	v_lshlrev_b64_e32 v[6:7], 2, v[2:3]
	v_dual_mov_b32 v32, 0 :: v_dual_add_nc_u32 v47, 0x4200, v42
	v_lshl_add_u32 v49, v35, 7, 0x6200
	v_dual_mov_b32 v59, 0 :: v_dual_mov_b32 v62, 0xfeffffff
	v_dual_mov_b32 v38, 0 :: v_dual_add_nc_u32 v51, 0x1080, v46
	v_dual_mov_b32 v29, 0 :: v_dual_add_nc_u32 v52, 0x2100, v46
	;; [unrolled: 1-line block ×3, first 2 shown]
	v_add_nc_u32_e32 v54, 0x1000, v50
	v_dual_mov_b32 v30, 0 :: v_dual_add_nc_u32 v55, 0x2000, v50
	v_add_nc_u32_e32 v56, 0x3000, v50
	v_mbcnt_lo_u32_b32 v58, -1, 0
	v_mov_b32_e32 v60, 0
	s_ashr_i32 s15, s14, 31
	s_add_nc_u64 s[28:29], s[0:1], 0xd0
	s_mov_b32 s31, 0xbbbac73d
.LBB71_8:                               ; =>This Inner Loop Header: Depth=1
	s_ashr_i32 s27, s26, 31
	s_wait_alu 0xfffe
	s_mul_u64 s[40:41], s[26:27], s[4:5]
	s_wait_alu 0xfffe
	s_lshl_b64 s[40:41], s[40:41], 2
	s_wait_alu 0xfffe
	s_add_nc_u64 s[40:41], s[6:7], s[40:41]
	s_wait_alu 0xfffe
	v_add_co_u32 v4, vcc_lo, s40, v6
	s_wait_alu 0xfffd
	v_add_co_ci_u32_e64 v5, null, s41, v7, vcc_lo
	v_add_co_u32 v43, vcc_lo, s40, v8
	s_wait_alu 0xfffd
	v_add_co_ci_u32_e64 v45, null, s41, v9, vcc_lo
	;; [unrolled: 3-line block ×8, first 2 shown]
	s_clause 0x3
	global_load_b128 v[63:66], v[4:5], off
	global_load_b128 v[67:70], v[67:68], off
	;; [unrolled: 1-line block ×4, first 2 shown]
	v_dual_mov_b32 v5, 0 :: v_dual_mov_b32 v4, 0
	s_wait_loadcnt 0x3
	ds_store_b128 v46, v[63:66]
	s_wait_loadcnt 0x2
	ds_store_b128 v51, v[67:70]
	;; [unrolled: 2-line block ×4, first 2 shown]
	s_wait_dscnt 0x0
	s_barrier_signal -1
	s_barrier_wait -1
	global_inv scope:SCOPE_SE
	ds_load_b128 v[63:66], v44
	ds_load_b128 v[67:70], v47
	ds_load_b128 v[71:74], v47 offset:512
	s_wait_dscnt 0x1
	;;#ASMSTART
	v_dot2_f32_f16 v5, v63, v67, v5
	;;#ASMEND
	;;#ASMSTART
	v_dot2_f32_f16 v5, v64, v68, v5
	;;#ASMEND
	;;#ASMSTART
	v_dot2_f32_f16 v5, v65, v69, v5
	;;#ASMEND
	;;#ASMSTART
	v_dot2_f32_f16 v5, v66, v70, v5
	;;#ASMEND
	s_wait_dscnt 0x0
	;;#ASMSTART
	v_dot2_f32_f16 v4, v63, v71, v4
	;;#ASMEND
	;;#ASMSTART
	v_dot2_f32_f16 v4, v64, v72, v4
	;;#ASMEND
	;;#ASMSTART
	v_dot2_f32_f16 v4, v65, v73, v4
	;;#ASMEND
	;;#ASMSTART
	v_dot2_f32_f16 v4, v66, v74, v4
	;;#ASMEND
	ds_load_b128 v[63:66], v44 offset:16
	ds_load_b128 v[67:70], v47 offset:16
	ds_load_b128 v[71:74], v47 offset:528
	s_wait_dscnt 0x1
	;;#ASMSTART
	v_dot2_f32_f16 v5, v63, v67, v5
	;;#ASMEND
	;;#ASMSTART
	v_dot2_f32_f16 v5, v64, v68, v5
	;;#ASMEND
	;;#ASMSTART
	v_dot2_f32_f16 v5, v65, v69, v5
	;;#ASMEND
	;;#ASMSTART
	v_dot2_f32_f16 v5, v66, v70, v5
	;;#ASMEND
	s_wait_dscnt 0x0
	;;#ASMSTART
	v_dot2_f32_f16 v4, v63, v71, v4
	;;#ASMEND
	;;#ASMSTART
	v_dot2_f32_f16 v4, v64, v72, v4
	;;#ASMEND
	;;#ASMSTART
	v_dot2_f32_f16 v4, v65, v73, v4
	;;#ASMEND
	;;#ASMSTART
	v_dot2_f32_f16 v4, v66, v74, v4
	;;#ASMEND
	ds_load_b128 v[63:66], v44 offset:32
	ds_load_b128 v[67:70], v47 offset:32
	;; [unrolled: 29-line block ×31, first 2 shown]
	ds_load_b128 v[71:74], v47 offset:1008
	s_wait_dscnt 0x1
	;;#ASMSTART
	v_dot2_f32_f16 v5, v63, v67, v5
	;;#ASMEND
	;;#ASMSTART
	v_dot2_f32_f16 v5, v64, v68, v5
	;;#ASMEND
	;; [unrolled: 3-line block ×4, first 2 shown]
	v_cmp_ngt_f32_e64 s33, 0x3f200000, |v5|
	s_wait_dscnt 0x0
	;;#ASMSTART
	v_dot2_f32_f16 v4, v63, v71, v4
	;;#ASMEND
	;;#ASMSTART
	v_dot2_f32_f16 v4, v64, v72, v4
	;;#ASMEND
	;; [unrolled: 3-line block ×4, first 2 shown]
                                        ; implicit-def: $vgpr63
	s_and_saveexec_b32 s37, s33
	s_delay_alu instid0(SALU_CYCLE_1)
	s_xor_b32 s33, exec_lo, s37
	s_cbranch_execnz .LBB71_12
; %bb.9:                                ;   in Loop: Header=BB71_8 Depth=1
	s_and_not1_saveexec_b32 s33, s33
	s_cbranch_execnz .LBB71_13
.LBB71_10:                              ;   in Loop: Header=BB71_8 Depth=1
	s_or_b32 exec_lo, exec_lo, s33
	v_add_nc_u32_e32 v45, s26, v27
	s_and_not1_b32 vcc_lo, exec_lo, s9
	s_wait_alu 0xfffe
	s_cbranch_vccnz .LBB71_14
.LBB71_11:                              ;   in Loop: Header=BB71_8 Depth=1
	s_delay_alu instid0(VALU_DEP_1) | instskip(NEXT) | instid1(VALU_DEP_1)
	v_add_nc_u32_e32 v64, v45, v48
	v_ashrrev_i32_e32 v65, 31, v64
	s_delay_alu instid0(VALU_DEP_1) | instskip(NEXT) | instid1(VALU_DEP_1)
	v_lshlrev_b64_e32 v[64:65], 1, v[64:65]
	v_add_co_u32 v64, vcc_lo, s38, v64
	s_wait_alu 0xfffd
	s_delay_alu instid0(VALU_DEP_2) | instskip(SKIP_3) | instid1(VALU_DEP_1)
	v_add_co_ci_u32_e64 v65, null, s39, v65, vcc_lo
	global_load_u16 v43, v[64:65], off
	s_wait_loadcnt 0x0
	v_cvt_f32_f16_e32 v43, v43
	v_mul_f32_e32 v43, v40, v43
	s_branch .LBB71_15
.LBB71_12:                              ;   in Loop: Header=BB71_8 Depth=1
	v_add_f32_e64 v43, |v5|, |v5|
	s_delay_alu instid0(VALU_DEP_1) | instskip(SKIP_1) | instid1(VALU_DEP_2)
	v_mul_f32_e32 v45, 0x3fb8aa3b, v43
	v_cmp_ngt_f32_e32 vcc_lo, 0xc2ce8ed0, v43
	v_rndne_f32_e32 v63, v45
	v_fma_f32 v64, 0x3fb8aa3b, v43, -v45
	s_delay_alu instid0(VALU_DEP_2) | instskip(NEXT) | instid1(VALU_DEP_2)
	v_sub_f32_e32 v45, v45, v63
	v_fmac_f32_e32 v64, 0x32a5705f, v43
	v_cvt_i32_f32_e32 v63, v63
	s_delay_alu instid0(VALU_DEP_2) | instskip(NEXT) | instid1(VALU_DEP_1)
	v_add_f32_e32 v45, v45, v64
	v_exp_f32_e32 v45, v45
	s_delay_alu instid0(TRANS32_DEP_1) | instskip(SKIP_1) | instid1(VALU_DEP_1)
	v_ldexp_f32 v45, v45, v63
	s_wait_alu 0xfffd
	v_cndmask_b32_e32 v45, 0, v45, vcc_lo
	v_cmp_nlt_f32_e32 vcc_lo, 0x42b17218, v43
	s_wait_alu 0xfffd
	s_delay_alu instid0(VALU_DEP_2) | instskip(NEXT) | instid1(VALU_DEP_1)
	v_cndmask_b32_e32 v43, 0x7f800000, v45, vcc_lo
	v_add_f32_e32 v43, 1.0, v43
	s_delay_alu instid0(VALU_DEP_1) | instskip(NEXT) | instid1(TRANS32_DEP_1)
	v_rcp_f32_e32 v43, v43
	v_fma_f32 v63, v43, -2.0, 1.0
	s_and_not1_saveexec_b32 s33, s33
	s_cbranch_execz .LBB71_10
.LBB71_13:                              ;   in Loop: Header=BB71_8 Depth=1
	v_mul_f32_e32 v43, v5, v5
	s_delay_alu instid0(VALU_DEP_1) | instskip(NEXT) | instid1(VALU_DEP_1)
	v_fmaak_f32 v45, s31, v43, 0x3ca908c9
	v_fmaak_f32 v45, v43, v45, 0xbd5c1c4e
	s_delay_alu instid0(VALU_DEP_1) | instskip(NEXT) | instid1(VALU_DEP_1)
	v_fmaak_f32 v45, v43, v45, 0x3e088382
	v_fmaak_f32 v45, v43, v45, 0xbeaaaa99
	s_delay_alu instid0(VALU_DEP_1) | instskip(NEXT) | instid1(VALU_DEP_1)
	v_mul_f32_e64 v45, |v5|, v45
	v_fma_f32 v63, v43, v45, |v5|
	s_or_b32 exec_lo, exec_lo, s33
	v_add_nc_u32_e32 v45, s26, v27
	s_and_not1_b32 vcc_lo, exec_lo, s9
	s_wait_alu 0xfffe
	s_cbranch_vccz .LBB71_11
.LBB71_14:                              ;   in Loop: Header=BB71_8 Depth=1
	v_mov_b32_e32 v43, 0
.LBB71_15:                              ;   in Loop: Header=BB71_8 Depth=1
	v_bfi_b32 v5, 0x7fffffff, v63, v5
	v_xor_b32_e32 v63, 16, v58
	v_xor_b32_e32 v65, 8, v58
	v_cmp_ngt_f32_e64 s33, 0x3f200000, |v4|
	s_delay_alu instid0(VALU_DEP_4) | instskip(NEXT) | instid1(VALU_DEP_4)
	v_dual_max_num_f32 v64, v62, v62 :: v_dual_fmac_f32 v43, s11, v5
	v_cmp_gt_i32_e32 vcc_lo, 32, v63
	s_wait_alu 0xfffd
	v_cndmask_b32_e32 v5, v58, v63, vcc_lo
	s_delay_alu instid0(VALU_DEP_3) | instskip(SKIP_1) | instid1(VALU_DEP_2)
	v_add_f32_e32 v63, 0x40051340, v43
	v_cmp_gt_i32_e32 vcc_lo, 32, v65
	v_dual_max_num_f32 v64, v64, v63 :: v_dual_lshlrev_b32 v5, 2, v5
	ds_bpermute_b32 v63, v5, v64
	s_wait_dscnt 0x0
	s_wait_alu 0xfffd
	v_dual_cndmask_b32 v65, v58, v65 :: v_dual_max_num_f32 v66, v63, v63
	s_delay_alu instid0(VALU_DEP_1) | instskip(NEXT) | instid1(VALU_DEP_2)
	v_lshlrev_b32_e32 v63, 2, v65
	v_max_num_f32_e32 v65, v64, v66
	v_xor_b32_e32 v66, 4, v58
	ds_bpermute_b32 v64, v63, v65
	v_cmp_gt_i32_e32 vcc_lo, 32, v66
	s_wait_dscnt 0x0
	s_wait_alu 0xfffd
	v_dual_cndmask_b32 v66, v58, v66 :: v_dual_max_num_f32 v67, v64, v64
	s_delay_alu instid0(VALU_DEP_1) | instskip(NEXT) | instid1(VALU_DEP_2)
	v_lshlrev_b32_e32 v64, 2, v66
	v_max_num_f32_e32 v66, v65, v67
	v_xor_b32_e32 v67, 2, v58
	ds_bpermute_b32 v65, v64, v66
	v_cmp_gt_i32_e32 vcc_lo, 32, v67
	s_wait_dscnt 0x0
	s_wait_alu 0xfffd
	v_dual_cndmask_b32 v67, v58, v67 :: v_dual_max_num_f32 v68, v65, v65
	s_delay_alu instid0(VALU_DEP_1) | instskip(SKIP_1) | instid1(VALU_DEP_1)
	v_max_num_f32_e32 v66, v66, v68
	v_xor_b32_e32 v68, 1, v58
	v_cmp_gt_i32_e32 vcc_lo, 32, v68
	s_wait_alu 0xfffd
	v_dual_cndmask_b32 v68, v58, v68 :: v_dual_lshlrev_b32 v65, 2, v67
	ds_bpermute_b32 v67, v65, v66
	s_wait_dscnt 0x0
	v_max_num_f32_e32 v69, v67, v67
	s_delay_alu instid0(VALU_DEP_1) | instskip(SKIP_2) | instid1(SALU_CYCLE_1)
	v_dual_max_num_f32 v66, v66, v69 :: v_dual_lshlrev_b32 v67, 2, v68
                                        ; implicit-def: $vgpr69
	ds_bpermute_b32 v68, v67, v66
	s_and_saveexec_b32 s37, s33
	s_xor_b32 s33, exec_lo, s37
	s_cbranch_execnz .LBB71_19
; %bb.16:                               ;   in Loop: Header=BB71_8 Depth=1
	s_and_not1_saveexec_b32 s33, s33
	s_cbranch_execnz .LBB71_20
.LBB71_17:                              ;   in Loop: Header=BB71_8 Depth=1
	s_or_b32 exec_lo, exec_lo, s33
	s_delay_alu instid0(SALU_CYCLE_1)
	s_and_not1_b32 vcc_lo, exec_lo, s9
	s_wait_alu 0xfffe
	s_cbranch_vccnz .LBB71_21
.LBB71_18:                              ;   in Loop: Header=BB71_8 Depth=1
	v_add_nc_u32_e32 v70, v45, v57
	s_delay_alu instid0(VALU_DEP_1) | instskip(NEXT) | instid1(VALU_DEP_1)
	v_ashrrev_i32_e32 v71, 31, v70
	v_lshlrev_b64_e32 v[70:71], 1, v[70:71]
	s_delay_alu instid0(VALU_DEP_1) | instskip(SKIP_1) | instid1(VALU_DEP_2)
	v_add_co_u32 v70, vcc_lo, s38, v70
	s_wait_alu 0xfffd
	v_add_co_ci_u32_e64 v71, null, s39, v71, vcc_lo
	global_load_u16 v45, v[70:71], off
	s_wait_loadcnt 0x0
	v_cvt_f32_f16_e32 v45, v45
	s_delay_alu instid0(VALU_DEP_1)
	v_mul_f32_e32 v45, v40, v45
	s_branch .LBB71_22
.LBB71_19:                              ;   in Loop: Header=BB71_8 Depth=1
	v_add_f32_e64 v69, |v4|, |v4|
	s_delay_alu instid0(VALU_DEP_1) | instskip(SKIP_1) | instid1(VALU_DEP_2)
	v_mul_f32_e32 v70, 0x3fb8aa3b, v69
	v_cmp_ngt_f32_e32 vcc_lo, 0xc2ce8ed0, v69
	v_rndne_f32_e32 v71, v70
	v_fma_f32 v72, 0x3fb8aa3b, v69, -v70
	s_delay_alu instid0(VALU_DEP_2) | instskip(NEXT) | instid1(VALU_DEP_2)
	v_sub_f32_e32 v70, v70, v71
	v_fmac_f32_e32 v72, 0x32a5705f, v69
	v_cvt_i32_f32_e32 v71, v71
	s_delay_alu instid0(VALU_DEP_2) | instskip(NEXT) | instid1(VALU_DEP_1)
	v_add_f32_e32 v70, v70, v72
	v_exp_f32_e32 v70, v70
	s_delay_alu instid0(TRANS32_DEP_1) | instskip(SKIP_1) | instid1(VALU_DEP_1)
	v_ldexp_f32 v70, v70, v71
	s_wait_alu 0xfffd
	v_cndmask_b32_e32 v70, 0, v70, vcc_lo
	v_cmp_nlt_f32_e32 vcc_lo, 0x42b17218, v69
	s_wait_alu 0xfffd
	s_delay_alu instid0(VALU_DEP_2) | instskip(NEXT) | instid1(VALU_DEP_1)
	v_cndmask_b32_e32 v69, 0x7f800000, v70, vcc_lo
	v_add_f32_e32 v69, 1.0, v69
	s_delay_alu instid0(VALU_DEP_1) | instskip(NEXT) | instid1(TRANS32_DEP_1)
	v_rcp_f32_e32 v69, v69
	v_fma_f32 v69, v69, -2.0, 1.0
	s_and_not1_saveexec_b32 s33, s33
	s_cbranch_execz .LBB71_17
.LBB71_20:                              ;   in Loop: Header=BB71_8 Depth=1
	v_mul_f32_e32 v69, v4, v4
	s_delay_alu instid0(VALU_DEP_1) | instskip(NEXT) | instid1(VALU_DEP_1)
	v_fmaak_f32 v70, s31, v69, 0x3ca908c9
	v_fmaak_f32 v70, v69, v70, 0xbd5c1c4e
	s_delay_alu instid0(VALU_DEP_1) | instskip(NEXT) | instid1(VALU_DEP_1)
	v_fmaak_f32 v70, v69, v70, 0x3e088382
	v_fmaak_f32 v70, v69, v70, 0xbeaaaa99
	s_delay_alu instid0(VALU_DEP_1) | instskip(NEXT) | instid1(VALU_DEP_1)
	v_mul_f32_e64 v70, |v4|, v70
	v_fma_f32 v69, v69, v70, |v4|
	s_or_b32 exec_lo, exec_lo, s33
	s_delay_alu instid0(SALU_CYCLE_1)
	s_and_not1_b32 vcc_lo, exec_lo, s9
	s_wait_alu 0xfffe
	s_cbranch_vccz .LBB71_18
.LBB71_21:                              ;   in Loop: Header=BB71_8 Depth=1
	v_mov_b32_e32 v45, 0
.LBB71_22:                              ;   in Loop: Header=BB71_8 Depth=1
	s_mul_u64 s[40:41], s[26:27], s[14:15]
	s_wait_loadcnt_dscnt 0x0
	s_wait_alu 0xfffe
	s_lshl_b64 s[40:41], s[40:41], 2
	s_barrier_signal -1
	s_wait_alu 0xfffe
	s_add_nc_u64 s[40:41], s[24:25], s[40:41]
	s_barrier_wait -1
	s_wait_alu 0xfffe
	v_add_co_u32 v70, vcc_lo, s40, v14
	s_wait_alu 0xfffd
	v_add_co_ci_u32_e64 v71, null, s41, v15, vcc_lo
	v_add_co_u32 v72, vcc_lo, s40, v16
	s_wait_alu 0xfffd
	v_add_co_ci_u32_e64 v73, null, s41, v17, vcc_lo
	;; [unrolled: 3-line block ×8, first 2 shown]
	global_inv scope:SCOPE_SE
	s_clause 0x3
	global_load_b128 v[70:73], v[70:71], off
	global_load_b128 v[74:77], v[74:75], off
	;; [unrolled: 1-line block ×4, first 2 shown]
	v_bfi_b32 v4, 0x7fffffff, v69, v4
	v_add_nc_u32_e32 v178, 0x2800, v31
	v_add_nc_u32_e32 v106, 0x800, v31
	s_delay_alu instid0(VALU_DEP_3) | instskip(SKIP_1) | instid1(VALU_DEP_2)
	v_dual_fmac_f32 v45, s11, v4 :: v_dual_add_nc_u32 v122, 0x1000, v31
	v_max_num_f32_e32 v4, v61, v61
	v_add_f32_e32 v69, 0x40051340, v45
	s_delay_alu instid0(VALU_DEP_1) | instskip(SKIP_3) | instid1(VALU_DEP_1)
	v_max_num_f32_e32 v4, v4, v69
	ds_bpermute_b32 v5, v5, v4
	s_wait_dscnt 0x0
	v_max_num_f32_e32 v5, v5, v5
	v_max_num_f32_e32 v4, v4, v5
	ds_bpermute_b32 v5, v63, v4
	s_wait_dscnt 0x0
	v_max_num_f32_e32 v5, v5, v5
	s_delay_alu instid0(VALU_DEP_1) | instskip(SKIP_3) | instid1(VALU_DEP_1)
	v_max_num_f32_e32 v4, v4, v5
	ds_bpermute_b32 v5, v64, v4
	s_wait_dscnt 0x0
	v_dual_max_num_f32 v64, v66, v66 :: v_dual_max_num_f32 v5, v5, v5
	v_max_num_f32_e32 v4, v4, v5
	ds_bpermute_b32 v5, v65, v4
	s_wait_dscnt 0x0
	v_max_num_f32_e32 v5, v5, v5
	s_delay_alu instid0(VALU_DEP_1) | instskip(SKIP_1) | instid1(VALU_DEP_1)
	v_max_num_f32_e32 v5, v4, v5
	v_max_num_f32_e32 v4, v68, v68
	v_max_num_f32_e32 v4, v64, v4
	s_delay_alu instid0(VALU_DEP_1) | instskip(SKIP_1) | instid1(VALU_DEP_2)
	v_sub_f32_e32 v43, v43, v4
	v_sub_f32_e32 v62, v62, v4
	v_mul_f32_e32 v66, 0x3fb8aa3b, v43
	ds_bpermute_b32 v63, v67, v5
	v_mul_f32_e32 v64, 0x3fb8aa3b, v62
	v_cmp_ngt_f32_e32 vcc_lo, 0xc2ce8ed0, v62
	v_fma_f32 v68, 0x3fb8aa3b, v43, -v66
	v_rndne_f32_e32 v69, v66
	s_delay_alu instid0(VALU_DEP_4) | instskip(NEXT) | instid1(VALU_DEP_1)
	v_fma_f32 v67, 0x3fb8aa3b, v62, -v64
	v_dual_fmac_f32 v68, 0x32a5705f, v43 :: v_dual_fmac_f32 v67, 0x32a5705f, v62
	s_wait_dscnt 0x0
	v_max_num_f32_e32 v63, v63, v63
	s_delay_alu instid0(VALU_DEP_1) | instskip(SKIP_2) | instid1(VALU_DEP_2)
	v_max_num_f32_e32 v5, v5, v63
	v_rndne_f32_e32 v63, v64
	v_add_nc_u32_e32 v65, v49, v25
	v_dual_sub_f32 v61, v61, v5 :: v_dual_sub_f32 v64, v64, v63
	v_sub_f32_e32 v86, v45, v5
	v_sub_f32_e32 v45, v66, v69
	v_cvt_i32_f32_e32 v63, v63
	s_delay_alu instid0(VALU_DEP_4) | instskip(NEXT) | instid1(VALU_DEP_4)
	v_mul_f32_e32 v66, 0x3fb8aa3b, v61
	v_dual_add_f32 v64, v64, v67 :: v_dual_mul_f32 v87, 0x3fb8aa3b, v86
	s_delay_alu instid0(VALU_DEP_4) | instskip(NEXT) | instid1(VALU_DEP_3)
	v_add_f32_e32 v45, v45, v68
	v_fma_f32 v67, 0x3fb8aa3b, v61, -v66
	v_rndne_f32_e32 v68, v66
	s_delay_alu instid0(VALU_DEP_4) | instskip(SKIP_4) | instid1(VALU_DEP_2)
	v_fma_f32 v88, 0x3fb8aa3b, v86, -v87
	v_rndne_f32_e32 v89, v87
	v_exp_f32_e32 v45, v45
	v_fmac_f32_e32 v67, 0x32a5705f, v61
	v_exp_f32_e32 v64, v64
	v_dual_sub_f32 v66, v66, v68 :: v_dual_sub_f32 v87, v87, v89
	v_cvt_i32_f32_e32 v68, v68
	s_delay_alu instid0(VALU_DEP_2) | instskip(NEXT) | instid1(TRANS32_DEP_1)
	v_add_f32_e32 v66, v66, v67
	v_ldexp_f32 v63, v64, v63
	v_fmac_f32_e32 v88, 0x32a5705f, v86
	s_delay_alu instid0(VALU_DEP_3)
	v_exp_f32_e32 v64, v66
	v_cvt_i32_f32_e32 v66, v69
	s_wait_alu 0xfffd
	v_cndmask_b32_e32 v63, 0, v63, vcc_lo
	v_add_f32_e32 v67, v87, v88
	v_cmp_nlt_f32_e32 vcc_lo, 0x42b17218, v62
	v_ldexp_f32 v45, v45, v66
	v_cvt_i32_f32_e32 v66, v89
	s_delay_alu instid0(VALU_DEP_4)
	v_exp_f32_e32 v67, v67
	s_wait_alu 0xfffd
	v_cndmask_b32_e32 v62, 0x7f800000, v63, vcc_lo
	v_cmp_ngt_f32_e32 vcc_lo, 0xc2ce8ed0, v43
	v_add_nc_u32_e32 v138, 0x1800, v31
	v_ldexp_f32 v63, v64, v68
	s_wait_alu 0xfffd
	v_cndmask_b32_e32 v45, 0, v45, vcc_lo
	v_cmp_ngt_f32_e32 vcc_lo, 0xc2ce8ed0, v61
	s_delay_alu instid0(TRANS32_DEP_1)
	v_ldexp_f32 v64, v67, v66
	v_cvt_f16_f32_e32 v66, v62
	s_wait_alu 0xfffd
	v_cndmask_b32_e32 v63, 0, v63, vcc_lo
	v_cmp_ngt_f32_e32 vcc_lo, 0xc2ce8ed0, v86
	s_wait_alu 0xfffd
	v_cndmask_b32_e32 v64, 0, v64, vcc_lo
	v_cmp_nlt_f32_e32 vcc_lo, 0x42b17218, v61
	v_and_b32_e32 v61, 0xffff, v66
	s_wait_alu 0xfffd
	v_cndmask_b32_e32 v63, 0x7f800000, v63, vcc_lo
	v_cmp_nlt_f32_e32 vcc_lo, 0x42b17218, v43
	s_delay_alu instid0(VALU_DEP_3)
	v_mul_u32_u24_e32 v202, 0x10001, v61
	v_add_nc_u32_e32 v61, 0x3000, v31
	s_wait_alu 0xfffd
	v_cndmask_b32_e32 v45, 0x7f800000, v45, vcc_lo
	v_cmp_nlt_f32_e32 vcc_lo, 0x42b17218, v86
	v_add_nc_u32_e32 v154, 0x2000, v31
	v_pk_mul_f16 v39, v39, v202
	v_pk_mul_f16 v36, v36, v202
	v_cvt_f16_f32_e32 v66, v45
	s_wait_alu 0xfffd
	v_cndmask_b32_e32 v43, 0x7f800000, v64, vcc_lo
	v_cvt_f16_f32_e32 v64, v63
	v_fmac_f32_e32 v45, v59, v62
	v_pk_mul_f16 v38, v38, v202
	s_delay_alu instid0(VALU_DEP_4) | instskip(NEXT) | instid1(VALU_DEP_4)
	v_cvt_f16_f32_e32 v67, v43
	v_dual_fmac_f32 v43, v60, v63 :: v_dual_and_b32 v64, 0xffff, v64
	s_delay_alu instid0(VALU_DEP_2) | instskip(NEXT) | instid1(VALU_DEP_2)
	v_pack_b32_f16 v59, v66, v67
	v_mul_u32_u24_e32 v203, 0x10001, v64
	ds_store_b32 v65, v59
	v_pk_mul_f16 v34, v34, v203
	v_pk_mul_f16 v33, v33, v203
	;; [unrolled: 1-line block ×3, first 2 shown]
	s_wait_loadcnt 0x3
	ds_store_b128 v50, v[70:73]
	s_wait_loadcnt 0x2
	ds_store_b128 v54, v[74:77]
	;; [unrolled: 2-line block ×4, first 2 shown]
	s_wait_dscnt 0x0
	s_barrier_signal -1
	s_barrier_wait -1
	global_inv scope:SCOPE_SE
	ds_load_2addr_b64 v[62:65], v31 offset1:32
	ds_load_b128 v[66:69], v49
	ds_load_b128 v[70:73], v49 offset:16
	ds_load_b128 v[74:77], v49 offset:32
	ds_load_b128 v[78:81], v49 offset:48
	ds_load_2addr_b64 v[82:85], v31 offset0:64 offset1:96
	ds_load_2addr_b64 v[86:89], v31 offset0:128 offset1:160
	ds_load_2addr_b64 v[90:93], v31 offset0:192 offset1:224
	ds_load_2addr_b64 v[94:97], v106 offset1:32
	ds_load_2addr_b64 v[98:101], v106 offset0:64 offset1:96
	ds_load_2addr_b64 v[102:105], v106 offset0:128 offset1:160
	ds_load_2addr_b64 v[106:109], v106 offset0:192 offset1:224
	ds_load_2addr_b64 v[110:113], v122 offset1:32
	;; [unrolled: 4-line block ×5, first 2 shown]
	ds_load_b128 v[162:165], v49 offset:64
	ds_load_b128 v[166:169], v49 offset:80
	ds_load_2addr_b64 v[170:173], v178 offset0:64 offset1:96
	ds_load_2addr_b64 v[174:177], v178 offset0:128 offset1:160
	;; [unrolled: 1-line block ×3, first 2 shown]
	ds_load_2addr_b64 v[182:185], v61 offset1:32
	ds_load_2addr_b64 v[186:189], v61 offset0:64 offset1:96
	ds_load_2addr_b64 v[190:193], v61 offset0:128 offset1:160
	ds_load_b128 v[194:197], v49 offset:96
	ds_load_b128 v[198:201], v49 offset:112
	s_wait_dscnt 0x21
	v_lshrrev_b32_e32 v59, 16, v66
	v_and_b32_e32 v60, 0xffff, v66
	v_lshrrev_b32_e32 v66, 16, v67
	v_and_b32_e32 v67, 0xffff, v67
	v_lshrrev_b32_e32 v204, 16, v68
	v_mul_u32_u24_e32 v59, 0x10001, v59
	v_mul_u32_u24_e32 v60, 0x10001, v60
	v_and_b32_e32 v68, 0xffff, v68
	v_mul_u32_u24_e32 v67, 0x10001, v67
	v_mul_u32_u24_e32 v66, 0x10001, v66
	v_pk_fma_f16 v34, v63, v59, v34
	v_pk_fma_f16 v39, v63, v60, v39
	;; [unrolled: 1-line block ×4, first 2 shown]
	v_pk_mul_f16 v60, v62, v60
	v_pk_mul_f16 v62, v62, v59
	v_pk_fma_f16 v33, v64, v59, v33
	v_pk_fma_f16 v32, v65, v59, v32
	v_lshrrev_b32_e32 v205, 16, v69
	v_pk_fma_f16 v30, v30, v202, v60
	v_pk_fma_f16 v29, v29, v203, v62
	v_and_b32_e32 v69, 0xffff, v69
	v_mul_u32_u24_e32 v68, 0x10001, v68
	v_mul_u32_u24_e32 v204, 0x10001, v204
	s_wait_dscnt 0x1d
	v_pk_fma_f16 v30, v82, v67, v30
	v_pk_fma_f16 v29, v82, v66, v29
	v_pk_fma_f16 v39, v83, v67, v39
	v_pk_fma_f16 v34, v83, v66, v34
	v_pk_fma_f16 v36, v84, v67, v36
	v_pk_fma_f16 v33, v84, v66, v33
	v_pk_fma_f16 v38, v85, v67, v38
	v_pk_fma_f16 v32, v85, v66, v32
	v_lshrrev_b32_e32 v206, 16, v70
	v_and_b32_e32 v70, 0xffff, v70
	v_mul_u32_u24_e32 v69, 0x10001, v69
	v_mul_u32_u24_e32 v205, 0x10001, v205
	s_wait_dscnt 0x1c
	v_pk_fma_f16 v30, v86, v68, v30
	v_pk_fma_f16 v29, v86, v204, v29
	v_pk_fma_f16 v39, v87, v68, v39
	v_pk_fma_f16 v36, v88, v68, v36
	v_pk_fma_f16 v38, v89, v68, v38
	v_pk_fma_f16 v34, v87, v204, v34
	v_pk_fma_f16 v33, v88, v204, v33
	v_pk_fma_f16 v32, v89, v204, v32
	v_lshrrev_b32_e32 v207, 16, v71
	;; [unrolled: 13-line block ×12, first 2 shown]
	v_and_b32_e32 v81, 0xffff, v81
	v_mul_u32_u24_e32 v80, 0x10001, v80
	v_mul_u32_u24_e32 v216, 0x10001, v216
	s_wait_dscnt 0x11
	v_pk_fma_f16 v30, v130, v79, v30
	v_pk_fma_f16 v29, v130, v215, v29
	;; [unrolled: 1-line block ×8, first 2 shown]
	s_wait_dscnt 0x9
	v_lshrrev_b32_e32 v218, 16, v162
	v_and_b32_e32 v162, 0xffff, v162
	v_mul_u32_u24_e32 v81, 0x10001, v81
	v_mul_u32_u24_e32 v217, 0x10001, v217
	v_pk_fma_f16 v30, v134, v80, v30
	v_pk_fma_f16 v29, v134, v216, v29
	v_pk_fma_f16 v39, v135, v80, v39
	v_pk_fma_f16 v34, v135, v216, v34
	v_pk_fma_f16 v36, v136, v80, v36
	v_pk_fma_f16 v33, v136, v216, v33
	v_pk_fma_f16 v38, v137, v80, v38
	v_pk_fma_f16 v32, v137, v216, v32
	v_lshrrev_b32_e32 v219, 16, v163
	v_and_b32_e32 v163, 0xffff, v163
	v_mul_u32_u24_e32 v162, 0x10001, v162
	v_mul_u32_u24_e32 v218, 0x10001, v218
	v_pk_fma_f16 v30, v138, v81, v30
	v_pk_fma_f16 v29, v138, v217, v29
	v_pk_fma_f16 v39, v139, v81, v39
	v_pk_fma_f16 v34, v139, v217, v34
	v_pk_fma_f16 v36, v140, v81, v36
	v_pk_fma_f16 v33, v140, v217, v33
	v_pk_fma_f16 v38, v141, v81, v38
	v_pk_fma_f16 v32, v141, v217, v32
	;; [unrolled: 12-line block ×4, first 2 shown]
	s_wait_dscnt 0x8
	v_lshrrev_b32_e32 v222, 16, v166
	v_and_b32_e32 v166, 0xffff, v166
	v_mul_u32_u24_e32 v165, 0x10001, v165
	v_mul_u32_u24_e32 v221, 0x10001, v221
	v_pk_fma_f16 v30, v150, v164, v30
	v_pk_fma_f16 v29, v150, v220, v29
	v_pk_fma_f16 v39, v151, v164, v39
	v_pk_fma_f16 v34, v151, v220, v34
	v_pk_fma_f16 v36, v152, v164, v36
	v_pk_fma_f16 v33, v152, v220, v33
	v_pk_fma_f16 v38, v153, v164, v38
	v_pk_fma_f16 v32, v153, v220, v32
	v_lshrrev_b32_e32 v223, 16, v167
	v_and_b32_e32 v167, 0xffff, v167
	v_mul_u32_u24_e32 v166, 0x10001, v166
	v_mul_u32_u24_e32 v222, 0x10001, v222
	v_pk_fma_f16 v30, v154, v165, v30
	v_pk_fma_f16 v29, v154, v221, v29
	v_pk_fma_f16 v39, v155, v165, v39
	v_pk_fma_f16 v34, v155, v221, v34
	v_pk_fma_f16 v36, v156, v165, v36
	v_pk_fma_f16 v33, v156, v221, v33
	v_pk_fma_f16 v38, v157, v165, v38
	v_pk_fma_f16 v32, v157, v221, v32
	;; [unrolled: 12-line block ×3, first 2 shown]
	v_lshrrev_b32_e32 v225, 16, v169
	v_and_b32_e32 v169, 0xffff, v169
	v_mul_u32_u24_e32 v168, 0x10001, v168
	v_mul_u32_u24_e32 v224, 0x10001, v224
	s_wait_dscnt 0x7
	v_pk_fma_f16 v30, v170, v167, v30
	v_pk_fma_f16 v29, v170, v223, v29
	;; [unrolled: 1-line block ×8, first 2 shown]
	s_wait_dscnt 0x1
	v_lshrrev_b32_e32 v226, 16, v194
	v_and_b32_e32 v194, 0xffff, v194
	v_mul_u32_u24_e32 v169, 0x10001, v169
	v_mul_u32_u24_e32 v225, 0x10001, v225
	v_pk_fma_f16 v30, v174, v168, v30
	v_pk_fma_f16 v29, v174, v224, v29
	;; [unrolled: 1-line block ×8, first 2 shown]
	v_lshrrev_b32_e32 v227, 16, v195
	v_and_b32_e32 v195, 0xffff, v195
	v_mul_u32_u24_e32 v194, 0x10001, v194
	v_mul_u32_u24_e32 v226, 0x10001, v226
	v_pk_fma_f16 v30, v178, v169, v30
	v_pk_fma_f16 v29, v178, v225, v29
	ds_load_2addr_b64 v[59:62], v61 offset0:192 offset1:224
	v_pk_fma_f16 v39, v179, v169, v39
	v_pk_fma_f16 v34, v179, v225, v34
	;; [unrolled: 1-line block ×6, first 2 shown]
	v_and_b32_e32 v228, 0xffff, v196
	v_mul_u32_u24_e32 v195, 0x10001, v195
	v_mul_u32_u24_e32 v227, 0x10001, v227
	v_pk_fma_f16 v30, v182, v194, v30
	v_pk_fma_f16 v29, v182, v226, v29
	v_lshrrev_b32_e32 v63, 16, v196
	v_add_nc_u32_e32 v71, 0x3800, v31
	v_pk_fma_f16 v39, v183, v194, v39
	v_pk_fma_f16 v34, v183, v226, v34
	v_pk_fma_f16 v36, v184, v194, v36
	v_pk_fma_f16 v33, v184, v226, v33
	v_pk_fma_f16 v38, v185, v194, v38
	v_pk_fma_f16 v32, v185, v226, v32
	v_pk_fma_f16 v30, v186, v195, v30
	v_pk_fma_f16 v29, v186, v227, v29
	v_mul_u32_u24_e32 v67, 0x10001, v228
	v_mul_u32_u24_e32 v68, 0x10001, v63
	v_and_b32_e32 v69, 0xffff, v197
	v_lshrrev_b32_e32 v70, 16, v197
	ds_load_2addr_b64 v[63:66], v71 offset1:32
	v_pk_fma_f16 v39, v187, v195, v39
	v_pk_fma_f16 v34, v187, v227, v34
	;; [unrolled: 1-line block ×8, first 2 shown]
	v_mul_u32_u24_e32 v72, 0x10001, v69
	v_mul_u32_u24_e32 v73, 0x10001, v70
	v_pk_fma_f16 v39, v191, v67, v39
	v_pk_fma_f16 v34, v191, v68, v34
	;; [unrolled: 1-line block ×6, first 2 shown]
	ds_load_2addr_b64 v[67:70], v71 offset0:64 offset1:96
	s_wait_dscnt 0x2
	v_pk_fma_f16 v30, v59, v72, v30
	v_pk_fma_f16 v29, v59, v73, v29
	v_and_b32_e32 v59, 0xffff, v198
	v_lshrrev_b32_e32 v74, 16, v198
	v_pk_fma_f16 v39, v60, v72, v39
	v_pk_fma_f16 v34, v60, v73, v34
	;; [unrolled: 1-line block ×3, first 2 shown]
	v_mul_u32_u24_e32 v59, 0x10001, v59
	v_mul_u32_u24_e32 v74, 0x10001, v74
	v_pk_fma_f16 v33, v61, v73, v33
	v_pk_fma_f16 v38, v62, v72, v38
	v_and_b32_e32 v60, 0xffff, v199
	v_lshrrev_b32_e32 v61, 16, v199
	v_pk_fma_f16 v32, v62, v73, v32
	s_wait_dscnt 0x1
	v_pk_fma_f16 v30, v63, v59, v30
	v_pk_fma_f16 v29, v63, v74, v29
	;; [unrolled: 1-line block ×5, first 2 shown]
	v_mul_u32_u24_e32 v63, 0x10001, v60
	v_mul_u32_u24_e32 v64, 0x10001, v61
	v_pk_fma_f16 v38, v66, v59, v38
	ds_load_2addr_b64 v[59:62], v71 offset0:128 offset1:160
	v_pk_fma_f16 v33, v65, v74, v33
	v_pk_fma_f16 v32, v66, v74, v32
	s_wait_dscnt 0x1
	v_pk_fma_f16 v30, v67, v63, v30
	v_pk_fma_f16 v29, v67, v64, v29
	;; [unrolled: 1-line block ×8, first 2 shown]
	ds_load_2addr_b64 v[63:66], v71 offset0:192 offset1:224
	s_wait_loadcnt_dscnt 0x0
	s_barrier_signal -1
	s_barrier_wait -1
	global_inv scope:SCOPE_SE
	s_load_b32 s27, s[28:29], 0x4
	v_and_b32_e32 v67, 0xffff, v200
	v_lshrrev_b32_e32 v68, 16, v200
	v_lshrrev_b32_e32 v69, 16, v201
	s_delay_alu instid0(VALU_DEP_3) | instskip(NEXT) | instid1(VALU_DEP_3)
	v_mul_u32_u24_e32 v67, 0x10001, v67
	v_mul_u32_u24_e32 v68, 0x10001, v68
	s_delay_alu instid0(VALU_DEP_2) | instskip(NEXT) | instid1(VALU_DEP_2)
	v_pk_fma_f16 v30, v59, v67, v30
	v_pk_fma_f16 v29, v59, v68, v29
	v_and_b32_e32 v59, 0xffff, v201
	v_pk_fma_f16 v39, v60, v67, v39
	v_pk_fma_f16 v34, v60, v68, v34
	;; [unrolled: 1-line block ×3, first 2 shown]
	v_mul_u32_u24_e32 v60, 0x10001, v69
	v_mul_u32_u24_e32 v59, 0x10001, v59
	v_pk_fma_f16 v33, v61, v68, v33
	v_pk_fma_f16 v38, v62, v67, v38
	;; [unrolled: 1-line block ×3, first 2 shown]
	s_wait_kmcnt 0x0
	s_lshl_b32 s27, s27, 5
	v_pk_fma_f16 v30, v63, v59, v30
	v_pk_fma_f16 v29, v63, v60, v29
	;; [unrolled: 1-line block ×8, first 2 shown]
	s_wait_alu 0xfffe
	s_add_co_i32 s26, s27, s26
	s_wait_alu 0xfffe
	s_cmp_lt_i32 s26, s3
	s_cbranch_scc0 .LBB71_25
; %bb.23:                               ;   in Loop: Header=BB71_8 Depth=1
	v_dual_mov_b32 v62, v4 :: v_dual_mov_b32 v61, v5
	v_dual_mov_b32 v59, v45 :: v_dual_mov_b32 v60, v43
	s_branch .LBB71_8
.LBB71_24:
	v_dual_mov_b32 v4, 0xfeffffff :: v_dual_mov_b32 v45, 0
	v_dual_mov_b32 v30, 0 :: v_dual_mov_b32 v39, 0
	s_delay_alu instid0(VALU_DEP_2)
	v_dual_mov_b32 v36, 0 :: v_dual_mov_b32 v5, v4
	v_dual_mov_b32 v38, 0 :: v_dual_mov_b32 v29, 0
	v_dual_mov_b32 v34, 0 :: v_dual_mov_b32 v33, 0
	v_mov_b32_e32 v32, 0
.LBB71_25:
	s_cmp_gt_i32 s2, s26
	s_cbranch_scc1 .LBB71_28
; %bb.26:
	v_mbcnt_lo_u32_b32 v6, -1, 0
	v_mov_b32_e32 v49, 32
	s_delay_alu instid0(VALU_DEP_2)
	v_xor_b32_e32 v47, 16, v6
	v_xor_b32_e32 v46, 8, v6
	;; [unrolled: 1-line block ×5, first 2 shown]
	s_cbranch_execz .LBB71_29
; %bb.27:
	v_mov_b32_e32 v28, v6
	s_branch .LBB71_48
.LBB71_28:
                                        ; implicit-def: $vgpr6
                                        ; implicit-def: $vgpr49
                                        ; implicit-def: $vgpr47
                                        ; implicit-def: $vgpr46
                                        ; implicit-def: $vgpr48
                                        ; implicit-def: $vgpr50
                                        ; implicit-def: $vgpr51
.LBB71_29:
	s_ashr_i32 s27, s26, 31
	s_ashr_i32 s5, s4, 31
	v_lshlrev_b64_e32 v[6:7], 2, v[2:3]
	s_wait_alu 0xfffe
	s_mul_u64 s[40:41], s[26:27], s[4:5]
	s_sub_co_i32 s9, s2, s26
	s_wait_alu 0xfffe
	s_lshl_b64 s[40:41], s[40:41], 2
	v_cmp_gt_i32_e64 s2, s9, v35
	s_wait_alu 0xfffe
	s_add_nc_u64 s[6:7], s[6:7], s[40:41]
	s_mov_b32 s40, 0
	v_add_co_u32 v3, vcc_lo, s6, v6
	s_wait_alu 0xfffd
	v_add_co_ci_u32_e64 v6, null, s7, v7, vcc_lo
	s_mov_b64 s[28:29], src_private_base
	v_add_co_u32 v3, vcc_lo, v3, v37
	s_wait_alu 0xfffd
	v_add_co_ci_u32_e64 v6, null, 0, v6, vcc_lo
	s_wait_alu 0xfffe
	s_mov_b32 s41, s40
	s_mov_b32 s42, s40
	v_dual_mov_b32 v10, 0 :: v_dual_mov_b32 v15, s40
	s_wait_alu 0xfffe
	v_dual_mov_b32 v16, s41 :: v_dual_mov_b32 v17, s42
	v_cndmask_b32_e64 v7, s29, v6, s2
	v_cndmask_b32_e64 v6, 0, v3, s2
	s_clause 0x1
	scratch_store_b32 off, v10, off
	scratch_store_b96 off, v[15:17], off offset:4
	s_lshl_b32 s5, s4, 3
	v_add_nc_u32_e32 v8, 8, v35
	flat_load_b128 v[11:14], v[6:7]
	s_wait_alu 0xfffe
	v_add_nc_u32_e32 v2, s5, v2
	v_mad_u32_u24 v18, 0x210, v35, v37
	s_clause 0x1
	scratch_store_b32 off, v10, off
	scratch_store_b96 off, v[15:17], off offset:4
	v_cmp_gt_i32_e64 s3, s9, v8
	v_add_nc_u32_e32 v9, 16, v35
	v_ashrrev_i32_e32 v3, 31, v2
	s_delay_alu instid0(VALU_DEP_2) | instskip(NEXT) | instid1(VALU_DEP_2)
	v_cmp_gt_i32_e64 s4, s9, v9
	v_lshlrev_b64_e32 v[6:7], 2, v[2:3]
	v_add_nc_u32_e32 v2, s5, v2
	s_delay_alu instid0(VALU_DEP_2) | instskip(SKIP_1) | instid1(VALU_DEP_3)
	v_add_co_u32 v3, vcc_lo, s6, v6
	s_wait_alu 0xfffd
	v_add_co_ci_u32_e64 v6, null, s7, v7, vcc_lo
	s_delay_alu instid0(VALU_DEP_2) | instskip(SKIP_1) | instid1(VALU_DEP_2)
	v_add_co_u32 v3, vcc_lo, v3, v37
	s_wait_alu 0xfffd
	v_add_co_ci_u32_e64 v6, null, 0, v6, vcc_lo
	s_wait_alu 0xf1ff
	s_delay_alu instid0(VALU_DEP_1)
	v_cndmask_b32_e64 v7, s29, v6, s3
	v_cndmask_b32_e64 v6, 0, v3, s3
	v_ashrrev_i32_e32 v3, 31, v2
	s_wait_loadcnt_dscnt 0x0
	ds_store_b128 v18, v[11:14]
	flat_load_b128 v[11:14], v[6:7]
	v_lshlrev_b64_e32 v[6:7], 2, v[2:3]
	s_clause 0x1
	scratch_store_b32 off, v10, off
	scratch_store_b96 off, v[15:17], off offset:4
	v_add_nc_u32_e32 v2, s5, v2
	v_add_co_u32 v3, vcc_lo, s6, v6
	s_wait_alu 0xfffd
	v_add_co_ci_u32_e64 v6, null, s7, v7, vcc_lo
	s_delay_alu instid0(VALU_DEP_2) | instskip(SKIP_1) | instid1(VALU_DEP_2)
	v_add_co_u32 v3, vcc_lo, v3, v37
	s_wait_alu 0xfffd
	v_add_co_ci_u32_e64 v6, null, 0, v6, vcc_lo
	s_delay_alu instid0(VALU_DEP_1) | instskip(NEXT) | instid1(VALU_DEP_3)
	v_cndmask_b32_e64 v7, s29, v6, s4
	v_cndmask_b32_e64 v6, 0, v3, s4
	v_ashrrev_i32_e32 v3, 31, v2
	s_delay_alu instid0(VALU_DEP_1) | instskip(NEXT) | instid1(VALU_DEP_1)
	v_lshlrev_b64_e32 v[2:3], 2, v[2:3]
	v_add_co_u32 v2, vcc_lo, s6, v2
	s_wait_alu 0xfffd
	s_delay_alu instid0(VALU_DEP_2) | instskip(NEXT) | instid1(VALU_DEP_2)
	v_add_co_ci_u32_e64 v3, null, s7, v3, vcc_lo
	v_add_co_u32 v2, vcc_lo, v2, v37
	s_wait_alu 0xfffd
	s_delay_alu instid0(VALU_DEP_2)
	v_add_co_ci_u32_e64 v3, null, 0, v3, vcc_lo
	s_wait_loadcnt_dscnt 0x0
	ds_store_b128 v18, v[11:14] offset:4224
	flat_load_b128 v[11:14], v[6:7]
	v_add_nc_u32_e32 v7, 24, v35
	s_clause 0x1
	scratch_store_b32 off, v10, off
	scratch_store_b96 off, v[15:17], off offset:4
	v_cmp_gt_i32_e64 s5, s9, v7
	s_wait_alu 0xf1ff
	s_delay_alu instid0(VALU_DEP_1)
	v_cndmask_b32_e64 v3, s29, v3, s5
	v_cndmask_b32_e64 v2, 0, v2, s5
	s_wait_loadcnt_dscnt 0x0
	ds_store_b128 v18, v[11:14] offset:8448
	flat_load_b128 v[11:14], v[2:3]
	v_mov_b32_e32 v2, 0
                                        ; implicit-def: $vgpr3
	s_wait_loadcnt_dscnt 0x0
	ds_store_b128 v18, v[11:14] offset:12672
	s_wait_storecnt_dscnt 0x0
	s_barrier_signal -1
	s_barrier_wait -1
	global_inv scope:SCOPE_SE
	ds_load_b128 v[11:14], v44
	ds_load_b128 v[15:18], v42 offset:16896
	ds_load_b128 v[46:49], v42 offset:17408
	s_wait_dscnt 0x1
	;;#ASMSTART
	v_dot2_f32_f16 v2, v11, v15, v2
	;;#ASMEND
	;;#ASMSTART
	v_dot2_f32_f16 v2, v12, v16, v2
	;;#ASMEND
	;;#ASMSTART
	v_dot2_f32_f16 v2, v13, v17, v2
	;;#ASMEND
	;;#ASMSTART
	v_dot2_f32_f16 v2, v14, v18, v2
	;;#ASMEND
	s_wait_dscnt 0x0
	;;#ASMSTART
	v_dot2_f32_f16 v10, v11, v46, v10
	;;#ASMEND
	;;#ASMSTART
	v_dot2_f32_f16 v10, v12, v47, v10
	;;#ASMEND
	;;#ASMSTART
	v_dot2_f32_f16 v10, v13, v48, v10
	;;#ASMEND
	;;#ASMSTART
	v_dot2_f32_f16 v10, v14, v49, v10
	;;#ASMEND
	ds_load_b128 v[11:14], v44 offset:16
	ds_load_b128 v[15:18], v42 offset:16912
	ds_load_b128 v[46:49], v42 offset:17424
	s_wait_dscnt 0x1
	;;#ASMSTART
	v_dot2_f32_f16 v2, v11, v15, v2
	;;#ASMEND
	;;#ASMSTART
	v_dot2_f32_f16 v2, v12, v16, v2
	;;#ASMEND
	;;#ASMSTART
	v_dot2_f32_f16 v2, v13, v17, v2
	;;#ASMEND
	;;#ASMSTART
	v_dot2_f32_f16 v2, v14, v18, v2
	;;#ASMEND
	s_wait_dscnt 0x0
	;;#ASMSTART
	v_dot2_f32_f16 v10, v11, v46, v10
	;;#ASMEND
	;;#ASMSTART
	v_dot2_f32_f16 v10, v12, v47, v10
	;;#ASMEND
	;;#ASMSTART
	v_dot2_f32_f16 v10, v13, v48, v10
	;;#ASMEND
	;;#ASMSTART
	v_dot2_f32_f16 v10, v14, v49, v10
	;;#ASMEND
	ds_load_b128 v[11:14], v44 offset:32
	;; [unrolled: 29-line block ×31, first 2 shown]
	ds_load_b128 v[15:18], v42 offset:17392
	ds_load_b128 v[46:49], v42 offset:17904
	s_wait_dscnt 0x1
	;;#ASMSTART
	v_dot2_f32_f16 v2, v11, v15, v2
	;;#ASMEND
	;;#ASMSTART
	v_dot2_f32_f16 v2, v12, v16, v2
	;;#ASMEND
	;; [unrolled: 3-line block ×4, first 2 shown]
	v_cmp_ngt_f32_e64 s6, 0x3f200000, |v2|
	s_wait_dscnt 0x0
	;;#ASMSTART
	v_dot2_f32_f16 v10, v11, v46, v10
	;;#ASMEND
	;;#ASMSTART
	v_dot2_f32_f16 v10, v12, v47, v10
	;;#ASMEND
	;; [unrolled: 3-line block ×4, first 2 shown]
	s_and_saveexec_b32 s7, s6
	s_wait_alu 0xfffe
	s_xor_b32 s6, exec_lo, s7
	s_cbranch_execz .LBB71_31
; %bb.30:
	v_add_f32_e64 v3, |v2|, |v2|
	s_delay_alu instid0(VALU_DEP_1) | instskip(SKIP_1) | instid1(VALU_DEP_2)
	v_mul_f32_e32 v6, 0x3fb8aa3b, v3
	v_cmp_ngt_f32_e32 vcc_lo, 0xc2ce8ed0, v3
	v_rndne_f32_e32 v11, v6
	v_fma_f32 v12, 0x3fb8aa3b, v3, -v6
	s_delay_alu instid0(VALU_DEP_2) | instskip(NEXT) | instid1(VALU_DEP_2)
	v_sub_f32_e32 v6, v6, v11
	v_fmamk_f32 v12, v3, 0x32a5705f, v12
	v_cvt_i32_f32_e32 v11, v11
	s_delay_alu instid0(VALU_DEP_2) | instskip(NEXT) | instid1(VALU_DEP_1)
	v_add_f32_e32 v6, v6, v12
	v_exp_f32_e32 v6, v6
	s_delay_alu instid0(TRANS32_DEP_1) | instskip(SKIP_1) | instid1(VALU_DEP_1)
	v_ldexp_f32 v6, v6, v11
	s_wait_alu 0xfffd
	v_cndmask_b32_e32 v6, 0, v6, vcc_lo
	v_cmp_nlt_f32_e32 vcc_lo, 0x42b17218, v3
	s_wait_alu 0xfffd
	s_delay_alu instid0(VALU_DEP_2) | instskip(NEXT) | instid1(VALU_DEP_1)
	v_cndmask_b32_e32 v3, 0x7f800000, v6, vcc_lo
	v_add_f32_e32 v3, 1.0, v3
	s_delay_alu instid0(VALU_DEP_1) | instskip(NEXT) | instid1(TRANS32_DEP_1)
	v_rcp_f32_e32 v3, v3
	v_fma_f32 v3, v3, -2.0, 1.0
.LBB71_31:
	s_wait_alu 0xfffe
	s_and_not1_saveexec_b32 s6, s6
	s_cbranch_execz .LBB71_33
; %bb.32:
	v_mul_f32_e32 v3, v2, v2
	s_mov_b32 s7, 0xbbbac73d
	s_wait_alu 0xfffe
	s_delay_alu instid0(VALU_DEP_1) | instskip(NEXT) | instid1(VALU_DEP_1)
	v_fmaak_f32 v6, s7, v3, 0x3ca908c9
	v_fmaak_f32 v6, v3, v6, 0xbd5c1c4e
	s_delay_alu instid0(VALU_DEP_1) | instskip(NEXT) | instid1(VALU_DEP_1)
	v_fmaak_f32 v6, v3, v6, 0x3e088382
	v_fmaak_f32 v6, v3, v6, 0xbeaaaa99
	s_delay_alu instid0(VALU_DEP_1) | instskip(NEXT) | instid1(VALU_DEP_1)
	v_mul_f32_e64 v6, |v2|, v6
	v_fma_f32 v3, v3, v6, |v2|
.LBB71_33:
	s_wait_alu 0xfffe
	s_or_b32 exec_lo, exec_lo, s6
	s_delay_alu instid0(VALU_DEP_1)
	v_bfi_b32 v2, 0x7fffffff, v3, v2
	s_cmp_lg_u64 s[38:39], 0
	v_cmp_gt_i32_e64 s6, s9, v27
	s_cselect_b32 s15, -1, 0
	v_dual_mul_f32 v11, s11, v2 :: v_dual_add_nc_u32 v6, s26, v27
	s_wait_alu 0xfffe
	v_cndmask_b32_e64 v12, 0, 1, s15
	v_dual_mov_b32 v2, v4 :: v_dual_mov_b32 v3, v5
	v_mov_b32_e32 v13, v4
	s_and_saveexec_b32 s7, s6
	s_cbranch_execz .LBB71_38
; %bb.34:
	s_and_not1_b32 vcc_lo, exec_lo, s15
	s_wait_alu 0xfffe
	s_cbranch_vccnz .LBB71_36
; %bb.35:
	v_mad_co_u64_u32 v[2:3], null, v41, s30, v[6:7]
	s_delay_alu instid0(VALU_DEP_1) | instskip(NEXT) | instid1(VALU_DEP_1)
	v_ashrrev_i32_e32 v3, 31, v2
	v_lshlrev_b64_e32 v[2:3], 1, v[2:3]
	s_delay_alu instid0(VALU_DEP_1) | instskip(SKIP_1) | instid1(VALU_DEP_2)
	v_add_co_u32 v2, vcc_lo, s38, v2
	s_wait_alu 0xfffd
	v_add_co_ci_u32_e64 v3, null, s39, v3, vcc_lo
	global_load_u16 v2, v[2:3], off
	s_wait_loadcnt 0x0
	v_cvt_f32_f16_e32 v2, v2
	s_delay_alu instid0(VALU_DEP_1)
	v_mul_f32_e32 v2, v40, v2
	s_branch .LBB71_37
.LBB71_36:
	v_mov_b32_e32 v2, 0
.LBB71_37:
	s_delay_alu instid0(VALU_DEP_1) | instskip(NEXT) | instid1(VALU_DEP_1)
	v_dual_add_f32 v11, v11, v2 :: v_dual_max_num_f32 v2, v4, v4
	v_add_f32_e32 v3, 0x40051340, v11
	s_delay_alu instid0(VALU_DEP_1)
	v_dual_max_num_f32 v13, v2, v3 :: v_dual_mov_b32 v2, v4
	v_mov_b32_e32 v3, v5
.LBB71_38:
	s_wait_alu 0xfffe
	s_or_b32 exec_lo, exec_lo, s7
	v_xor_b32_e32 v47, 16, v28
	v_xor_b32_e32 v46, 8, v28
	;; [unrolled: 1-line block ×5, first 2 shown]
	v_cmp_gt_i32_e32 vcc_lo, 32, v47
	v_cmp_ngt_f32_e64 s7, 0x3f200000, |v10|
	v_dual_max_num_f32 v16, v13, v13 :: v_dual_mov_b32 v49, 32
	s_wait_alu 0xfffd
	v_cndmask_b32_e32 v2, v28, v47, vcc_lo
	v_cmp_gt_i32_e32 vcc_lo, 32, v46
	s_delay_alu instid0(VALU_DEP_2)
	v_lshlrev_b32_e32 v2, 2, v2
	s_wait_alu 0xfffd
	v_cndmask_b32_e32 v15, v28, v46, vcc_lo
	v_cmp_gt_i32_e32 vcc_lo, 32, v48
	ds_bpermute_b32 v14, v2, v13
	s_wait_dscnt 0x0
	v_dual_max_num_f32 v14, v14, v14 :: v_dual_lshlrev_b32 v13, 2, v15
	s_delay_alu instid0(VALU_DEP_1)
	v_max_num_f32_e32 v15, v16, v14
	s_wait_alu 0xfffd
	v_cndmask_b32_e32 v16, v28, v48, vcc_lo
	v_cmp_gt_i32_e32 vcc_lo, 32, v50
	ds_bpermute_b32 v14, v13, v15
	s_wait_dscnt 0x0
	v_dual_max_num_f32 v17, v14, v14 :: v_dual_lshlrev_b32 v14, 2, v16
	s_wait_alu 0xfffd
	s_delay_alu instid0(VALU_DEP_1) | instskip(SKIP_4) | instid1(VALU_DEP_1)
	v_dual_max_num_f32 v16, v15, v17 :: v_dual_cndmask_b32 v17, v28, v50
	v_cmp_gt_i32_e32 vcc_lo, 32, v51
	ds_bpermute_b32 v15, v14, v16
	s_wait_dscnt 0x0
	v_dual_max_num_f32 v18, v15, v15 :: v_dual_lshlrev_b32 v15, 2, v17
	v_max_num_f32_e32 v17, v16, v18
	s_wait_alu 0xfffd
	v_cndmask_b32_e32 v18, v28, v51, vcc_lo
	ds_bpermute_b32 v16, v15, v17
	s_wait_dscnt 0x0
	v_dual_max_num_f32 v19, v16, v16 :: v_dual_lshlrev_b32 v16, 2, v18
	s_delay_alu instid0(VALU_DEP_1)
	v_max_num_f32_e32 v17, v17, v19
                                        ; implicit-def: $vgpr19
	ds_bpermute_b32 v18, v16, v17
	s_and_saveexec_b32 s15, s7
	s_wait_alu 0xfffe
	s_xor_b32 s7, exec_lo, s15
	s_cbranch_execz .LBB71_40
; %bb.39:
	v_add_f32_e64 v19, |v10|, |v10|
	s_delay_alu instid0(VALU_DEP_1) | instskip(SKIP_1) | instid1(VALU_DEP_2)
	v_mul_f32_e32 v20, 0x3fb8aa3b, v19
	v_cmp_ngt_f32_e32 vcc_lo, 0xc2ce8ed0, v19
	v_rndne_f32_e32 v21, v20
	v_fma_f32 v41, 0x3fb8aa3b, v19, -v20
	s_delay_alu instid0(VALU_DEP_1) | instskip(SKIP_1) | instid1(VALU_DEP_2)
	v_dual_sub_f32 v20, v20, v21 :: v_dual_fmamk_f32 v41, v19, 0x32a5705f, v41
	v_cvt_i32_f32_e32 v21, v21
	v_add_f32_e32 v20, v20, v41
	s_delay_alu instid0(VALU_DEP_1) | instskip(NEXT) | instid1(TRANS32_DEP_1)
	v_exp_f32_e32 v20, v20
	v_ldexp_f32 v20, v20, v21
	s_wait_alu 0xfffd
	s_delay_alu instid0(VALU_DEP_1) | instskip(SKIP_2) | instid1(VALU_DEP_2)
	v_cndmask_b32_e32 v20, 0, v20, vcc_lo
	v_cmp_nlt_f32_e32 vcc_lo, 0x42b17218, v19
	s_wait_alu 0xfffd
	v_cndmask_b32_e32 v19, 0x7f800000, v20, vcc_lo
	s_delay_alu instid0(VALU_DEP_1) | instskip(NEXT) | instid1(VALU_DEP_1)
	v_add_f32_e32 v19, 1.0, v19
	v_rcp_f32_e32 v19, v19
	s_delay_alu instid0(TRANS32_DEP_1)
	v_fma_f32 v19, v19, -2.0, 1.0
.LBB71_40:
	s_wait_alu 0xfffe
	s_and_not1_saveexec_b32 s7, s7
	s_cbranch_execz .LBB71_42
; %bb.41:
	v_mul_f32_e32 v19, v10, v10
	s_mov_b32 s15, 0xbbbac73d
	s_wait_alu 0xfffe
	s_delay_alu instid0(VALU_DEP_1) | instskip(NEXT) | instid1(VALU_DEP_1)
	v_fmaak_f32 v20, s15, v19, 0x3ca908c9
	v_fmaak_f32 v20, v19, v20, 0xbd5c1c4e
	s_delay_alu instid0(VALU_DEP_1) | instskip(NEXT) | instid1(VALU_DEP_1)
	v_fmaak_f32 v20, v19, v20, 0x3e088382
	v_fmaak_f32 v20, v19, v20, 0xbeaaaa99
	s_delay_alu instid0(VALU_DEP_1) | instskip(NEXT) | instid1(VALU_DEP_1)
	v_mul_f32_e64 v20, |v10|, v20
	v_fma_f32 v19, v19, v20, |v10|
.LBB71_42:
	s_wait_alu 0xfffe
	s_or_b32 exec_lo, exec_lo, s7
	s_wait_dscnt 0x0
	v_dual_max_num_f32 v18, v18, v18 :: v_dual_max_num_f32 v17, v17, v17
	v_bfi_b32 v10, 0x7fffffff, v19, v10
	s_delay_alu instid0(VALU_DEP_2) | instskip(NEXT) | instid1(VALU_DEP_2)
	v_max_num_f32_e32 v20, v17, v18
	v_mul_f32_e32 v10, s11, v10
	s_and_saveexec_b32 s7, s6
	s_cbranch_execz .LBB71_47
; %bb.43:
	v_cmp_ne_u32_e32 vcc_lo, 1, v12
	s_cbranch_vccnz .LBB71_45
; %bb.44:
	v_or_b32_e32 v12, 1, v26
	s_delay_alu instid0(VALU_DEP_1) | instskip(NEXT) | instid1(VALU_DEP_1)
	v_mul_hi_u32 v17, s20, v12
	v_add_nc_u32_e32 v17, v12, v17
	s_delay_alu instid0(VALU_DEP_1) | instskip(NEXT) | instid1(VALU_DEP_1)
	v_lshrrev_b32_e32 v17, s21, v17
	v_mul_lo_u32 v17, v17, s22
	s_delay_alu instid0(VALU_DEP_1) | instskip(NEXT) | instid1(VALU_DEP_1)
	v_sub_nc_u32_e32 v12, v12, v17
	v_mad_co_u64_u32 v[17:18], null, v12, s30, v[6:7]
	s_delay_alu instid0(VALU_DEP_1) | instskip(NEXT) | instid1(VALU_DEP_1)
	v_ashrrev_i32_e32 v18, 31, v17
	v_lshlrev_b64_e32 v[17:18], 1, v[17:18]
	s_delay_alu instid0(VALU_DEP_1) | instskip(SKIP_1) | instid1(VALU_DEP_2)
	v_add_co_u32 v17, vcc_lo, s38, v17
	s_wait_alu 0xfffd
	v_add_co_ci_u32_e64 v18, null, s39, v18, vcc_lo
	global_load_u16 v6, v[17:18], off
	s_wait_loadcnt 0x0
	v_cvt_f32_f16_e32 v6, v6
	s_delay_alu instid0(VALU_DEP_1)
	v_mul_f32_e32 v6, v40, v6
	s_branch .LBB71_46
.LBB71_45:
	v_mov_b32_e32 v6, 0
.LBB71_46:
	s_delay_alu instid0(VALU_DEP_1) | instskip(NEXT) | instid1(VALU_DEP_1)
	v_dual_add_f32 v10, v10, v6 :: v_dual_max_num_f32 v3, v3, v3
	v_add_f32_e32 v6, 0x40051340, v10
	s_delay_alu instid0(VALU_DEP_1)
	v_max_num_f32_e32 v3, v3, v6
.LBB71_47:
	s_wait_alu 0xfffe
	s_or_b32 exec_lo, exec_lo, s7
	ds_bpermute_b32 v2, v2, v3
	v_max_num_f32_e32 v3, v3, v3
	s_mov_b32 s28, 0
	s_mov_b64 s[6:7], src_private_base
	s_wait_alu 0xfffe
	s_mov_b32 s29, s28
	s_mov_b32 s30, s28
	s_ashr_i32 s15, s14, 31
	s_wait_loadcnt_dscnt 0x0
	s_wait_alu 0xfffe
	s_mul_u64 s[20:21], s[26:27], s[14:15]
	s_barrier_signal -1
	s_wait_alu 0xfffe
	s_lshl_b64 s[20:21], s[20:21], 2
	s_barrier_wait -1
	s_wait_alu 0xfffe
	s_add_nc_u64 s[20:21], s[24:25], s[20:21]
	global_inv scope:SCOPE_SE
	v_lshl_add_u32 v8, v8, 9, v37
	v_lshl_add_u32 v7, v7, 9, v37
	v_add_nc_u32_e32 v180, 0x3800, v31
	v_dual_mov_b32 v41, 0 :: v_dual_add_nc_u32 v42, 0x3000, v31
	v_sub_f32_e32 v4, v4, v20
	v_max_num_f32_e32 v2, v2, v2
	s_delay_alu instid0(VALU_DEP_1) | instskip(SKIP_3) | instid1(VALU_DEP_1)
	v_max_num_f32_e32 v2, v3, v2
	ds_bpermute_b32 v3, v13, v2
	s_wait_dscnt 0x0
	v_max_num_f32_e32 v3, v3, v3
	v_max_num_f32_e32 v2, v2, v3
	ds_bpermute_b32 v3, v14, v2
	s_wait_dscnt 0x0
	v_max_num_f32_e32 v3, v3, v3
	s_delay_alu instid0(VALU_DEP_1) | instskip(SKIP_3) | instid1(VALU_DEP_1)
	v_max_num_f32_e32 v2, v2, v3
	ds_bpermute_b32 v3, v15, v2
	s_wait_dscnt 0x0
	v_max_num_f32_e32 v3, v3, v3
	v_max_num_f32_e32 v2, v2, v3
	ds_bpermute_b32 v3, v16, v2
	v_mov_b32_e32 v15, s28
	v_mov_b32_e32 v17, s30
	s_wait_dscnt 0x0
	v_max_num_f32_e32 v3, v3, v3
	s_delay_alu instid0(VALU_DEP_1) | instskip(NEXT) | instid1(VALU_DEP_1)
	v_max_num_f32_e32 v21, v2, v3
	v_dual_sub_f32 v3, v11, v20 :: v_dual_sub_f32 v6, v10, v21
	s_delay_alu instid0(VALU_DEP_1) | instskip(SKIP_1) | instid1(VALU_DEP_3)
	v_mul_f32_e32 v2, 0x3fb8aa3b, v3
	v_cmp_ngt_f32_e32 vcc_lo, 0xc2ce8ed0, v3
	v_mul_f32_e32 v10, 0x3fb8aa3b, v6
	s_delay_alu instid0(VALU_DEP_3) | instskip(SKIP_2) | instid1(VALU_DEP_4)
	v_fma_f32 v11, 0x3fb8aa3b, v3, -v2
	v_rndne_f32_e32 v12, v2
	v_cmp_nlt_f32_e64 s6, 0x42b17218, v6
	v_fma_f32 v13, 0x3fb8aa3b, v6, -v10
	s_delay_alu instid0(VALU_DEP_3) | instskip(SKIP_2) | instid1(VALU_DEP_3)
	v_dual_fmac_f32 v11, 0x32a5705f, v3 :: v_dual_sub_f32 v2, v2, v12
	v_rndne_f32_e32 v14, v10
	v_cvt_i32_f32_e32 v12, v12
	v_dual_fmac_f32 v13, 0x32a5705f, v6 :: v_dual_add_f32 v2, v2, v11
	s_delay_alu instid0(VALU_DEP_3) | instskip(NEXT) | instid1(VALU_DEP_2)
	v_sub_f32_e32 v10, v10, v14
	v_exp_f32_e32 v11, v2
	v_lshlrev_b64_e32 v[1:2], 2, v[0:1]
	s_delay_alu instid0(TRANS32_DEP_1) | instskip(NEXT) | instid1(VALU_DEP_3)
	v_ldexp_f32 v11, v11, v12
	v_add_f32_e32 v10, v10, v13
	v_cvt_i32_f32_e32 v13, v14
	s_wait_alu 0xfffd
	s_delay_alu instid0(VALU_DEP_3) | instskip(NEXT) | instid1(VALU_DEP_3)
	v_cndmask_b32_e32 v11, 0, v11, vcc_lo
	v_exp_f32_e32 v10, v10
	v_cmp_ngt_f32_e32 vcc_lo, 0xc2ce8ed0, v6
	s_delay_alu instid0(TRANS32_DEP_1) | instskip(SKIP_1) | instid1(VALU_DEP_1)
	v_ldexp_f32 v10, v10, v13
	s_wait_alu 0xfffd
	v_cndmask_b32_e32 v10, 0, v10, vcc_lo
	v_cmp_nlt_f32_e32 vcc_lo, 0x42b17218, v3
	v_dual_sub_f32 v5, v5, v21 :: v_dual_lshlrev_b32 v40, 7, v35
	v_mov_b32_e32 v16, s29
	s_wait_alu 0xf1ff
	v_cndmask_b32_e64 v6, 0x7f800000, v10, s6
	s_wait_alu 0xfffd
	v_cndmask_b32_e32 v3, 0x7f800000, v11, vcc_lo
	v_cmp_gt_u32_e32 vcc_lo, s9, v27
	v_add3_u32 v12, 0x6200, v40, v25
	s_clause 0x1
	scratch_store_b32 off, v41, off
	scratch_store_b96 off, v[15:17], off offset:4
	s_wait_alu 0xfffd
	v_cndmask_b32_e32 v10, 0, v3, vcc_lo
	v_cndmask_b32_e32 v6, 0, v6, vcc_lo
	s_wait_alu 0xfffe
	v_add_co_u32 v1, vcc_lo, s20, v1
	s_wait_alu 0xfffd
	v_add_co_ci_u32_e64 v2, null, s21, v2, vcc_lo
	v_cvt_f16_f32_e32 v3, v10
	s_delay_alu instid0(VALU_DEP_3) | instskip(SKIP_3) | instid1(VALU_DEP_3)
	v_add_co_u32 v1, vcc_lo, v1, v37
	v_cvt_f16_f32_e32 v11, v6
	s_wait_alu 0xfffd
	v_add_co_ci_u32_e64 v2, null, 0, v2, vcc_lo
	v_cndmask_b32_e64 v1, 0, v1, s2
	s_delay_alu instid0(VALU_DEP_3) | instskip(NEXT) | instid1(VALU_DEP_3)
	v_pack_b32_f16 v3, v3, v11
	v_cndmask_b32_e64 v2, s7, v2, s2
	s_lshl_b32 s2, s14, 3
	s_wait_alu 0xfffe
	v_add_nc_u32_e32 v18, s2, v0
	ds_store_b32 v12, v3
	flat_load_b128 v[11:14], v[1:2]
	v_lshl_add_u32 v2, v35, 9, v37
	s_clause 0x1
	scratch_store_b32 off, v41, off
	scratch_store_b96 off, v[15:17], off offset:4
	v_ashrrev_i32_e32 v19, 31, v18
	s_delay_alu instid0(VALU_DEP_1) | instskip(NEXT) | instid1(VALU_DEP_1)
	v_lshlrev_b64_e32 v[0:1], 2, v[18:19]
	v_add_co_u32 v0, vcc_lo, s20, v0
	s_wait_alu 0xfffd
	s_delay_alu instid0(VALU_DEP_2) | instskip(NEXT) | instid1(VALU_DEP_2)
	v_add_co_ci_u32_e64 v1, null, s21, v1, vcc_lo
	v_add_co_u32 v0, vcc_lo, v0, v37
	s_wait_alu 0xfffd
	s_delay_alu instid0(VALU_DEP_2) | instskip(NEXT) | instid1(VALU_DEP_2)
	v_add_co_ci_u32_e64 v1, null, 0, v1, vcc_lo
	v_cndmask_b32_e64 v0, 0, v0, s3
	s_delay_alu instid0(VALU_DEP_2)
	v_cndmask_b32_e64 v1, s7, v1, s3
	s_wait_loadcnt_dscnt 0x0
	ds_store_b128 v2, v[11:14]
	flat_load_b128 v[0:3], v[0:1]
	v_add_nc_u32_e32 v11, s2, v18
	s_clause 0x1
	scratch_store_b32 off, v41, off
	scratch_store_b96 off, v[15:17], off offset:4
	v_ashrrev_i32_e32 v12, 31, v11
	s_delay_alu instid0(VALU_DEP_1) | instskip(SKIP_1) | instid1(VALU_DEP_2)
	v_lshlrev_b64_e32 v[12:13], 2, v[11:12]
	v_add_nc_u32_e32 v11, s2, v11
	v_add_co_u32 v12, vcc_lo, s20, v12
	s_wait_alu 0xfffd
	s_delay_alu instid0(VALU_DEP_3) | instskip(NEXT) | instid1(VALU_DEP_2)
	v_add_co_ci_u32_e64 v13, null, s21, v13, vcc_lo
	v_add_co_u32 v12, vcc_lo, v12, v37
	s_wait_alu 0xfffd
	s_delay_alu instid0(VALU_DEP_2) | instskip(NEXT) | instid1(VALU_DEP_2)
	v_add_co_ci_u32_e64 v13, null, 0, v13, vcc_lo
	v_cndmask_b32_e64 v12, 0, v12, s4
	s_delay_alu instid0(VALU_DEP_2)
	v_cndmask_b32_e64 v13, s7, v13, s4
	s_wait_loadcnt_dscnt 0x0
	ds_store_b128 v8, v[0:3]
	flat_load_b128 v[0:3], v[12:13]
	v_ashrrev_i32_e32 v12, 31, v11
	s_clause 0x1
	scratch_store_b32 off, v41, off
	scratch_store_b96 off, v[15:17], off offset:4
	v_add_nc_u32_e32 v41, 0x2800, v31
	v_lshlrev_b64_e32 v[11:12], 2, v[11:12]
	s_delay_alu instid0(VALU_DEP_1) | instskip(SKIP_1) | instid1(VALU_DEP_2)
	v_add_co_u32 v8, vcc_lo, s20, v11
	s_wait_alu 0xfffd
	v_add_co_ci_u32_e64 v11, null, s21, v12, vcc_lo
	v_lshl_add_u32 v12, v9, 9, v37
	s_delay_alu instid0(VALU_DEP_3) | instskip(SKIP_1) | instid1(VALU_DEP_3)
	v_add_co_u32 v8, vcc_lo, v8, v37
	s_wait_alu 0xfffd
	v_add_co_ci_u32_e64 v11, null, 0, v11, vcc_lo
	v_cmp_ngt_f32_e32 vcc_lo, 0xc2ce8ed0, v4
	s_delay_alu instid0(VALU_DEP_3) | instskip(NEXT) | instid1(VALU_DEP_3)
	v_cndmask_b32_e64 v8, 0, v8, s5
	v_cndmask_b32_e64 v9, s7, v11, s5
	s_wait_loadcnt_dscnt 0x0
	ds_store_b128 v12, v[0:3]
	flat_load_b128 v[0:3], v[8:9]
	v_mul_f32_e32 v9, 0x3fb8aa3b, v5
	s_delay_alu instid0(VALU_DEP_1) | instskip(SKIP_2) | instid1(VALU_DEP_3)
	v_rndne_f32_e32 v14, v9
	v_mul_f32_e32 v8, 0x3fb8aa3b, v4
	v_fma_f32 v13, 0x3fb8aa3b, v5, -v9
	v_sub_f32_e32 v9, v9, v14
	s_delay_alu instid0(VALU_DEP_3) | instskip(SKIP_1) | instid1(VALU_DEP_4)
	v_fma_f32 v11, 0x3fb8aa3b, v4, -v8
	v_rndne_f32_e32 v12, v8
	v_fmac_f32_e32 v13, 0x32a5705f, v5
	s_delay_alu instid0(VALU_DEP_3) | instskip(NEXT) | instid1(VALU_DEP_2)
	v_fmac_f32_e32 v11, 0x32a5705f, v4
	v_dual_sub_f32 v8, v8, v12 :: v_dual_add_f32 v9, v9, v13
	v_add_nc_u32_e32 v13, 0x2000, v31
	s_delay_alu instid0(VALU_DEP_2) | instskip(NEXT) | instid1(VALU_DEP_3)
	v_add_f32_e32 v8, v8, v11
	v_exp_f32_e32 v9, v9
	v_cvt_i32_f32_e32 v11, v12
	v_cvt_i32_f32_e32 v12, v14
	s_delay_alu instid0(VALU_DEP_3)
	v_exp_f32_e32 v8, v8
	s_delay_alu instid0(TRANS32_DEP_2) | instid1(VALU_DEP_1)
	v_ldexp_f32 v9, v9, v12
	v_add_nc_u32_e32 v12, 0x1800, v31
	s_delay_alu instid0(TRANS32_DEP_1) | instskip(SKIP_1) | instid1(VALU_DEP_1)
	v_ldexp_f32 v8, v8, v11
	s_wait_alu 0xfffd
	v_dual_cndmask_b32 v8, 0, v8 :: v_dual_add_nc_u32 v11, 0x1000, v31
	v_cmp_ngt_f32_e32 vcc_lo, 0xc2ce8ed0, v5
	s_wait_alu 0xfffd
	v_cndmask_b32_e32 v9, 0, v9, vcc_lo
	v_cmp_nlt_f32_e32 vcc_lo, 0x42b17218, v4
	s_wait_alu 0xfffd
	v_cndmask_b32_e32 v4, 0x7f800000, v8, vcc_lo
	v_cmp_nlt_f32_e32 vcc_lo, 0x42b17218, v5
	s_wait_alu 0xfffd
	s_delay_alu instid0(VALU_DEP_2) | instskip(NEXT) | instid1(VALU_DEP_1)
	v_dual_fmac_f32 v10, v45, v4 :: v_dual_cndmask_b32 v5, 0x7f800000, v9
	v_mov_b32_e32 v45, v10
	v_cvt_f16_f32_e32 v9, v4
	s_delay_alu instid0(VALU_DEP_3) | instskip(SKIP_2) | instid1(VALU_DEP_4)
	v_cvt_f16_f32_e32 v14, v5
	v_fmac_f32_e32 v6, v43, v5
	v_add_nc_u32_e32 v8, 0x800, v31
	v_and_b32_e32 v9, 0xffff, v9
	s_delay_alu instid0(VALU_DEP_3) | instskip(NEXT) | instid1(VALU_DEP_2)
	v_dual_mov_b32 v43, v6 :: v_dual_and_b32 v4, 0xffff, v14
	v_mul_u32_u24_e32 v44, 0x10001, v9
	s_delay_alu instid0(VALU_DEP_2) | instskip(NEXT) | instid1(VALU_DEP_2)
	v_mul_u32_u24_e32 v184, 0x10001, v4
	v_pk_mul_f16 v185, v39, v44
	v_pk_mul_f16 v186, v36, v44
	;; [unrolled: 1-line block ×3, first 2 shown]
	s_delay_alu instid0(VALU_DEP_4)
	v_pk_mul_f16 v188, v34, v184
	v_pk_mul_f16 v189, v33, v184
	;; [unrolled: 1-line block ×3, first 2 shown]
	s_wait_loadcnt_dscnt 0x0
	ds_store_b128 v7, v[0:3]
	s_wait_storecnt_dscnt 0x0
	s_barrier_signal -1
	s_barrier_wait -1
	global_inv scope:SCOPE_SE
	ds_load_2addr_b64 v[32:35], v31 offset1:32
	ds_load_b128 v[36:39], v40 offset:25088
	ds_load_b128 v[52:55], v40 offset:25104
	;; [unrolled: 1-line block ×4, first 2 shown]
	ds_load_2addr_b64 v[64:67], v31 offset0:64 offset1:96
	ds_load_2addr_b64 v[68:71], v31 offset0:128 offset1:160
	ds_load_2addr_b64 v[72:75], v31 offset0:192 offset1:224
	ds_load_2addr_b64 v[76:79], v8 offset1:32
	ds_load_2addr_b64 v[80:83], v8 offset0:64 offset1:96
	ds_load_2addr_b64 v[84:87], v8 offset0:128 offset1:160
	ds_load_2addr_b64 v[88:91], v8 offset0:192 offset1:224
	ds_load_2addr_b64 v[92:95], v11 offset1:32
	;; [unrolled: 4-line block ×5, first 2 shown]
	ds_load_b128 v[144:147], v40 offset:25152
	ds_load_b128 v[148:151], v40 offset:25168
	ds_load_2addr_b64 v[16:19], v41 offset0:64 offset1:96
	ds_load_2addr_b64 v[12:15], v41 offset0:128 offset1:160
	;; [unrolled: 1-line block ×3, first 2 shown]
	ds_load_2addr_b64 v[4:7], v42 offset1:32
	ds_load_2addr_b64 v[0:3], v42 offset0:64 offset1:96
	ds_load_b128 v[152:155], v40 offset:25184
	ds_load_b128 v[156:159], v40 offset:25200
	ds_load_2addr_b64 v[160:163], v42 offset0:128 offset1:160
	ds_load_2addr_b64 v[164:167], v42 offset0:192 offset1:224
	ds_load_2addr_b64 v[168:171], v180 offset1:32
	ds_load_2addr_b64 v[172:175], v180 offset0:64 offset1:96
	ds_load_2addr_b64 v[176:179], v180 offset0:128 offset1:160
	;; [unrolled: 1-line block ×3, first 2 shown]
	s_wait_dscnt 0x26
	v_lshrrev_b32_e32 v31, 16, v36
	v_and_b32_e32 v36, 0xffff, v36
	v_lshrrev_b32_e32 v40, 16, v37
	v_and_b32_e32 v37, 0xffff, v37
	v_lshrrev_b32_e32 v41, 16, v38
	v_mul_u32_u24_e32 v31, 0x10001, v31
	v_mul_u32_u24_e32 v36, 0x10001, v36
	v_and_b32_e32 v38, 0xffff, v38
	v_mul_u32_u24_e32 v37, 0x10001, v37
	v_mul_u32_u24_e32 v40, 0x10001, v40
	v_lshrrev_b32_e32 v42, 16, v39
	v_pk_fma_f16 v185, v33, v36, v185
	v_pk_fma_f16 v186, v34, v36, v186
	;; [unrolled: 1-line block ×3, first 2 shown]
	v_pk_mul_f16 v36, v32, v36
	v_pk_mul_f16 v32, v32, v31
	v_pk_fma_f16 v33, v33, v31, v188
	v_pk_fma_f16 v34, v34, v31, v189
	;; [unrolled: 1-line block ×5, first 2 shown]
	v_and_b32_e32 v39, 0xffff, v39
	v_mul_u32_u24_e32 v38, 0x10001, v38
	v_mul_u32_u24_e32 v41, 0x10001, v41
	s_wait_dscnt 0x22
	v_pk_fma_f16 v32, v65, v37, v185
	v_pk_fma_f16 v35, v66, v37, v186
	v_pk_fma_f16 v33, v65, v40, v33
	v_pk_fma_f16 v36, v67, v37, v187
	v_pk_fma_f16 v34, v66, v40, v34
	v_pk_fma_f16 v31, v67, v40, v31
	v_pk_fma_f16 v30, v64, v37, v30
	v_pk_fma_f16 v29, v64, v40, v29
	v_lshrrev_b32_e32 v191, 16, v52
	v_and_b32_e32 v52, 0xffff, v52
	v_mul_u32_u24_e32 v39, 0x10001, v39
	v_mul_u32_u24_e32 v42, 0x10001, v42
	s_wait_dscnt 0x21
	v_pk_fma_f16 v32, v69, v38, v32
	v_pk_fma_f16 v35, v70, v38, v35
	v_pk_fma_f16 v33, v69, v41, v33
	v_pk_fma_f16 v36, v71, v38, v36
	v_pk_fma_f16 v34, v70, v41, v34
	v_pk_fma_f16 v31, v71, v41, v31
	v_pk_fma_f16 v30, v68, v38, v30
	v_pk_fma_f16 v29, v68, v41, v29
	v_lshrrev_b32_e32 v192, 16, v53
	;; [unrolled: 13-line block ×12, first 2 shown]
	v_and_b32_e32 v63, 0xffff, v63
	v_mul_u32_u24_e32 v62, 0x10001, v62
	v_mul_u32_u24_e32 v201, 0x10001, v201
	s_wait_dscnt 0x16
	v_pk_fma_f16 v32, v113, v61, v32
	v_pk_fma_f16 v33, v113, v200, v33
	;; [unrolled: 1-line block ×8, first 2 shown]
	s_wait_dscnt 0xe
	v_lshrrev_b32_e32 v203, 16, v144
	v_and_b32_e32 v144, 0xffff, v144
	v_mul_u32_u24_e32 v63, 0x10001, v63
	v_mul_u32_u24_e32 v202, 0x10001, v202
	v_pk_fma_f16 v32, v117, v62, v32
	v_pk_fma_f16 v33, v117, v201, v33
	v_pk_fma_f16 v35, v118, v62, v35
	v_pk_fma_f16 v34, v118, v201, v34
	v_pk_fma_f16 v36, v119, v62, v36
	v_pk_fma_f16 v31, v119, v201, v31
	v_pk_fma_f16 v30, v116, v62, v30
	v_pk_fma_f16 v29, v116, v201, v29
	v_lshrrev_b32_e32 v204, 16, v145
	v_and_b32_e32 v145, 0xffff, v145
	v_mul_u32_u24_e32 v144, 0x10001, v144
	v_mul_u32_u24_e32 v203, 0x10001, v203
	v_pk_fma_f16 v32, v121, v63, v32
	v_pk_fma_f16 v33, v121, v202, v33
	v_pk_fma_f16 v35, v122, v63, v35
	v_pk_fma_f16 v34, v122, v202, v34
	v_pk_fma_f16 v36, v123, v63, v36
	v_pk_fma_f16 v31, v123, v202, v31
	v_pk_fma_f16 v30, v120, v63, v30
	v_pk_fma_f16 v29, v120, v202, v29
	;; [unrolled: 12-line block ×4, first 2 shown]
	s_wait_dscnt 0xd
	v_lshrrev_b32_e32 v207, 16, v148
	v_and_b32_e32 v148, 0xffff, v148
	v_mul_u32_u24_e32 v147, 0x10001, v147
	v_mul_u32_u24_e32 v206, 0x10001, v206
	v_pk_fma_f16 v32, v133, v146, v32
	v_pk_fma_f16 v33, v133, v205, v33
	v_pk_fma_f16 v35, v134, v146, v35
	v_pk_fma_f16 v34, v134, v205, v34
	v_pk_fma_f16 v36, v135, v146, v36
	v_pk_fma_f16 v31, v135, v205, v31
	v_pk_fma_f16 v30, v132, v146, v30
	v_pk_fma_f16 v29, v132, v205, v29
	v_lshrrev_b32_e32 v208, 16, v149
	v_and_b32_e32 v149, 0xffff, v149
	v_mul_u32_u24_e32 v148, 0x10001, v148
	v_mul_u32_u24_e32 v207, 0x10001, v207
	v_pk_fma_f16 v32, v137, v147, v32
	v_pk_fma_f16 v33, v137, v206, v33
	v_pk_fma_f16 v35, v138, v147, v35
	v_pk_fma_f16 v34, v138, v206, v34
	v_pk_fma_f16 v36, v139, v147, v36
	v_pk_fma_f16 v31, v139, v206, v31
	v_pk_fma_f16 v30, v136, v147, v30
	v_pk_fma_f16 v29, v136, v206, v29
	;; [unrolled: 12-line block ×3, first 2 shown]
	v_lshrrev_b32_e32 v210, 16, v151
	v_and_b32_e32 v151, 0xffff, v151
	v_mul_u32_u24_e32 v150, 0x10001, v150
	v_mul_u32_u24_e32 v209, 0x10001, v209
	s_wait_dscnt 0xc
	v_pk_fma_f16 v32, v17, v149, v32
	v_pk_fma_f16 v17, v17, v208, v33
	;; [unrolled: 1-line block ×8, first 2 shown]
	s_wait_dscnt 0x7
	v_lshrrev_b32_e32 v211, 16, v152
	v_and_b32_e32 v152, 0xffff, v152
	v_mul_u32_u24_e32 v151, 0x10001, v151
	v_mul_u32_u24_e32 v210, 0x10001, v210
	v_pk_fma_f16 v29, v13, v150, v32
	v_pk_fma_f16 v13, v13, v209, v17
	v_pk_fma_f16 v17, v14, v150, v33
	v_pk_fma_f16 v14, v14, v209, v18
	v_pk_fma_f16 v18, v15, v150, v34
	v_pk_fma_f16 v15, v15, v209, v19
	v_pk_fma_f16 v19, v12, v150, v30
	v_pk_fma_f16 v12, v12, v209, v16
	v_lshrrev_b32_e32 v212, 16, v153
	v_and_b32_e32 v153, 0xffff, v153
	v_mul_u32_u24_e32 v152, 0x10001, v152
	v_mul_u32_u24_e32 v211, 0x10001, v211
	v_pk_fma_f16 v16, v9, v151, v29
	v_pk_fma_f16 v9, v9, v210, v13
	v_pk_fma_f16 v13, v10, v151, v17
	v_pk_fma_f16 v10, v10, v210, v14
	v_pk_fma_f16 v14, v11, v151, v18
	v_pk_fma_f16 v11, v11, v210, v15
	v_pk_fma_f16 v15, v8, v151, v19
	v_pk_fma_f16 v8, v8, v210, v12
	;; [unrolled: 12-line block ×3, first 2 shown]
	v_lshrrev_b32_e32 v214, 16, v155
	v_and_b32_e32 v155, 0xffff, v155
	v_mul_u32_u24_e32 v154, 0x10001, v154
	v_pk_fma_f16 v8, v1, v153, v12
	v_pk_fma_f16 v1, v1, v212, v5
	;; [unrolled: 1-line block ×3, first 2 shown]
	v_mul_u32_u24_e32 v213, 0x10001, v213
	v_pk_fma_f16 v2, v2, v212, v6
	v_pk_fma_f16 v6, v3, v153, v10
	;; [unrolled: 1-line block ×5, first 2 shown]
	s_wait_dscnt 0x6
	v_lshrrev_b32_e32 v215, 16, v156
	v_and_b32_e32 v156, 0xffff, v156
	v_mul_u32_u24_e32 v155, 0x10001, v155
	s_wait_dscnt 0x5
	v_pk_fma_f16 v4, v161, v154, v8
	v_pk_fma_f16 v5, v162, v154, v5
	v_mul_u32_u24_e32 v214, 0x10001, v214
	v_pk_fma_f16 v1, v161, v213, v1
	v_pk_fma_f16 v2, v162, v213, v2
	v_pk_fma_f16 v6, v163, v154, v6
	v_pk_fma_f16 v3, v163, v213, v3
	v_pk_fma_f16 v7, v160, v154, v7
	v_pk_fma_f16 v0, v160, v213, v0
	v_lshrrev_b32_e32 v216, 16, v157
	v_and_b32_e32 v157, 0xffff, v157
	v_mul_u32_u24_e32 v156, 0x10001, v156
	s_wait_dscnt 0x4
	v_pk_fma_f16 v4, v165, v155, v4
	v_pk_fma_f16 v5, v166, v155, v5
	v_mul_u32_u24_e32 v215, 0x10001, v215
	v_pk_fma_f16 v1, v165, v214, v1
	v_pk_fma_f16 v2, v166, v214, v2
	v_pk_fma_f16 v6, v167, v155, v6
	v_pk_fma_f16 v3, v167, v214, v3
	v_pk_fma_f16 v7, v164, v155, v7
	v_pk_fma_f16 v0, v164, v214, v0
	;; [unrolled: 13-line block ×4, first 2 shown]
	v_mul_u32_u24_e32 v159, 0x10001, v159
	s_wait_dscnt 0x1
	v_pk_fma_f16 v4, v177, v158, v4
	v_pk_fma_f16 v5, v178, v158, v5
	v_mul_u32_u24_e32 v218, 0x10001, v218
	v_pk_fma_f16 v1, v177, v217, v1
	v_pk_fma_f16 v2, v178, v217, v2
	;; [unrolled: 1-line block ×6, first 2 shown]
	s_wait_dscnt 0x0
	v_pk_fma_f16 v39, v181, v159, v4
	v_pk_fma_f16 v36, v182, v159, v5
	v_mov_b32_e32 v4, v20
	v_pk_fma_f16 v34, v181, v218, v1
	v_pk_fma_f16 v33, v182, v218, v2
	;; [unrolled: 1-line block ×6, first 2 shown]
	v_mov_b32_e32 v5, v21
	s_wait_loadcnt 0x0
	s_barrier_signal -1
	s_barrier_wait -1
	global_inv scope:SCOPE_SE
.LBB71_48:
	v_cmp_lt_i32_e32 vcc_lo, v47, v49
	s_cmp_eq_u64 s[12:13], 0
	s_cselect_b32 s2, -1, 0
	s_cmp_lg_u32 s8, 0
	s_wait_alu 0xfffd
	v_cndmask_b32_e32 v0, v28, v47, vcc_lo
	v_cmp_lt_i32_e32 vcc_lo, v46, v49
	s_cselect_b32 s3, -1, 0
	s_wait_alu 0xfffe
	s_or_b32 s2, s3, s2
	v_lshlrev_b32_e32 v0, 2, v0
	s_wait_alu 0xfffd
	v_cndmask_b32_e32 v2, v28, v46, vcc_lo
	v_cmp_lt_i32_e32 vcc_lo, v48, v49
	ds_bpermute_b32 v1, v0, v45
	v_lshlrev_b32_e32 v2, 2, v2
	s_wait_alu 0xfffd
	v_cndmask_b32_e32 v6, v28, v48, vcc_lo
	v_cmp_lt_i32_e32 vcc_lo, v50, v49
	s_wait_dscnt 0x0
	s_delay_alu instid0(VALU_DEP_2)
	v_dual_add_f32 v1, v45, v1 :: v_dual_lshlrev_b32 v6, 2, v6
	ds_bpermute_b32 v3, v2, v1
	s_wait_dscnt 0x0
	v_add_f32_e32 v1, v1, v3
	ds_bpermute_b32 v0, v0, v43
	s_wait_dscnt 0x0
	v_add_f32_e32 v0, v43, v0
	;; [unrolled: 3-line block ×3, first 2 shown]
	ds_bpermute_b32 v2, v6, v1
	ds_bpermute_b32 v3, v6, v0
	s_wait_alu 0xfffd
	v_cndmask_b32_e32 v6, v28, v50, vcc_lo
	v_cmp_lt_i32_e32 vcc_lo, v51, v49
	s_delay_alu instid0(VALU_DEP_2)
	v_lshlrev_b32_e32 v6, 2, v6
	s_wait_dscnt 0x0
	v_dual_add_f32 v1, v1, v2 :: v_dual_add_f32 v0, v0, v3
	ds_bpermute_b32 v2, v6, v1
	ds_bpermute_b32 v3, v6, v0
	s_wait_alu 0xfffd
	v_cndmask_b32_e32 v6, v28, v51, vcc_lo
	s_wait_alu 0xfffe
	s_and_b32 vcc_lo, exec_lo, s2
	s_delay_alu instid0(VALU_DEP_1)
	v_lshlrev_b32_e32 v6, 2, v6
	s_wait_dscnt 0x0
	v_dual_add_f32 v1, v1, v2 :: v_dual_add_f32 v2, v0, v3
	ds_bpermute_b32 v0, v6, v1
	ds_bpermute_b32 v3, v6, v2
	s_wait_dscnt 0x0
	v_dual_add_f32 v0, v1, v0 :: v_dual_add_f32 v1, v2, v3
	s_wait_alu 0xfffe
	s_cbranch_vccnz .LBB71_51
; %bb.49:
	v_dual_mov_b32 v2, 0 :: v_dual_max_num_f32 v3, v4, v4
	s_lshl_b64 s[2:3], s[34:35], 2
	v_max_num_f32_e32 v8, v5, v5
	s_wait_alu 0xfffe
	s_add_nc_u64 s[2:3], s[12:13], s[2:3]
	global_load_b32 v2, v2, s[2:3]
	s_wait_loadcnt 0x0
	v_max_num_f32_e32 v7, v2, v2
	s_delay_alu instid0(VALU_DEP_1) | instskip(SKIP_1) | instid1(VALU_DEP_2)
	v_max_num_f32_e32 v6, v3, v7
	v_max_num_f32_e32 v7, v8, v7
	v_sub_f32_e32 v3, v4, v6
	v_sub_f32_e32 v4, v2, v6
	s_delay_alu instid0(VALU_DEP_3) | instskip(NEXT) | instid1(VALU_DEP_2)
	v_sub_f32_e32 v8, v2, v7
	v_dual_mul_f32 v2, 0x3fb8aa3b, v3 :: v_dual_mul_f32 v9, 0x3fb8aa3b, v4
	s_delay_alu instid0(VALU_DEP_2) | instskip(SKIP_1) | instid1(VALU_DEP_3)
	v_mul_f32_e32 v11, 0x3fb8aa3b, v8
	v_cmp_ngt_f32_e32 vcc_lo, 0xc2ce8ed0, v3
	v_fma_f32 v12, 0x3fb8aa3b, v3, -v2
	v_rndne_f32_e32 v13, v2
	v_sub_f32_e32 v5, v5, v7
	v_fma_f32 v14, 0x3fb8aa3b, v4, -v9
	v_rndne_f32_e32 v15, v9
	v_rndne_f32_e32 v19, v11
	v_fma_f32 v18, 0x3fb8aa3b, v8, -v11
	v_sub_f32_e32 v2, v2, v13
	s_delay_alu instid0(VALU_DEP_4) | instskip(NEXT) | instid1(VALU_DEP_4)
	v_dual_mul_f32 v10, 0x3fb8aa3b, v5 :: v_dual_sub_f32 v9, v9, v15
	v_dual_fmac_f32 v14, 0x32a5705f, v4 :: v_dual_sub_f32 v11, v11, v19
	v_fmac_f32_e32 v12, 0x32a5705f, v3
	s_delay_alu instid0(VALU_DEP_3) | instskip(SKIP_1) | instid1(VALU_DEP_3)
	v_fma_f32 v16, 0x3fb8aa3b, v5, -v10
	v_rndne_f32_e32 v17, v10
	v_dual_add_f32 v9, v9, v14 :: v_dual_add_f32 v2, v2, v12
	v_cvt_i32_f32_e32 v12, v13
	v_cvt_i32_f32_e32 v13, v15
	s_delay_alu instid0(VALU_DEP_3) | instskip(SKIP_3) | instid1(TRANS32_DEP_2)
	v_exp_f32_e32 v9, v9
	v_cvt_i32_f32_e32 v15, v19
	v_exp_f32_e32 v2, v2
	v_cvt_i32_f32_e32 v14, v17
	v_ldexp_f32 v9, v9, v13
	s_delay_alu instid0(TRANS32_DEP_1) | instskip(SKIP_1) | instid1(VALU_DEP_1)
	v_ldexp_f32 v2, v2, v12
	s_wait_alu 0xfffd
	v_cndmask_b32_e32 v2, 0, v2, vcc_lo
	v_cmp_ngt_f32_e32 vcc_lo, 0xc2ce8ed0, v4
	s_wait_alu 0xfffd
	v_dual_fmac_f32 v18, 0x32a5705f, v8 :: v_dual_cndmask_b32 v9, 0, v9
	s_delay_alu instid0(VALU_DEP_1) | instskip(SKIP_1) | instid1(VALU_DEP_2)
	v_dual_fmac_f32 v16, 0x32a5705f, v5 :: v_dual_add_f32 v11, v11, v18
	v_cmp_ngt_f32_e32 vcc_lo, 0xc2ce8ed0, v5
	v_exp_f32_e32 v11, v11
	s_delay_alu instid0(TRANS32_DEP_1) | instskip(SKIP_1) | instid1(VALU_DEP_1)
	v_ldexp_f32 v11, v11, v15
	v_sub_f32_e32 v10, v10, v17
	v_add_f32_e32 v10, v10, v16
	s_delay_alu instid0(VALU_DEP_1) | instskip(NEXT) | instid1(TRANS32_DEP_1)
	v_exp_f32_e32 v10, v10
	v_ldexp_f32 v10, v10, v14
	s_wait_alu 0xfffd
	s_delay_alu instid0(VALU_DEP_1)
	v_cndmask_b32_e32 v10, 0, v10, vcc_lo
	v_cmp_nlt_f32_e32 vcc_lo, 0x42b17218, v3
	s_wait_alu 0xfffd
	v_cndmask_b32_e32 v12, 0x7f800000, v2, vcc_lo
	v_cmp_ngt_f32_e32 vcc_lo, 0xc2ce8ed0, v8
	s_wait_alu 0xfffd
	v_cndmask_b32_e32 v3, 0, v11, vcc_lo
	v_cmp_nlt_f32_e32 vcc_lo, 0x42b17218, v5
	s_wait_alu 0xfffd
	v_cndmask_b32_e32 v5, 0x7f800000, v10, vcc_lo
	v_cmp_nlt_f32_e32 vcc_lo, 0x42b17218, v4
	v_cvt_f16_f32_e32 v10, v12
	s_delay_alu instid0(VALU_DEP_3)
	v_cvt_f16_f32_e32 v4, v5
	s_wait_alu 0xfffd
	v_cndmask_b32_e32 v2, 0x7f800000, v9, vcc_lo
	v_cmp_nlt_f32_e32 vcc_lo, 0x42b17218, v8
	v_and_b32_e32 v8, 0xffff, v10
	v_and_b32_e32 v4, 0xffff, v4
	s_wait_alu 0xfffd
	v_cndmask_b32_e32 v3, 0x7f800000, v3, vcc_lo
	s_delay_alu instid0(VALU_DEP_2) | instskip(NEXT) | instid1(VALU_DEP_2)
	v_mul_u32_u24_e32 v4, 0x10001, v4
	v_fmac_f32_e32 v3, v1, v5
	v_mul_u32_u24_e32 v5, 0x10001, v8
	s_delay_alu instid0(VALU_DEP_3) | instskip(SKIP_2) | instid1(VALU_DEP_4)
	v_pk_mul_f16 v29, v29, v4
	v_pk_mul_f16 v34, v34, v4
	;; [unrolled: 1-line block ×8, first 2 shown]
	v_dual_mov_b32 v4, v6 :: v_dual_mov_b32 v5, v7
	v_fmac_f32_e32 v2, v0, v12
	s_delay_alu instid0(VALU_DEP_1)
	v_dual_mov_b32 v0, v2 :: v_dual_mov_b32 v1, v3
	s_mov_b32 s2, exec_lo
	v_cmpx_gt_i32_e64 s22, v26
	s_cbranch_execnz .LBB71_52
.LBB71_50:
	s_nop 0
	s_sendmsg sendmsg(MSG_DEALLOC_VGPRS)
	s_endpgm
.LBB71_51:
	s_delay_alu instid0(VALU_DEP_1)
	v_dual_mov_b32 v2, v0 :: v_dual_mov_b32 v3, v1
	s_mov_b32 s2, exec_lo
	v_cmpx_gt_i32_e64 s22, v26
	s_cbranch_execz .LBB71_50
.LBB71_52:
	s_load_b32 s1, s[0:1], 0xd4
	v_mov_b32_e32 v8, 1.0
	s_wait_kmcnt 0x0
	s_cmp_lg_u32 s1, 1
	s_cselect_b32 s4, -1, 0
	s_cmp_eq_u32 s1, 1
	s_cselect_b32 s2, -1, 0
	s_wait_alu 0xfffe
	s_and_b32 vcc_lo, exec_lo, s4
	s_wait_alu 0xfffe
	s_cbranch_vccnz .LBB71_54
; %bb.53:
	v_div_scale_f32 v6, null, v2, v2, 1.0
	s_delay_alu instid0(VALU_DEP_1) | instskip(NEXT) | instid1(TRANS32_DEP_1)
	v_rcp_f32_e32 v7, v6
	v_fma_f32 v8, -v6, v7, 1.0
	s_delay_alu instid0(VALU_DEP_1) | instskip(SKIP_1) | instid1(VALU_DEP_1)
	v_fmac_f32_e32 v7, v8, v7
	v_div_scale_f32 v8, vcc_lo, 1.0, v2, 1.0
	v_mul_f32_e32 v9, v8, v7
	s_delay_alu instid0(VALU_DEP_1) | instskip(NEXT) | instid1(VALU_DEP_1)
	v_fma_f32 v10, -v6, v9, v8
	v_fmac_f32_e32 v9, v10, v7
	s_delay_alu instid0(VALU_DEP_1) | instskip(SKIP_1) | instid1(VALU_DEP_1)
	v_fma_f32 v6, -v6, v9, v8
	s_wait_alu 0xfffd
	v_div_fmas_f32 v6, v6, v7, v9
	s_delay_alu instid0(VALU_DEP_1)
	v_div_fixup_f32 v8, v6, v2, 1.0
.LBB71_54:
	s_mul_i32 s3, s36, s22
	v_cvt_f32_f16_e32 v9, v39
	s_wait_alu 0xfffe
	s_add_co_i32 s3, s3, s10
	v_lshrrev_b32_e32 v10, 16, v30
	s_wait_alu 0xfffe
	v_add_nc_u32_e32 v2, s3, v24
	v_cvt_f32_f16_e32 v12, v30
	v_dual_mul_f32 v11, v8, v9 :: v_dual_mov_b32 v18, 0
	v_lshrrev_b32_e32 v13, 16, v38
	s_delay_alu instid0(VALU_DEP_4)
	v_mad_co_u64_u32 v[6:7], null, v2, s23, s[34:35]
	v_lshrrev_b32_e32 v2, 16, v39
	v_lshrrev_b32_e32 v14, 16, v36
	v_cvt_f32_f16_e32 v16, v36
	v_cvt_f32_f16_e32 v10, v10
	v_mul_f32_e32 v9, v8, v12
	v_cvt_f32_f16_e32 v2, v2
	v_mad_co_u64_u32 v[6:7], null, s1, v6, s[8:9]
	v_cvt_f32_f16_e32 v7, v38
	v_cvt_f32_f16_e32 v21, v13
	v_mul_f32_e32 v13, v8, v16
	v_mul_f32_e32 v10, v8, v10
	v_cmp_eq_u32_e32 vcc_lo, 0, v27
	v_mul_f32_e32 v15, v8, v7
	v_lshl_add_u32 v17, v6, 8, v25
	v_cvt_f32_f16_e32 v7, v14
	v_mul_f32_e32 v16, v8, v21
	v_mul_f32_e32 v12, v8, v2
	s_delay_alu instid0(VALU_DEP_4) | instskip(NEXT) | instid1(VALU_DEP_4)
	v_lshlrev_b64_e32 v[19:20], 2, v[17:18]
	v_dual_mul_f32 v14, v8, v7 :: v_dual_add_nc_u32 v17, 0x80, v17
	s_delay_alu instid0(VALU_DEP_1) | instskip(NEXT) | instid1(VALU_DEP_3)
	v_lshlrev_b64_e32 v[7:8], 2, v[17:18]
	v_add_co_u32 v17, s0, s16, v19
	s_wait_alu 0xf1ff
	s_delay_alu instid0(VALU_DEP_4) | instskip(NEXT) | instid1(VALU_DEP_3)
	v_add_co_ci_u32_e64 v18, null, s17, v20, s0
	v_add_co_u32 v7, s0, s16, v7
	s_wait_alu 0xf1ff
	v_add_co_ci_u32_e64 v8, null, s17, v8, s0
	s_and_b32 s0, vcc_lo, s4
	s_clause 0x1
	global_store_b128 v[17:18], v[9:12], off
	global_store_b128 v[7:8], v[13:16], off
	s_wait_alu 0xfffe
	s_and_saveexec_b32 s4, s0
	s_cbranch_execz .LBB71_56
; %bb.55:
	v_ashrrev_i32_e32 v7, 31, v6
	v_dual_mov_b32 v8, v4 :: v_dual_mov_b32 v9, v0
	s_delay_alu instid0(VALU_DEP_2) | instskip(NEXT) | instid1(VALU_DEP_1)
	v_lshlrev_b64_e32 v[6:7], 3, v[6:7]
	v_add_co_u32 v6, vcc_lo, s18, v6
	s_wait_alu 0xfffd
	s_delay_alu instid0(VALU_DEP_2)
	v_add_co_ci_u32_e64 v7, null, s19, v7, vcc_lo
	global_store_b64 v[6:7], v[8:9], off
.LBB71_56:
	s_wait_alu 0xfffe
	s_or_b32 exec_lo, exec_lo, s4
	v_cmp_gt_i32_e32 vcc_lo, s22, v23
	s_and_b32 exec_lo, exec_lo, vcc_lo
	s_cbranch_execz .LBB71_50
; %bb.57:
	v_mov_b32_e32 v0, 1.0
	s_and_not1_b32 vcc_lo, exec_lo, s2
	s_wait_alu 0xfffe
	s_cbranch_vccnz .LBB71_59
; %bb.58:
	v_div_scale_f32 v0, null, v3, v3, 1.0
	s_delay_alu instid0(VALU_DEP_1) | instskip(NEXT) | instid1(TRANS32_DEP_1)
	v_rcp_f32_e32 v2, v0
	v_fma_f32 v4, -v0, v2, 1.0
	s_delay_alu instid0(VALU_DEP_1) | instskip(SKIP_1) | instid1(VALU_DEP_1)
	v_fmac_f32_e32 v2, v4, v2
	v_div_scale_f32 v4, vcc_lo, 1.0, v3, 1.0
	v_mul_f32_e32 v6, v4, v2
	s_delay_alu instid0(VALU_DEP_1) | instskip(NEXT) | instid1(VALU_DEP_1)
	v_fma_f32 v7, -v0, v6, v4
	v_fmac_f32_e32 v6, v7, v2
	s_delay_alu instid0(VALU_DEP_1) | instskip(SKIP_1) | instid1(VALU_DEP_1)
	v_fma_f32 v0, -v0, v6, v4
	s_wait_alu 0xfffd
	v_div_fmas_f32 v0, v0, v2, v6
	s_delay_alu instid0(VALU_DEP_1)
	v_div_fixup_f32 v0, v0, v3, 1.0
.LBB71_59:
	v_lshrrev_b32_e32 v6, 16, v34
	v_cvt_f32_f16_e32 v7, v34
	v_lshrrev_b32_e32 v9, 16, v29
	v_cvt_f32_f16_e32 v10, v29
	v_cvt_f32_f16_e32 v14, v33
	v_cvt_f32_f16_e32 v16, v6
	v_add_nc_u32_e32 v2, s3, v22
	v_mul_f32_e32 v8, v0, v7
	v_cvt_f32_f16_e32 v7, v9
	v_mul_f32_e32 v6, v0, v10
	v_mul_f32_e32 v9, v0, v16
	v_mad_co_u64_u32 v[2:3], null, v2, s23, s[34:35]
	v_mul_f32_e32 v10, v0, v14
	v_lshrrev_b32_e32 v11, 16, v32
	v_lshrrev_b32_e32 v13, 16, v33
	v_cvt_f32_f16_e32 v12, v32
	v_mul_f32_e32 v7, v0, v7
	v_mad_co_u64_u32 v[2:3], null, s1, v2, s[8:9]
	v_cvt_f32_f16_e32 v11, v11
	v_cvt_f32_f16_e32 v17, v13
	v_mul_f32_e32 v12, v0, v12
	s_delay_alu instid0(VALU_DEP_3) | instskip(SKIP_1) | instid1(VALU_DEP_4)
	v_mul_f32_e32 v13, v0, v11
	v_lshl_add_u32 v3, v2, 8, v25
	v_dual_mov_b32 v4, 0 :: v_dual_mul_f32 v11, v0, v17
	s_delay_alu instid0(VALU_DEP_1) | instskip(SKIP_1) | instid1(VALU_DEP_1)
	v_lshlrev_b64_e32 v[14:15], 2, v[3:4]
	v_add_nc_u32_e32 v3, 0x80, v3
	v_lshlrev_b64_e32 v[3:4], 2, v[3:4]
	s_delay_alu instid0(VALU_DEP_3) | instskip(SKIP_1) | instid1(VALU_DEP_4)
	v_add_co_u32 v14, vcc_lo, s16, v14
	s_wait_alu 0xfffd
	v_add_co_ci_u32_e64 v15, null, s17, v15, vcc_lo
	s_delay_alu instid0(VALU_DEP_3)
	v_add_co_u32 v3, vcc_lo, s16, v3
	s_wait_alu 0xfffd
	v_add_co_ci_u32_e64 v4, null, s17, v4, vcc_lo
	s_clause 0x1
	global_store_b128 v[14:15], v[6:9], off
	global_store_b128 v[3:4], v[10:13], off
	s_and_b32 exec_lo, exec_lo, s0
	s_cbranch_execz .LBB71_50
; %bb.60:
	v_ashrrev_i32_e32 v3, 31, v2
	v_mov_b32_e32 v0, v5
	s_delay_alu instid0(VALU_DEP_2) | instskip(NEXT) | instid1(VALU_DEP_1)
	v_lshlrev_b64_e32 v[2:3], 3, v[2:3]
	v_add_co_u32 v2, vcc_lo, s18, v2
	s_wait_alu 0xfffd
	s_delay_alu instid0(VALU_DEP_2)
	v_add_co_ci_u32_e64 v3, null, s19, v3, vcc_lo
	global_store_b64 v[2:3], v[0:1], off
	s_nop 0
	s_sendmsg sendmsg(MSG_DEALLOC_VGPRS)
	s_endpgm
	.section	.rodata,"a",@progbits
	.p2align	6, 0x0
	.amdhsa_kernel _ZL15flash_attn_tileILi256ELi256ELi16ELi1ELb1EEvPKcS1_S1_S1_S1_PKiPfP15HIP_vector_typeIfLj2EEffffjfiS5_IjLj3EEiiiiiiiiiiiliiliiiiil
		.amdhsa_group_segment_fixed_size 26112
		.amdhsa_private_segment_fixed_size 32
		.amdhsa_kernarg_size 464
		.amdhsa_user_sgpr_count 2
		.amdhsa_user_sgpr_dispatch_ptr 0
		.amdhsa_user_sgpr_queue_ptr 0
		.amdhsa_user_sgpr_kernarg_segment_ptr 1
		.amdhsa_user_sgpr_dispatch_id 0
		.amdhsa_user_sgpr_private_segment_size 0
		.amdhsa_wavefront_size32 1
		.amdhsa_uses_dynamic_stack 0
		.amdhsa_enable_private_segment 1
		.amdhsa_system_sgpr_workgroup_id_x 1
		.amdhsa_system_sgpr_workgroup_id_y 1
		.amdhsa_system_sgpr_workgroup_id_z 1
		.amdhsa_system_sgpr_workgroup_info 0
		.amdhsa_system_vgpr_workitem_id 1
		.amdhsa_next_free_vgpr 229
		.amdhsa_next_free_sgpr 48
		.amdhsa_reserve_vcc 1
		.amdhsa_float_round_mode_32 0
		.amdhsa_float_round_mode_16_64 0
		.amdhsa_float_denorm_mode_32 3
		.amdhsa_float_denorm_mode_16_64 3
		.amdhsa_fp16_overflow 0
		.amdhsa_workgroup_processor_mode 1
		.amdhsa_memory_ordered 1
		.amdhsa_forward_progress 1
		.amdhsa_inst_pref_size 157
		.amdhsa_round_robin_scheduling 0
		.amdhsa_exception_fp_ieee_invalid_op 0
		.amdhsa_exception_fp_denorm_src 0
		.amdhsa_exception_fp_ieee_div_zero 0
		.amdhsa_exception_fp_ieee_overflow 0
		.amdhsa_exception_fp_ieee_underflow 0
		.amdhsa_exception_fp_ieee_inexact 0
		.amdhsa_exception_int_div_zero 0
	.end_amdhsa_kernel
	.section	.text._ZL15flash_attn_tileILi256ELi256ELi16ELi1ELb1EEvPKcS1_S1_S1_S1_PKiPfP15HIP_vector_typeIfLj2EEffffjfiS5_IjLj3EEiiiiiiiiiiiliiliiiiil,"axG",@progbits,_ZL15flash_attn_tileILi256ELi256ELi16ELi1ELb1EEvPKcS1_S1_S1_S1_PKiPfP15HIP_vector_typeIfLj2EEffffjfiS5_IjLj3EEiiiiiiiiiiiliiliiiiil,comdat
.Lfunc_end71:
	.size	_ZL15flash_attn_tileILi256ELi256ELi16ELi1ELb1EEvPKcS1_S1_S1_S1_PKiPfP15HIP_vector_typeIfLj2EEffffjfiS5_IjLj3EEiiiiiiiiiiiliiliiiiil, .Lfunc_end71-_ZL15flash_attn_tileILi256ELi256ELi16ELi1ELb1EEvPKcS1_S1_S1_S1_PKiPfP15HIP_vector_typeIfLj2EEffffjfiS5_IjLj3EEiiiiiiiiiiiliiliiiiil
                                        ; -- End function
	.set _ZL15flash_attn_tileILi256ELi256ELi16ELi1ELb1EEvPKcS1_S1_S1_S1_PKiPfP15HIP_vector_typeIfLj2EEffffjfiS5_IjLj3EEiiiiiiiiiiiliiliiiiil.num_vgpr, 229
	.set _ZL15flash_attn_tileILi256ELi256ELi16ELi1ELb1EEvPKcS1_S1_S1_S1_PKiPfP15HIP_vector_typeIfLj2EEffffjfiS5_IjLj3EEiiiiiiiiiiiliiliiiiil.num_agpr, 0
	.set _ZL15flash_attn_tileILi256ELi256ELi16ELi1ELb1EEvPKcS1_S1_S1_S1_PKiPfP15HIP_vector_typeIfLj2EEffffjfiS5_IjLj3EEiiiiiiiiiiiliiliiiiil.numbered_sgpr, 48
	.set _ZL15flash_attn_tileILi256ELi256ELi16ELi1ELb1EEvPKcS1_S1_S1_S1_PKiPfP15HIP_vector_typeIfLj2EEffffjfiS5_IjLj3EEiiiiiiiiiiiliiliiiiil.num_named_barrier, 0
	.set _ZL15flash_attn_tileILi256ELi256ELi16ELi1ELb1EEvPKcS1_S1_S1_S1_PKiPfP15HIP_vector_typeIfLj2EEffffjfiS5_IjLj3EEiiiiiiiiiiiliiliiiiil.private_seg_size, 32
	.set _ZL15flash_attn_tileILi256ELi256ELi16ELi1ELb1EEvPKcS1_S1_S1_S1_PKiPfP15HIP_vector_typeIfLj2EEffffjfiS5_IjLj3EEiiiiiiiiiiiliiliiiiil.uses_vcc, 1
	.set _ZL15flash_attn_tileILi256ELi256ELi16ELi1ELb1EEvPKcS1_S1_S1_S1_PKiPfP15HIP_vector_typeIfLj2EEffffjfiS5_IjLj3EEiiiiiiiiiiiliiliiiiil.uses_flat_scratch, 1
	.set _ZL15flash_attn_tileILi256ELi256ELi16ELi1ELb1EEvPKcS1_S1_S1_S1_PKiPfP15HIP_vector_typeIfLj2EEffffjfiS5_IjLj3EEiiiiiiiiiiiliiliiiiil.has_dyn_sized_stack, 0
	.set _ZL15flash_attn_tileILi256ELi256ELi16ELi1ELb1EEvPKcS1_S1_S1_S1_PKiPfP15HIP_vector_typeIfLj2EEffffjfiS5_IjLj3EEiiiiiiiiiiiliiliiiiil.has_recursion, 0
	.set _ZL15flash_attn_tileILi256ELi256ELi16ELi1ELb1EEvPKcS1_S1_S1_S1_PKiPfP15HIP_vector_typeIfLj2EEffffjfiS5_IjLj3EEiiiiiiiiiiiliiliiiiil.has_indirect_call, 0
	.section	.AMDGPU.csdata,"",@progbits
; Kernel info:
; codeLenInByte = 20000
; TotalNumSgprs: 50
; NumVgprs: 229
; ScratchSize: 32
; MemoryBound: 0
; FloatMode: 240
; IeeeMode: 1
; LDSByteSize: 26112 bytes/workgroup (compile time only)
; SGPRBlocks: 0
; VGPRBlocks: 28
; NumSGPRsForWavesPerEU: 50
; NumVGPRsForWavesPerEU: 229
; Occupancy: 6
; WaveLimiterHint : 1
; COMPUTE_PGM_RSRC2:SCRATCH_EN: 1
; COMPUTE_PGM_RSRC2:USER_SGPR: 2
; COMPUTE_PGM_RSRC2:TRAP_HANDLER: 0
; COMPUTE_PGM_RSRC2:TGID_X_EN: 1
; COMPUTE_PGM_RSRC2:TGID_Y_EN: 1
; COMPUTE_PGM_RSRC2:TGID_Z_EN: 1
; COMPUTE_PGM_RSRC2:TIDIG_COMP_CNT: 1
	.section	.text._ZL15flash_attn_tileILi256ELi256ELi8ELi1ELb1EEvPKcS1_S1_S1_S1_PKiPfP15HIP_vector_typeIfLj2EEffffjfiS5_IjLj3EEiiiiiiiiiiiliiliiiiil,"axG",@progbits,_ZL15flash_attn_tileILi256ELi256ELi8ELi1ELb1EEvPKcS1_S1_S1_S1_PKiPfP15HIP_vector_typeIfLj2EEffffjfiS5_IjLj3EEiiiiiiiiiiiliiliiiiil,comdat
	.globl	_ZL15flash_attn_tileILi256ELi256ELi8ELi1ELb1EEvPKcS1_S1_S1_S1_PKiPfP15HIP_vector_typeIfLj2EEffffjfiS5_IjLj3EEiiiiiiiiiiiliiliiiiil ; -- Begin function _ZL15flash_attn_tileILi256ELi256ELi8ELi1ELb1EEvPKcS1_S1_S1_S1_PKiPfP15HIP_vector_typeIfLj2EEffffjfiS5_IjLj3EEiiiiiiiiiiiliiliiiiil
	.p2align	8
	.type	_ZL15flash_attn_tileILi256ELi256ELi8ELi1ELb1EEvPKcS1_S1_S1_S1_PKiPfP15HIP_vector_typeIfLj2EEffffjfiS5_IjLj3EEiiiiiiiiiiiliiliiiiil,@function
_ZL15flash_attn_tileILi256ELi256ELi8ELi1ELb1EEvPKcS1_S1_S1_S1_PKiPfP15HIP_vector_typeIfLj2EEffffjfiS5_IjLj3EEiiiiiiiiiiiliiliiiiil: ; @_ZL15flash_attn_tileILi256ELi256ELi8ELi1ELb1EEvPKcS1_S1_S1_S1_PKiPfP15HIP_vector_typeIfLj2EEffffjfiS5_IjLj3EEiiiiiiiiiiiliiliiiiil
; %bb.0:
	s_clause 0x1
	s_load_b128 s[20:23], s[0:1], 0x5c
	s_load_b64 s[2:3], s[0:1], 0x80
	s_lshr_b32 s6, ttmp7, 16
	s_load_b64 s[30:31], s[0:1], 0xb8
	s_mov_b32 s41, 0
	s_mov_b64 s[38:39], 0
	s_wait_kmcnt 0x0
	s_cvt_f32_u32 s4, s23
	s_sub_co_i32 s5, 0, s23
	s_delay_alu instid0(SALU_CYCLE_2) | instskip(NEXT) | instid1(TRANS32_DEP_1)
	v_rcp_iflag_f32_e32 v1, s4
	v_readfirstlane_b32 s4, v1
	s_mul_f32 s4, s4, 0x4f7ffffe
	s_wait_alu 0xfffe
	s_delay_alu instid0(SALU_CYCLE_2) | instskip(SKIP_1) | instid1(SALU_CYCLE_2)
	s_cvt_u32_f32 s4, s4
	s_wait_alu 0xfffe
	s_mul_i32 s5, s5, s4
	s_wait_alu 0xfffe
	s_mul_hi_u32 s5, s4, s5
	s_wait_alu 0xfffe
	s_add_co_i32 s4, s4, s5
	s_wait_alu 0xfffe
	s_mul_hi_u32 s4, s6, s4
	s_wait_alu 0xfffe
	s_mul_i32 s5, s4, s23
	s_add_co_i32 s7, s4, 1
	s_wait_alu 0xfffe
	s_sub_co_i32 s5, s6, s5
	s_wait_alu 0xfffe
	s_sub_co_i32 s8, s5, s23
	s_cmp_ge_u32 s5, s23
	s_cselect_b32 s4, s7, s4
	s_cselect_b32 s5, s8, s5
	s_wait_alu 0xfffe
	s_add_co_i32 s7, s4, 1
	s_cmp_ge_u32 s5, s23
	s_cselect_b32 s36, s7, s4
	s_abs_i32 s4, s3
	s_abs_i32 s9, s23
	s_wait_alu 0xfffe
	s_cvt_f32_u32 s5, s4
	s_sub_co_i32 s7, 0, s4
	s_mul_i32 s8, s36, s23
	s_xor_b32 s3, s23, s3
	s_wait_alu 0xfffe
	v_rcp_iflag_f32_e32 v1, s5
	s_sub_co_i32 s34, s6, s8
	s_ashr_i32 s3, s3, 31
	s_delay_alu instid0(TRANS32_DEP_1) | instskip(SKIP_2) | instid1(SALU_CYCLE_2)
	v_readfirstlane_b32 s5, v1
	s_mul_f32 s5, s5, 0x4f7ffffe
	s_wait_alu 0xfffe
	s_cvt_u32_f32 s5, s5
	s_wait_alu 0xfffe
	s_delay_alu instid0(SALU_CYCLE_2) | instskip(NEXT) | instid1(SALU_CYCLE_1)
	s_mul_i32 s7, s7, s5
	s_mul_hi_u32 s7, s5, s7
	s_delay_alu instid0(SALU_CYCLE_1)
	s_add_co_i32 s5, s5, s7
	s_wait_alu 0xfffe
	s_mul_hi_u32 s5, s9, s5
	s_wait_alu 0xfffe
	s_mul_i32 s6, s5, s4
	s_add_co_i32 s7, s5, 1
	s_sub_co_i32 s6, s9, s6
	s_delay_alu instid0(SALU_CYCLE_1)
	s_sub_co_i32 s8, s6, s4
	s_cmp_ge_u32 s6, s4
	s_cselect_b32 s5, s7, s5
	s_cselect_b32 s6, s8, s6
	s_wait_alu 0xfffe
	s_add_co_i32 s7, s5, 1
	s_cmp_ge_u32 s6, s4
	s_cselect_b32 s4, s7, s5
	s_abs_i32 s40, s34
	s_wait_alu 0xfffe
	s_xor_b32 s4, s4, s3
	s_wait_alu 0xfffe
	s_sub_co_i32 s37, s4, s3
	s_delay_alu instid0(SALU_CYCLE_1) | instskip(NEXT) | instid1(SALU_CYCLE_1)
	s_abs_i32 s3, s37
	s_cvt_f32_u32 s4, s3
	s_sub_co_i32 s25, 0, s3
	s_wait_alu 0xfffe
	s_delay_alu instid0(SALU_CYCLE_1) | instskip(SKIP_1) | instid1(TRANS32_DEP_1)
	v_rcp_iflag_f32_e32 v1, s4
	s_load_b512 s[4:19], s[0:1], 0x0
	v_readfirstlane_b32 s24, v1
	s_mul_f32 s24, s24, 0x4f7ffffe
	s_delay_alu instid0(SALU_CYCLE_3) | instskip(NEXT) | instid1(SALU_CYCLE_3)
	s_cvt_u32_f32 s24, s24
	s_mul_i32 s25, s25, s24
	s_delay_alu instid0(SALU_CYCLE_1) | instskip(NEXT) | instid1(SALU_CYCLE_1)
	s_mul_hi_u32 s25, s24, s25
	s_add_co_i32 s42, s24, s25
	s_wait_kmcnt 0x0
	s_cmp_eq_u64 s[10:11], 0
	s_cbranch_scc1 .LBB72_2
; %bb.1:
	s_abs_i32 s26, s30
	s_delay_alu instid0(SALU_CYCLE_1) | instskip(NEXT) | instid1(SALU_CYCLE_3)
	s_cvt_f32_u32 s24, s26
	v_rcp_iflag_f32_e32 v1, s24
	s_delay_alu instid0(TRANS32_DEP_1) | instskip(SKIP_2) | instid1(SALU_CYCLE_2)
	v_readfirstlane_b32 s24, v1
	s_mul_f32 s24, s24, 0x4f7ffffe
	s_wait_alu 0xfffe
	s_cvt_u32_f32 s27, s24
	s_sub_co_i32 s24, 0, s26
	s_wait_alu 0xfffe
	s_delay_alu instid0(SALU_CYCLE_1) | instskip(SKIP_4) | instid1(SALU_CYCLE_1)
	s_mul_i32 s24, s24, s27
	s_wait_alu 0xfffe
	s_mul_hi_u32 s28, s27, s24
	s_load_b64 s[24:25], s[0:1], 0xc8
	s_add_co_i32 s27, s27, s28
	s_mul_hi_u32 s27, s36, s27
	s_delay_alu instid0(SALU_CYCLE_1) | instskip(NEXT) | instid1(SALU_CYCLE_1)
	s_mul_i32 s27, s27, s26
	s_sub_co_i32 s27, s36, s27
	s_delay_alu instid0(SALU_CYCLE_1) | instskip(SKIP_2) | instid1(SALU_CYCLE_1)
	s_sub_co_i32 s28, s27, s26
	s_cmp_ge_u32 s27, s26
	s_cselect_b32 s27, s28, s27
	s_sub_co_i32 s28, s27, s26
	s_cmp_ge_u32 s27, s26
	s_cselect_b32 s26, s28, s27
	s_delay_alu instid0(SALU_CYCLE_1)
	s_ashr_i32 s27, s26, 31
	s_wait_kmcnt 0x0
	s_mul_u64 s[24:25], s[24:25], s[26:27]
	s_wait_alu 0xfffe
	s_add_nc_u64 s[38:39], s[10:11], s[24:25]
.LBB72_2:
	s_clause 0x1
	s_load_b128 s[24:27], s[0:1], 0x40
	s_load_b64 s[10:11], s[0:1], 0x50
	v_mov_b32_e32 v56, 1.0
	s_mov_b32 s43, s41
	s_wait_kmcnt 0x0
	s_cmp_le_f32 s25, 0
	s_cbranch_scc1 .LBB72_4
; %bb.3:
	v_sub_co_u32 v1, s10, s34, s10
	s_and_b32 s28, s10, exec_lo
	s_cselect_b32 s26, s26, s27
	s_add_co_i32 s27, s34, 1
	v_readfirstlane_b32 s25, v1
	s_lshl_b32 s25, s25, 1
	s_wait_alu 0xfffe
	s_or_b32 s25, s25, 1
	s_and_b32 s10, s10, exec_lo
	s_wait_alu 0xfffe
	s_cselect_b32 s10, s27, s25
	s_cmp_neq_f32 s26, 1.0
	s_wait_alu 0xfffe
	s_cvt_f32_i32 s10, s10
	s_wait_alu 0xfffe
	s_delay_alu instid0(SALU_CYCLE_2)
	s_cselect_b32 s25, s10, 1.0
	s_wait_alu 0xfffe
	s_cmp_neq_f32 s25, 0
	s_cselect_b32 s10, s26, 1.0
	s_wait_alu 0xfffe
	v_frexp_mant_f32_e64 v1, |s10|
	s_delay_alu instid0(VALU_DEP_1) | instskip(SKIP_3) | instid1(SALU_CYCLE_1)
	v_readfirstlane_b32 s26, v1
	v_cvt_f64_f32_e64 v[1:2], |s10|
	s_cmp_lt_f32 s26, 0x3f2aaaab
	s_cselect_b32 s27, -1, 0
	s_and_b32 s28, s27, exec_lo
	s_cselect_b32 s28, 2.0, 1.0
	s_delay_alu instid0(SALU_CYCLE_1) | instskip(NEXT) | instid1(SALU_CYCLE_3)
	s_mul_f32 s26, s26, s28
	s_add_f32 s28, s26, 1.0
	s_add_f32 s30, s26, -1.0
	s_delay_alu instid0(SALU_CYCLE_2) | instskip(SKIP_1) | instid1(SALU_CYCLE_3)
	v_s_rcp_f32 s29, s28
	s_add_f32 s44, s28, -1.0
	s_sub_f32 s26, s26, s44
	s_delay_alu instid0(TRANS32_DEP_1) | instskip(NEXT) | instid1(SALU_CYCLE_3)
	s_mul_f32 s33, s30, s29
	s_mul_f32 s35, s28, s33
	s_wait_alu 0xfffe
	s_delay_alu instid0(SALU_CYCLE_2) | instskip(NEXT) | instid1(VALU_DEP_1)
	s_xor_b32 s45, s35, 0x80000000
	v_frexp_exp_i32_f64_e32 v1, v[1:2]
	s_fmac_f32 s45, s33, s28
	s_delay_alu instid0(SALU_CYCLE_3) | instskip(NEXT) | instid1(SALU_CYCLE_3)
	s_fmac_f32 s45, s33, s26
	s_add_f32 s26, s35, s45
	s_delay_alu instid0(SALU_CYCLE_3) | instskip(SKIP_2) | instid1(SALU_CYCLE_1)
	s_sub_f32 s28, s30, s26
	s_sub_f32 s35, s26, s35
	s_wait_alu 0xfffe
	s_sub_f32 s30, s30, s28
	s_delay_alu instid0(SALU_CYCLE_1) | instskip(NEXT) | instid1(SALU_CYCLE_2)
	s_sub_f32 s35, s35, s45
	s_sub_f32 s26, s30, s26
	s_wait_alu 0xfffe
	s_delay_alu instid0(SALU_CYCLE_2) | instskip(SKIP_1) | instid1(SALU_CYCLE_2)
	s_add_f32 s26, s35, s26
	s_mov_b32 s35, 0x3e76c4e1
	s_add_f32 s26, s28, s26
	s_delay_alu instid0(SALU_CYCLE_3) | instskip(NEXT) | instid1(SALU_CYCLE_3)
	s_mul_f32 s26, s29, s26
	s_add_f32 s28, s33, s26
	s_wait_alu 0xfffe
	s_delay_alu instid0(SALU_CYCLE_2) | instskip(SKIP_2) | instid1(SALU_CYCLE_1)
	s_sub_f32 s29, s28, s33
	s_mul_f32 s30, s28, s28
	s_wait_alu 0xfffe
	s_sub_f32 s26, s26, s29
	s_delay_alu instid0(SALU_CYCLE_1) | instskip(SKIP_4) | instid1(SALU_CYCLE_2)
	s_xor_b32 s29, s30, 0x80000000
	s_wait_alu 0xfffe
	s_fmac_f32 s29, s28, s28
	s_add_f32 s33, s26, s26
	s_wait_alu 0xfffe
	s_fmac_f32 s29, s28, s33
	s_wait_alu 0xfffe
	s_delay_alu instid0(SALU_CYCLE_2) | instskip(NEXT) | instid1(SALU_CYCLE_3)
	s_add_f32 s33, s30, s29
	s_fmaak_f32 s35, s33, s35, 0x3e91f4c4
	s_sub_f32 s30, s33, s30
	s_wait_alu 0xfffe
	s_delay_alu instid0(SALU_CYCLE_1) | instskip(NEXT) | instid1(SALU_CYCLE_1)
	s_fmaak_f32 s35, s33, s35, 0x3ecccdef
	s_sub_f32 s29, s29, s30
	s_mul_f32 s30, s28, s33
	s_wait_alu 0xfffe
	s_mul_f32 s44, s33, s35
	s_delay_alu instid0(SALU_CYCLE_1) | instskip(NEXT) | instid1(SALU_CYCLE_2)
	s_xor_b32 s46, s30, 0x80000000
	s_xor_b32 s45, s44, 0x80000000
	s_fmac_f32 s46, s33, s28
	s_fmac_f32 s45, s33, s35
	s_delay_alu instid0(SALU_CYCLE_2) | instskip(NEXT) | instid1(SALU_CYCLE_2)
	s_fmac_f32 s46, s33, s26
	s_fmac_f32 s45, s29, s35
	s_delay_alu instid0(SALU_CYCLE_2) | instskip(NEXT) | instid1(SALU_CYCLE_2)
	s_fmac_f32 s46, s29, s28
	s_add_f32 s35, s44, s45
	s_wait_alu 0xfffe
	s_delay_alu instid0(SALU_CYCLE_2) | instskip(SKIP_1) | instid1(SALU_CYCLE_2)
	s_sub_f32 s44, s35, s44
	s_add_f32 s47, s35, 0x3f2aaaaa
	s_sub_f32 s44, s45, s44
	s_delay_alu instid0(SALU_CYCLE_2) | instskip(NEXT) | instid1(SALU_CYCLE_2)
	s_add_f32 s45, s47, 0xbf2aaaaa
	s_add_f32 s33, s44, 0x31739010
	s_delay_alu instid0(SALU_CYCLE_2) | instskip(SKIP_1) | instid1(SALU_CYCLE_2)
	s_sub_f32 s35, s35, s45
	s_wait_alu 0xfffe
	s_add_f32 s29, s33, s35
	s_add_f32 s33, s30, s46
	s_wait_alu 0xfffe
	s_delay_alu instid0(SALU_CYCLE_1) | instskip(NEXT) | instid1(SALU_CYCLE_1)
	s_add_f32 s35, s47, s29
	s_sub_f32 s30, s33, s30
	s_wait_alu 0xfffe
	s_delay_alu instid0(SALU_CYCLE_1) | instskip(SKIP_2) | instid1(SALU_CYCLE_1)
	s_mul_f32 s44, s33, s35
	s_sub_f32 s45, s47, s35
	s_sub_f32 s30, s46, s30
	s_xor_b32 s47, s44, 0x80000000
	s_delay_alu instid0(SALU_CYCLE_1)
	s_add_f32 s29, s29, s45
	s_fmac_f32 s47, s33, s35
	v_readfirstlane_b32 s45, v1
	v_ldexp_f32 v1, s28, 1
	s_cmp_lg_u32 s27, 0
	s_wait_alu 0xfffe
	s_fmac_f32 s47, s33, s29
	s_sub_co_ci_u32 s27, s45, 0
	v_readfirstlane_b32 s28, v1
	s_delay_alu instid0(SALU_CYCLE_1) | instskip(SKIP_2) | instid1(SALU_CYCLE_1)
	s_fmac_f32 s47, s30, s35
	s_cvt_f32_i32 s27, s27
	v_ldexp_f32 v1, s26, 1
	s_add_f32 s29, s44, s47
	s_delay_alu instid0(SALU_CYCLE_1) | instskip(NEXT) | instid1(VALU_DEP_1)
	s_mul_f32 s26, s27, 0x3f317218
	v_readfirstlane_b32 s35, v1
	s_wait_alu 0xfffe
	s_add_f32 s30, s28, s29
	s_sub_f32 s33, s29, s44
	s_xor_b32 s44, s26, 0x80000000
	s_delay_alu instid0(SALU_CYCLE_1) | instskip(NEXT) | instid1(SALU_CYCLE_1)
	s_sub_f32 s28, s30, s28
	s_sub_f32 s33, s47, s33
	s_fmamk_f32 s44, s27, 0x3f317218, s44
	s_wait_alu 0xfffe
	s_sub_f32 s28, s29, s28
	s_add_f32 s29, s35, s33
	s_fmamk_f32 s27, s27, 0xb102e308, s44
	s_wait_alu 0xfffe
	s_delay_alu instid0(SALU_CYCLE_1) | instskip(NEXT) | instid1(SALU_CYCLE_1)
	s_add_f32 s28, s29, s28
	s_add_f32 s29, s26, s27
	s_wait_alu 0xfffe
	s_delay_alu instid0(SALU_CYCLE_1) | instskip(NEXT) | instid1(SALU_CYCLE_1)
	s_add_f32 s33, s30, s28
	s_sub_f32 s26, s29, s26
	s_delay_alu instid0(SALU_CYCLE_2)
	s_add_f32 s35, s29, s33
	s_sub_f32 s30, s33, s30
	s_wait_alu 0xfffe
	s_sub_f32 s26, s27, s26
	s_sub_f32 s44, s35, s29
	;; [unrolled: 1-line block ×3, first 2 shown]
	s_delay_alu instid0(SALU_CYCLE_2)
	s_sub_f32 s45, s35, s44
	s_sub_f32 s28, s33, s44
	s_wait_alu 0xfffe
	s_add_f32 s30, s26, s27
	s_sub_f32 s29, s29, s45
	s_wait_alu 0xfffe
	s_delay_alu instid0(SALU_CYCLE_2) | instskip(SKIP_2) | instid1(SALU_CYCLE_1)
	s_add_f32 s28, s28, s29
	s_sub_f32 s29, s30, s26
	s_wait_alu 0xfffe
	s_add_f32 s28, s30, s28
	s_delay_alu instid0(SALU_CYCLE_1) | instskip(SKIP_4) | instid1(SALU_CYCLE_2)
	s_sub_f32 s30, s30, s29
	s_sub_f32 s27, s27, s29
	s_wait_alu 0xfffe
	s_add_f32 s33, s35, s28
	s_sub_f32 s26, s26, s30
	s_sub_f32 s29, s33, s35
	s_wait_alu 0xfffe
	s_delay_alu instid0(SALU_CYCLE_1) | instskip(NEXT) | instid1(SALU_CYCLE_1)
	s_add_f32 s26, s27, s26
	s_sub_f32 s27, s28, s29
	s_wait_alu 0xfffe
	s_delay_alu instid0(SALU_CYCLE_2) | instskip(SKIP_1) | instid1(SALU_CYCLE_2)
	s_add_f32 s26, s26, s27
	s_wait_alu 0xfffe
	s_add_f32 s27, s33, s26
	s_wait_alu 0xfffe
	s_delay_alu instid0(SALU_CYCLE_2) | instskip(SKIP_2) | instid1(SALU_CYCLE_1)
	s_mul_f32 s28, s25, s27
	s_sub_f32 s29, s27, s33
	s_wait_alu 0xfffe
	s_xor_b32 s30, s28, 0x80000000
	s_delay_alu instid0(SALU_CYCLE_1) | instskip(SKIP_2) | instid1(SALU_CYCLE_2)
	s_sub_f32 s26, s26, s29
	s_fmac_f32 s30, s25, s27
	s_wait_alu 0xfffe
	s_fmac_f32 s30, s25, s26
	v_cmp_class_f32_e64 s26, s28, 0x204
	s_delay_alu instid0(SALU_CYCLE_2) | instskip(SKIP_2) | instid1(SALU_CYCLE_1)
	s_add_f32 s27, s28, s30
	s_and_b32 s26, s26, exec_lo
	s_wait_alu 0xfffe
	s_sub_f32 s26, s27, s28
	s_cselect_b32 s27, s28, s27
	s_wait_alu 0xfffe
	s_and_b32 s28, s27, 0x7fffffff
	s_sub_f32 s26, s30, s26
	s_wait_alu 0xfffe
	s_cmp_neq_f32 s28, 0x7f800000
	s_delay_alu instid0(SALU_CYCLE_1)
	s_cselect_b32 s26, s26, 0
	s_cmp_eq_f32 s27, 0x42b17218
	s_cselect_b32 s28, 0x37000000, 0
	s_wait_alu 0xfffe
	s_sub_f32 s27, s27, s28
	s_add_f32 s26, s28, s26
	s_wait_alu 0xfffe
	s_delay_alu instid0(SALU_CYCLE_1) | instskip(SKIP_1) | instid1(SALU_CYCLE_2)
	s_mul_f32 s29, s27, 0x3fb8aa3b
	s_wait_alu 0xfffe
	s_xor_b32 s30, s29, 0x80000000
	s_rndne_f32 s33, s29
	s_fmamk_f32 s30, s27, 0x3fb8aa3b, s30
	s_cmp_nlt_f32 s27, 0xc2ce8ed0
	s_delay_alu instid0(SALU_CYCLE_1) | instskip(NEXT) | instid1(SALU_CYCLE_1)
	s_sub_f32 s29, s29, s33
	s_fmamk_f32 s30, s27, 0x32a5705f, s30
	s_cselect_b32 vcc_lo, -1, 0
	s_cmp_ngt_f32 s27, 0x42b17218
	s_trunc_f32 s27, s25
	s_wait_alu 0xfffe
	s_add_f32 s29, s29, s30
	s_cvt_i32_f32 s30, s33
	s_wait_alu 0xfffe
	s_delay_alu instid0(SALU_CYCLE_1) | instskip(SKIP_1) | instid1(TRANS32_DEP_1)
	v_s_exp_f32 s29, s29
	s_wait_alu 0xf1ff
	v_ldexp_f32 v1, s29, s30
	s_mul_f32 s29, s25, 0.5
	s_delay_alu instid0(VALU_DEP_1)
	v_cndmask_b32_e32 v1, 0, v1, vcc_lo
	s_cselect_b32 vcc_lo, -1, 0
	s_cmp_eq_f32 s27, s25
	s_wait_alu 0xfffe
	s_trunc_f32 s30, s29
	v_cndmask_b32_e32 v1, 0x7f800000, v1, vcc_lo
	s_cselect_b32 s33, -1, 0
	s_wait_alu 0xfffe
	s_cmp_neq_f32 s30, s29
	s_delay_alu instid0(VALU_DEP_1)
	v_fma_f32 v2, s26, v1, v1
	v_cmp_class_f32_e64 vcc_lo, v1, 0x204
	s_cselect_b32 s28, -1, 0
	s_wait_alu 0xfffe
	s_and_b32 s26, s33, s28
	s_wait_alu 0xfffd
	v_cndmask_b32_e32 v1, v2, v1, vcc_lo
	s_wait_alu 0xfffe
	s_and_b32 s28, s26, exec_lo
	s_cselect_b32 s28, s10, 1.0
	s_cmp_eq_f32 s27, s25
	v_cmp_class_f32_e64 s27, s10, 0x204
	s_wait_alu 0xfffe
	v_bfi_b32 v1, 0x7fffffff, v1, s28
	s_cselect_b32 vcc_lo, -1, 0
	s_cmp_lt_f32 s10, 0
	s_wait_alu 0xfffe
	s_delay_alu instid0(VALU_DEP_1) | instskip(SKIP_3) | instid1(VALU_DEP_1)
	v_cndmask_b32_e32 v2, 0x7fc00000, v1, vcc_lo
	s_cselect_b32 vcc_lo, -1, 0
	s_cmp_eq_f32 s10, 0
	s_wait_alu 0xfffe
	v_cndmask_b32_e32 v1, v1, v2, vcc_lo
	s_cselect_b32 s28, -1, 0
	s_wait_alu 0xfffe
	s_or_b32 vcc_lo, s28, s27
	s_cmp_lt_f32 s25, 0
	s_cselect_b32 s25, -1, 0
	s_wait_alu 0xfffe
	s_xor_b32 s25, s25, s28
	s_wait_alu 0xfffe
	s_and_b32 s25, s25, exec_lo
	s_cselect_b32 s25, 0, 0x7f800000
	s_and_b32 s26, s26, exec_lo
	s_cselect_b32 s26, s10, 0
	s_cmp_o_f32 s10, s10
	s_wait_alu 0xfffe
	v_mov_b32_e32 v2, s26
	s_delay_alu instid0(VALU_DEP_1) | instskip(NEXT) | instid1(VALU_DEP_1)
	v_bfi_b32 v2, 0x7fffffff, s25, v2
	v_cndmask_b32_e32 v1, v1, v2, vcc_lo
	s_cselect_b32 vcc_lo, -1, 0
	s_wait_alu 0xfffe
	s_delay_alu instid0(VALU_DEP_1)
	v_cndmask_b32_e32 v56, 0x7fc00000, v1, vcc_lo
.LBB72_4:
	v_bfe_u32 v51, v0, 10, 10
	s_lshl_b32 s33, ttmp9, 3
	s_load_b96 s[28:30], s[0:1], 0x70
	v_and_b32_e32 v43, 0x3ff, v0
	s_ashr_i32 s35, s34, 31
	v_lshlrev_b32_e32 v40, 1, v51
	v_lshlrev_b32_e32 v58, 10, v51
	s_delay_alu instid0(VALU_DEP_3) | instskip(SKIP_1) | instid1(VALU_DEP_4)
	v_dual_mov_b32 v60, 0 :: v_dual_lshlrev_b32 v45, 3, v43
	v_lshlrev_b32_e32 v41, 2, v43
	v_or_b32_e32 v38, 1, v40
	v_add_nc_u32_e32 v42, s33, v40
	s_delay_alu instid0(VALU_DEP_4) | instskip(NEXT) | instid1(VALU_DEP_3)
	v_add_nc_u32_e32 v16, 0x4200, v45
	v_add_nc_u32_e32 v39, s33, v38
	s_delay_alu instid0(VALU_DEP_3) | instskip(NEXT) | instid1(VALU_DEP_3)
	v_mul_hi_u32 v1, v42, s20
	v_add_nc_u32_e32 v17, v16, v58
	v_lshl_add_u32 v16, v38, 9, v16
	s_delay_alu instid0(VALU_DEP_4)
	v_mul_hi_u32 v2, v39, s20
	s_wait_kmcnt 0x0
	s_mul_i32 s26, s34, s29
	s_ashr_i32 s29, s28, 31
	s_wait_alu 0xfffe
	s_ashr_i32 s27, s26, 31
	s_lshr_b64 s[44:45], s[28:29], 2
	s_lshr_b32 s10, s29, 2
	s_mul_i32 s28, s36, s30
	v_add_nc_u32_e32 v2, v39, v2
	s_wait_alu 0xfffe
	s_ashr_i32 s29, s28, 31
	s_wait_alu 0xfffe
	s_add_nc_u64 s[4:5], s[4:5], s[28:29]
	s_wait_alu 0xfffe
	s_add_nc_u64 s[4:5], s[4:5], s[26:27]
	v_lshrrev_b32_e32 v3, s21, v2
	s_delay_alu instid0(VALU_DEP_1) | instskip(NEXT) | instid1(VALU_DEP_1)
	v_mul_lo_u32 v3, v3, s22
	v_sub_nc_u32_e32 v6, v39, v3
	s_delay_alu instid0(VALU_DEP_1) | instskip(NEXT) | instid1(VALU_DEP_1)
	v_mad_co_u64_u32 v[4:5], null, s44, v6, 0
	v_dual_mov_b32 v0, v5 :: v_dual_add_nc_u32 v1, v42, v1
	s_delay_alu instid0(VALU_DEP_1) | instskip(NEXT) | instid1(VALU_DEP_1)
	v_lshrrev_b32_e32 v1, s21, v1
	v_mul_lo_u32 v1, v1, s22
	s_delay_alu instid0(VALU_DEP_1) | instskip(NEXT) | instid1(VALU_DEP_1)
	v_sub_nc_u32_e32 v57, v42, v1
	v_mad_co_u64_u32 v[1:2], null, s44, v57, 0
	s_delay_alu instid0(VALU_DEP_1) | instskip(SKIP_2) | instid1(VALU_DEP_1)
	v_mad_co_u64_u32 v[2:3], null, s10, v57, v[2:3]
	v_lshlrev_b32_e32 v3, 4, v43
	s_wait_alu 0xfffe
	v_add_co_u32 v10, s4, s4, v3
	s_delay_alu instid0(VALU_DEP_3)
	v_lshlrev_b64_e32 v[1:2], 2, v[1:2]
	s_wait_alu 0xf1ff
	v_add_co_ci_u32_e64 v11, null, s5, 0, s4
	s_mul_u64 s[4:5], s[40:41], s[42:43]
	v_mad_co_u64_u32 v[5:6], null, s10, v6, v[0:1]
	v_add_co_u32 v6, vcc_lo, v10, v1
	s_wait_alu 0xfffd
	v_add_co_ci_u32_e64 v7, null, v11, v2, vcc_lo
	s_ashr_i32 s10, s37, 31
	s_mov_b32 s37, 0
	v_lshlrev_b64_e32 v[8:9], 2, v[4:5]
	s_clause 0x1
	global_load_b128 v[0:3], v[6:7], off
	global_load_b128 v[4:7], v[6:7], off offset:512
	s_cmp_eq_u64 s[14:15], 0
	v_add_co_u32 v12, vcc_lo, v10, v8
	s_wait_alu 0xfffd
	v_add_co_ci_u32_e64 v13, null, v11, v9, vcc_lo
	s_clause 0x1
	global_load_b128 v[8:11], v[12:13], off
	global_load_b128 v[12:15], v[12:13], off offset:512
	s_wait_loadcnt 0x3
	v_fma_mixlo_f16 v0, s24, v0, 0
	v_fma_mixlo_f16 v1, s24, v1, 0
	;; [unrolled: 1-line block ×4, first 2 shown]
	s_wait_loadcnt 0x2
	v_fma_mixlo_f16 v4, s24, v4, 0
	v_fma_mixlo_f16 v5, s24, v5, 0
	;; [unrolled: 1-line block ×4, first 2 shown]
	v_lshlrev_b32_e32 v1, 16, v1
	v_and_b32_e32 v0, 0xffff, v0
	v_lshlrev_b32_e32 v3, 16, v3
	v_and_b32_e32 v2, 0xffff, v2
	;; [unrolled: 2-line block ×3, first 2 shown]
	s_wait_loadcnt 0x1
	v_fma_mixlo_f16 v8, s24, v8, 0
	v_fma_mixlo_f16 v9, s24, v9, 0
	s_wait_loadcnt 0x0
	v_fma_mixlo_f16 v12, s24, v12, 0
	v_fma_mixlo_f16 v13, s24, v13, 0
	v_lshlrev_b32_e32 v7, 16, v7
	v_and_b32_e32 v6, 0xffff, v6
	v_fma_mixlo_f16 v10, s24, v10, 0
	v_fma_mixlo_f16 v11, s24, v11, 0
	;; [unrolled: 1-line block ×4, first 2 shown]
	v_or_b32_e32 v0, v1, v0
	v_or3_b32 v1, v3, v2, 0
	v_or_b32_e32 v2, v5, v4
	v_lshlrev_b32_e32 v4, 16, v9
	v_and_b32_e32 v5, 0xffff, v8
	v_lshlrev_b32_e32 v8, 16, v13
	v_and_b32_e32 v9, 0xffff, v12
	v_or3_b32 v3, v7, v6, 0
	v_lshlrev_b32_e32 v6, 16, v11
	v_and_b32_e32 v7, 0xffff, v10
	v_lshlrev_b32_e32 v10, 16, v15
	v_and_b32_e32 v11, 0xffff, v14
	v_or_b32_e32 v4, v4, v5
	v_or_b32_e32 v8, v8, v9
	v_or3_b32 v0, 0, 0, v0
	v_or3_b32 v2, 0, 0, v2
	;; [unrolled: 1-line block ×6, first 2 shown]
	ds_store_2addr_b64 v17, v[0:1], v[2:3] offset1:32
	ds_store_2addr_b64 v16, v[4:5], v[6:7] offset1:32
	s_wait_dscnt 0x0
	s_barrier_signal -1
	s_barrier_wait -1
	global_inv scope:SCOPE_SE
	s_cbranch_scc1 .LBB72_6
; %bb.5:
	s_load_b32 s2, s[0:1], 0xd0
	s_mov_b32 s25, s37
	s_wait_kmcnt 0x0
	s_mul_i32 s2, s2, s36
	s_delay_alu instid0(SALU_CYCLE_1)
	s_add_co_i32 s24, s2, ttmp9
	s_wait_alu 0xfffe
	s_lshl_b64 s[24:25], s[24:25], 2
	s_wait_alu 0xfffe
	s_add_nc_u64 s[14:15], s[14:15], s[24:25]
	s_load_b32 s2, s[14:15], 0x0
.LBB72_6:
	s_clause 0x2
	s_load_b64 s[28:29], s[0:1], 0x8c
	s_load_b128 s[24:27], s[0:1], 0x98
	s_load_b64 s[42:43], s[0:1], 0xa8
	s_mul_i32 s4, s5, s3
	s_ashr_i32 s15, s31, 1
	s_wait_alu 0xfffe
	s_sub_co_i32 s40, s40, s4
	s_xor_b32 s10, s35, s10
	s_add_co_i32 s14, s5, 1
	s_sub_co_i32 s41, s40, s3
	v_lshlrev_b32_e32 v55, 2, v41
	v_mul_u32_u24_e32 v59, 0x210, v43
	v_mbcnt_lo_u32_b32 v44, -1, 0
	s_wait_kmcnt 0x0
	s_ashr_i32 s4, s28, 2
	s_ashr_i32 s26, s26, 2
	s_cmp_ge_u32 s40, s3
	s_mul_u64 s[24:25], s[24:25], s[36:37]
	s_cselect_b32 s5, s14, s5
	s_cselect_b32 s14, s41, s40
	s_wait_alu 0xfffe
	s_add_nc_u64 s[6:7], s[6:7], s[24:25]
	s_add_co_i32 s24, s5, 1
	s_cmp_ge_u32 s14, s3
	v_mul_lo_u32 v2, s4, v51
	v_mul_lo_u32 v0, s26, v51
	s_wait_alu 0xfffe
	s_cselect_b32 s5, s24, s5
	s_mul_u64 s[30:31], s[42:43], s[36:37]
	s_wait_alu 0xfffe
	s_xor_b32 s5, s5, s10
	s_add_nc_u64 s[8:9], s[8:9], s[30:31]
	s_wait_alu 0xfffe
	s_sub_co_i32 s5, s5, s10
	s_and_b32 s14, ttmp7, 0xffff
	s_wait_alu 0xfffe
	s_mul_i32 s24, s5, s29
	s_mul_i32 s30, s5, s27
	v_ashrrev_i32_e32 v3, 31, v2
	v_ashrrev_i32_e32 v1, 31, v0
	s_sub_co_i32 s3, s2, 32
	s_lshl_b32 s28, s14, 5
	s_wait_alu 0xfffe
	s_ashr_i32 s25, s24, 31
	s_ashr_i32 s31, s30, 31
	s_cmp_ge_i32 s28, s3
	s_wait_alu 0xfffe
	s_add_nc_u64 s[6:7], s[6:7], s[24:25]
	s_add_nc_u64 s[24:25], s[8:9], s[30:31]
	s_cbranch_scc1 .LBB72_24
; %bb.7:
	s_lshl_b32 s8, s4, 2
	s_ashr_i32 s5, s4, 31
	s_cmp_lg_u64 s[38:39], 0
	v_dual_mov_b32 v83, 0 :: v_dual_add_nc_u32 v4, s8, v2
	s_cselect_b32 s10, -1, 0
	s_lshl_b32 s9, s26, 2
	v_or_b32_e32 v6, 1, v42
	s_wait_alu 0xfffe
	v_add_nc_u32_e32 v24, s9, v0
	v_dual_mov_b32 v85, 0xfeffffff :: v_dual_add_nc_u32 v10, s8, v4
	v_mad_u32_u24 v62, 0x210, v51, v55
	v_mul_hi_u32 v5, s20, v6
	s_delay_alu instid0(VALU_DEP_4) | instskip(NEXT) | instid1(VALU_DEP_4)
	v_add_nc_u32_e32 v26, s9, v24
	v_dual_mov_b32 v49, 0 :: v_dual_add_nc_u32 v12, s8, v10
	v_dual_mov_b32 v52, 0 :: v_dual_mov_b32 v47, 0
	s_delay_alu instid0(VALU_DEP_3) | instskip(NEXT) | instid1(VALU_DEP_3)
	v_add_nc_u32_e32 v28, s9, v26
	v_add_nc_u32_e32 v14, s8, v12
	;; [unrolled: 1-line block ×3, first 2 shown]
	v_ashrrev_i32_e32 v11, 31, v10
	v_ashrrev_i32_e32 v13, 31, v12
	v_add_nc_u32_e32 v30, s9, v28
	v_add_nc_u32_e32 v16, s8, v14
	v_lshrrev_b32_e32 v5, s21, v5
	v_ashrrev_i32_e32 v15, 31, v14
	v_ashrrev_i32_e32 v25, 31, v24
	v_add_nc_u32_e32 v32, s9, v30
	v_add_nc_u32_e32 v18, s8, v16
	v_mul_lo_u32 v7, v5, s22
	v_ashrrev_i32_e32 v5, 31, v4
	v_ashrrev_i32_e32 v17, 31, v16
	v_add_nc_u32_e32 v34, s9, v32
	v_add_nc_u32_e32 v20, s8, v18
	v_ashrrev_i32_e32 v19, 31, v18
	v_ashrrev_i32_e32 v27, 31, v26
	;; [unrolled: 1-line block ×3, first 2 shown]
	v_add_nc_u32_e32 v36, s9, v34
	v_sub_nc_u32_e32 v6, v6, v7
	v_ashrrev_i32_e32 v21, 31, v20
	v_ashrrev_i32_e32 v31, 31, v30
	;; [unrolled: 1-line block ×5, first 2 shown]
	v_lshl_add_u32 v64, v51, 9, v55
	v_mul_lo_u32 v72, v57, s15
	v_mul_lo_u32 v73, v6, s15
	v_lshlrev_b64_e32 v[6:7], 2, v[2:3]
	v_lshlrev_b64_e32 v[8:9], 2, v[4:5]
	;; [unrolled: 1-line block ×16, first 2 shown]
	v_dual_mov_b32 v48, 0 :: v_dual_add_nc_u32 v63, 0x4200, v58
	v_dual_mov_b32 v50, 0 :: v_dual_add_nc_u32 v65, 0x840, v62
	;; [unrolled: 1-line block ×4, first 2 shown]
	v_add_nc_u32_e32 v68, 0x2100, v62
	v_dual_mov_b32 v54, 0 :: v_dual_add_nc_u32 v69, 0x2940, v62
	v_add_nc_u32_e32 v70, 0x3180, v62
	v_dual_mov_b32 v84, 0 :: v_dual_add_nc_u32 v71, 0x39c0, v62
	v_lshl_add_u32 v74, v51, 7, 0x5200
	v_add_nc_u32_e32 v75, 0x800, v64
	v_add_nc_u32_e32 v76, 0x1000, v64
	v_add_nc_u32_e32 v77, 0x1800, v64
	v_add_nc_u32_e32 v78, 0x2000, v64
	v_add_nc_u32_e32 v79, 0x2800, v64
	v_add_nc_u32_e32 v80, 0x3000, v64
	v_add_nc_u32_e32 v81, 0x3800, v64
	v_mbcnt_lo_u32_b32 v82, -1, 0
	v_mov_b32_e32 v86, 0xfeffffff
	s_ashr_i32 s27, s26, 31
	s_add_nc_u64 s[8:9], s[0:1], 0xd0
	s_mov_b32 s30, 0xbbbac73d
.LBB72_8:                               ; =>This Inner Loop Header: Depth=1
	s_ashr_i32 s29, s28, 31
	s_wait_alu 0xfffe
	s_mul_u64 s[40:41], s[28:29], s[4:5]
	s_wait_alu 0xfffe
	s_lshl_b64 s[40:41], s[40:41], 2
	s_wait_alu 0xfffe
	s_add_nc_u64 s[40:41], s[6:7], s[40:41]
	s_wait_alu 0xfffe
	v_add_co_u32 v4, vcc_lo, s40, v6
	s_wait_alu 0xfffd
	v_add_co_ci_u32_e64 v5, null, s41, v7, vcc_lo
	v_add_co_u32 v60, vcc_lo, s40, v8
	s_wait_alu 0xfffd
	v_add_co_ci_u32_e64 v61, null, s41, v9, vcc_lo
	;; [unrolled: 3-line block ×4, first 2 shown]
	s_clause 0x1
	global_load_b128 v[87:90], v[4:5], off
	global_load_b128 v[91:94], v[60:61], off
	v_add_co_u32 v4, vcc_lo, s40, v10
	s_wait_alu 0xfffd
	v_add_co_ci_u32_e64 v5, null, s41, v11, vcc_lo
	v_add_co_u32 v60, vcc_lo, s40, v12
	s_wait_alu 0xfffd
	v_add_co_ci_u32_e64 v61, null, s41, v13, vcc_lo
	;; [unrolled: 3-line block ×12, first 2 shown]
	s_clause 0x5
	global_load_b128 v[95:98], v[4:5], off
	global_load_b128 v[99:102], v[60:61], off
	;; [unrolled: 1-line block ×6, first 2 shown]
	v_dual_mov_b32 v5, 0 :: v_dual_mov_b32 v4, 0
                                        ; implicit-def: $vgpr61
	s_wait_loadcnt 0x7
	ds_store_b128 v62, v[87:90]
	s_wait_loadcnt 0x6
	ds_store_b128 v65, v[91:94]
	;; [unrolled: 2-line block ×8, first 2 shown]
	s_wait_dscnt 0x0
	s_barrier_signal -1
	s_barrier_wait -1
	global_inv scope:SCOPE_SE
	ds_load_b128 v[87:90], v59
	ds_load_b128 v[91:94], v63
	ds_load_b128 v[95:98], v63 offset:512
	s_wait_dscnt 0x1
	;;#ASMSTART
	v_dot2_f32_f16 v5, v87, v91, v5
	;;#ASMEND
	;;#ASMSTART
	v_dot2_f32_f16 v5, v88, v92, v5
	;;#ASMEND
	;;#ASMSTART
	v_dot2_f32_f16 v5, v89, v93, v5
	;;#ASMEND
	;;#ASMSTART
	v_dot2_f32_f16 v5, v90, v94, v5
	;;#ASMEND
	s_wait_dscnt 0x0
	;;#ASMSTART
	v_dot2_f32_f16 v4, v87, v95, v4
	;;#ASMEND
	;;#ASMSTART
	v_dot2_f32_f16 v4, v88, v96, v4
	;;#ASMEND
	;;#ASMSTART
	v_dot2_f32_f16 v4, v89, v97, v4
	;;#ASMEND
	;;#ASMSTART
	v_dot2_f32_f16 v4, v90, v98, v4
	;;#ASMEND
	ds_load_b128 v[87:90], v59 offset:16
	ds_load_b128 v[91:94], v63 offset:16
	ds_load_b128 v[95:98], v63 offset:528
	s_wait_dscnt 0x1
	;;#ASMSTART
	v_dot2_f32_f16 v5, v87, v91, v5
	;;#ASMEND
	;;#ASMSTART
	v_dot2_f32_f16 v5, v88, v92, v5
	;;#ASMEND
	;;#ASMSTART
	v_dot2_f32_f16 v5, v89, v93, v5
	;;#ASMEND
	;;#ASMSTART
	v_dot2_f32_f16 v5, v90, v94, v5
	;;#ASMEND
	s_wait_dscnt 0x0
	;;#ASMSTART
	v_dot2_f32_f16 v4, v87, v95, v4
	;;#ASMEND
	;;#ASMSTART
	v_dot2_f32_f16 v4, v88, v96, v4
	;;#ASMEND
	;;#ASMSTART
	v_dot2_f32_f16 v4, v89, v97, v4
	;;#ASMEND
	;;#ASMSTART
	v_dot2_f32_f16 v4, v90, v98, v4
	;;#ASMEND
	ds_load_b128 v[87:90], v59 offset:32
	ds_load_b128 v[91:94], v63 offset:32
	ds_load_b128 v[95:98], v63 offset:544
	s_wait_dscnt 0x1
	;;#ASMSTART
	v_dot2_f32_f16 v5, v87, v91, v5
	;;#ASMEND
	;;#ASMSTART
	v_dot2_f32_f16 v5, v88, v92, v5
	;;#ASMEND
	;;#ASMSTART
	v_dot2_f32_f16 v5, v89, v93, v5
	;;#ASMEND
	;;#ASMSTART
	v_dot2_f32_f16 v5, v90, v94, v5
	;;#ASMEND
	s_wait_dscnt 0x0
	;;#ASMSTART
	v_dot2_f32_f16 v4, v87, v95, v4
	;;#ASMEND
	;;#ASMSTART
	v_dot2_f32_f16 v4, v88, v96, v4
	;;#ASMEND
	;;#ASMSTART
	v_dot2_f32_f16 v4, v89, v97, v4
	;;#ASMEND
	;;#ASMSTART
	v_dot2_f32_f16 v4, v90, v98, v4
	;;#ASMEND
	ds_load_b128 v[87:90], v59 offset:48
	ds_load_b128 v[91:94], v63 offset:48
	ds_load_b128 v[95:98], v63 offset:560
	s_wait_dscnt 0x1
	;;#ASMSTART
	v_dot2_f32_f16 v5, v87, v91, v5
	;;#ASMEND
	;;#ASMSTART
	v_dot2_f32_f16 v5, v88, v92, v5
	;;#ASMEND
	;;#ASMSTART
	v_dot2_f32_f16 v5, v89, v93, v5
	;;#ASMEND
	;;#ASMSTART
	v_dot2_f32_f16 v5, v90, v94, v5
	;;#ASMEND
	s_wait_dscnt 0x0
	;;#ASMSTART
	v_dot2_f32_f16 v4, v87, v95, v4
	;;#ASMEND
	;;#ASMSTART
	v_dot2_f32_f16 v4, v88, v96, v4
	;;#ASMEND
	;;#ASMSTART
	v_dot2_f32_f16 v4, v89, v97, v4
	;;#ASMEND
	;;#ASMSTART
	v_dot2_f32_f16 v4, v90, v98, v4
	;;#ASMEND
	ds_load_b128 v[87:90], v59 offset:64
	ds_load_b128 v[91:94], v63 offset:64
	ds_load_b128 v[95:98], v63 offset:576
	s_wait_dscnt 0x1
	;;#ASMSTART
	v_dot2_f32_f16 v5, v87, v91, v5
	;;#ASMEND
	;;#ASMSTART
	v_dot2_f32_f16 v5, v88, v92, v5
	;;#ASMEND
	;;#ASMSTART
	v_dot2_f32_f16 v5, v89, v93, v5
	;;#ASMEND
	;;#ASMSTART
	v_dot2_f32_f16 v5, v90, v94, v5
	;;#ASMEND
	s_wait_dscnt 0x0
	;;#ASMSTART
	v_dot2_f32_f16 v4, v87, v95, v4
	;;#ASMEND
	;;#ASMSTART
	v_dot2_f32_f16 v4, v88, v96, v4
	;;#ASMEND
	;;#ASMSTART
	v_dot2_f32_f16 v4, v89, v97, v4
	;;#ASMEND
	;;#ASMSTART
	v_dot2_f32_f16 v4, v90, v98, v4
	;;#ASMEND
	ds_load_b128 v[87:90], v59 offset:80
	ds_load_b128 v[91:94], v63 offset:80
	ds_load_b128 v[95:98], v63 offset:592
	s_wait_dscnt 0x1
	;;#ASMSTART
	v_dot2_f32_f16 v5, v87, v91, v5
	;;#ASMEND
	;;#ASMSTART
	v_dot2_f32_f16 v5, v88, v92, v5
	;;#ASMEND
	;;#ASMSTART
	v_dot2_f32_f16 v5, v89, v93, v5
	;;#ASMEND
	;;#ASMSTART
	v_dot2_f32_f16 v5, v90, v94, v5
	;;#ASMEND
	s_wait_dscnt 0x0
	;;#ASMSTART
	v_dot2_f32_f16 v4, v87, v95, v4
	;;#ASMEND
	;;#ASMSTART
	v_dot2_f32_f16 v4, v88, v96, v4
	;;#ASMEND
	;;#ASMSTART
	v_dot2_f32_f16 v4, v89, v97, v4
	;;#ASMEND
	;;#ASMSTART
	v_dot2_f32_f16 v4, v90, v98, v4
	;;#ASMEND
	ds_load_b128 v[87:90], v59 offset:96
	ds_load_b128 v[91:94], v63 offset:96
	ds_load_b128 v[95:98], v63 offset:608
	s_wait_dscnt 0x1
	;;#ASMSTART
	v_dot2_f32_f16 v5, v87, v91, v5
	;;#ASMEND
	;;#ASMSTART
	v_dot2_f32_f16 v5, v88, v92, v5
	;;#ASMEND
	;;#ASMSTART
	v_dot2_f32_f16 v5, v89, v93, v5
	;;#ASMEND
	;;#ASMSTART
	v_dot2_f32_f16 v5, v90, v94, v5
	;;#ASMEND
	s_wait_dscnt 0x0
	;;#ASMSTART
	v_dot2_f32_f16 v4, v87, v95, v4
	;;#ASMEND
	;;#ASMSTART
	v_dot2_f32_f16 v4, v88, v96, v4
	;;#ASMEND
	;;#ASMSTART
	v_dot2_f32_f16 v4, v89, v97, v4
	;;#ASMEND
	;;#ASMSTART
	v_dot2_f32_f16 v4, v90, v98, v4
	;;#ASMEND
	ds_load_b128 v[87:90], v59 offset:112
	ds_load_b128 v[91:94], v63 offset:112
	ds_load_b128 v[95:98], v63 offset:624
	s_wait_dscnt 0x1
	;;#ASMSTART
	v_dot2_f32_f16 v5, v87, v91, v5
	;;#ASMEND
	;;#ASMSTART
	v_dot2_f32_f16 v5, v88, v92, v5
	;;#ASMEND
	;;#ASMSTART
	v_dot2_f32_f16 v5, v89, v93, v5
	;;#ASMEND
	;;#ASMSTART
	v_dot2_f32_f16 v5, v90, v94, v5
	;;#ASMEND
	s_wait_dscnt 0x0
	;;#ASMSTART
	v_dot2_f32_f16 v4, v87, v95, v4
	;;#ASMEND
	;;#ASMSTART
	v_dot2_f32_f16 v4, v88, v96, v4
	;;#ASMEND
	;;#ASMSTART
	v_dot2_f32_f16 v4, v89, v97, v4
	;;#ASMEND
	;;#ASMSTART
	v_dot2_f32_f16 v4, v90, v98, v4
	;;#ASMEND
	ds_load_b128 v[87:90], v59 offset:128
	ds_load_b128 v[91:94], v63 offset:128
	ds_load_b128 v[95:98], v63 offset:640
	s_wait_dscnt 0x1
	;;#ASMSTART
	v_dot2_f32_f16 v5, v87, v91, v5
	;;#ASMEND
	;;#ASMSTART
	v_dot2_f32_f16 v5, v88, v92, v5
	;;#ASMEND
	;;#ASMSTART
	v_dot2_f32_f16 v5, v89, v93, v5
	;;#ASMEND
	;;#ASMSTART
	v_dot2_f32_f16 v5, v90, v94, v5
	;;#ASMEND
	s_wait_dscnt 0x0
	;;#ASMSTART
	v_dot2_f32_f16 v4, v87, v95, v4
	;;#ASMEND
	;;#ASMSTART
	v_dot2_f32_f16 v4, v88, v96, v4
	;;#ASMEND
	;;#ASMSTART
	v_dot2_f32_f16 v4, v89, v97, v4
	;;#ASMEND
	;;#ASMSTART
	v_dot2_f32_f16 v4, v90, v98, v4
	;;#ASMEND
	ds_load_b128 v[87:90], v59 offset:144
	ds_load_b128 v[91:94], v63 offset:144
	ds_load_b128 v[95:98], v63 offset:656
	s_wait_dscnt 0x1
	;;#ASMSTART
	v_dot2_f32_f16 v5, v87, v91, v5
	;;#ASMEND
	;;#ASMSTART
	v_dot2_f32_f16 v5, v88, v92, v5
	;;#ASMEND
	;;#ASMSTART
	v_dot2_f32_f16 v5, v89, v93, v5
	;;#ASMEND
	;;#ASMSTART
	v_dot2_f32_f16 v5, v90, v94, v5
	;;#ASMEND
	s_wait_dscnt 0x0
	;;#ASMSTART
	v_dot2_f32_f16 v4, v87, v95, v4
	;;#ASMEND
	;;#ASMSTART
	v_dot2_f32_f16 v4, v88, v96, v4
	;;#ASMEND
	;;#ASMSTART
	v_dot2_f32_f16 v4, v89, v97, v4
	;;#ASMEND
	;;#ASMSTART
	v_dot2_f32_f16 v4, v90, v98, v4
	;;#ASMEND
	ds_load_b128 v[87:90], v59 offset:160
	ds_load_b128 v[91:94], v63 offset:160
	ds_load_b128 v[95:98], v63 offset:672
	s_wait_dscnt 0x1
	;;#ASMSTART
	v_dot2_f32_f16 v5, v87, v91, v5
	;;#ASMEND
	;;#ASMSTART
	v_dot2_f32_f16 v5, v88, v92, v5
	;;#ASMEND
	;;#ASMSTART
	v_dot2_f32_f16 v5, v89, v93, v5
	;;#ASMEND
	;;#ASMSTART
	v_dot2_f32_f16 v5, v90, v94, v5
	;;#ASMEND
	s_wait_dscnt 0x0
	;;#ASMSTART
	v_dot2_f32_f16 v4, v87, v95, v4
	;;#ASMEND
	;;#ASMSTART
	v_dot2_f32_f16 v4, v88, v96, v4
	;;#ASMEND
	;;#ASMSTART
	v_dot2_f32_f16 v4, v89, v97, v4
	;;#ASMEND
	;;#ASMSTART
	v_dot2_f32_f16 v4, v90, v98, v4
	;;#ASMEND
	ds_load_b128 v[87:90], v59 offset:176
	ds_load_b128 v[91:94], v63 offset:176
	ds_load_b128 v[95:98], v63 offset:688
	s_wait_dscnt 0x1
	;;#ASMSTART
	v_dot2_f32_f16 v5, v87, v91, v5
	;;#ASMEND
	;;#ASMSTART
	v_dot2_f32_f16 v5, v88, v92, v5
	;;#ASMEND
	;;#ASMSTART
	v_dot2_f32_f16 v5, v89, v93, v5
	;;#ASMEND
	;;#ASMSTART
	v_dot2_f32_f16 v5, v90, v94, v5
	;;#ASMEND
	s_wait_dscnt 0x0
	;;#ASMSTART
	v_dot2_f32_f16 v4, v87, v95, v4
	;;#ASMEND
	;;#ASMSTART
	v_dot2_f32_f16 v4, v88, v96, v4
	;;#ASMEND
	;;#ASMSTART
	v_dot2_f32_f16 v4, v89, v97, v4
	;;#ASMEND
	;;#ASMSTART
	v_dot2_f32_f16 v4, v90, v98, v4
	;;#ASMEND
	ds_load_b128 v[87:90], v59 offset:192
	ds_load_b128 v[91:94], v63 offset:192
	ds_load_b128 v[95:98], v63 offset:704
	s_wait_dscnt 0x1
	;;#ASMSTART
	v_dot2_f32_f16 v5, v87, v91, v5
	;;#ASMEND
	;;#ASMSTART
	v_dot2_f32_f16 v5, v88, v92, v5
	;;#ASMEND
	;;#ASMSTART
	v_dot2_f32_f16 v5, v89, v93, v5
	;;#ASMEND
	;;#ASMSTART
	v_dot2_f32_f16 v5, v90, v94, v5
	;;#ASMEND
	s_wait_dscnt 0x0
	;;#ASMSTART
	v_dot2_f32_f16 v4, v87, v95, v4
	;;#ASMEND
	;;#ASMSTART
	v_dot2_f32_f16 v4, v88, v96, v4
	;;#ASMEND
	;;#ASMSTART
	v_dot2_f32_f16 v4, v89, v97, v4
	;;#ASMEND
	;;#ASMSTART
	v_dot2_f32_f16 v4, v90, v98, v4
	;;#ASMEND
	ds_load_b128 v[87:90], v59 offset:208
	ds_load_b128 v[91:94], v63 offset:208
	ds_load_b128 v[95:98], v63 offset:720
	s_wait_dscnt 0x1
	;;#ASMSTART
	v_dot2_f32_f16 v5, v87, v91, v5
	;;#ASMEND
	;;#ASMSTART
	v_dot2_f32_f16 v5, v88, v92, v5
	;;#ASMEND
	;;#ASMSTART
	v_dot2_f32_f16 v5, v89, v93, v5
	;;#ASMEND
	;;#ASMSTART
	v_dot2_f32_f16 v5, v90, v94, v5
	;;#ASMEND
	s_wait_dscnt 0x0
	;;#ASMSTART
	v_dot2_f32_f16 v4, v87, v95, v4
	;;#ASMEND
	;;#ASMSTART
	v_dot2_f32_f16 v4, v88, v96, v4
	;;#ASMEND
	;;#ASMSTART
	v_dot2_f32_f16 v4, v89, v97, v4
	;;#ASMEND
	;;#ASMSTART
	v_dot2_f32_f16 v4, v90, v98, v4
	;;#ASMEND
	ds_load_b128 v[87:90], v59 offset:224
	ds_load_b128 v[91:94], v63 offset:224
	ds_load_b128 v[95:98], v63 offset:736
	s_wait_dscnt 0x1
	;;#ASMSTART
	v_dot2_f32_f16 v5, v87, v91, v5
	;;#ASMEND
	;;#ASMSTART
	v_dot2_f32_f16 v5, v88, v92, v5
	;;#ASMEND
	;;#ASMSTART
	v_dot2_f32_f16 v5, v89, v93, v5
	;;#ASMEND
	;;#ASMSTART
	v_dot2_f32_f16 v5, v90, v94, v5
	;;#ASMEND
	s_wait_dscnt 0x0
	;;#ASMSTART
	v_dot2_f32_f16 v4, v87, v95, v4
	;;#ASMEND
	;;#ASMSTART
	v_dot2_f32_f16 v4, v88, v96, v4
	;;#ASMEND
	;;#ASMSTART
	v_dot2_f32_f16 v4, v89, v97, v4
	;;#ASMEND
	;;#ASMSTART
	v_dot2_f32_f16 v4, v90, v98, v4
	;;#ASMEND
	ds_load_b128 v[87:90], v59 offset:240
	ds_load_b128 v[91:94], v63 offset:240
	ds_load_b128 v[95:98], v63 offset:752
	s_wait_dscnt 0x1
	;;#ASMSTART
	v_dot2_f32_f16 v5, v87, v91, v5
	;;#ASMEND
	;;#ASMSTART
	v_dot2_f32_f16 v5, v88, v92, v5
	;;#ASMEND
	;;#ASMSTART
	v_dot2_f32_f16 v5, v89, v93, v5
	;;#ASMEND
	;;#ASMSTART
	v_dot2_f32_f16 v5, v90, v94, v5
	;;#ASMEND
	s_wait_dscnt 0x0
	;;#ASMSTART
	v_dot2_f32_f16 v4, v87, v95, v4
	;;#ASMEND
	;;#ASMSTART
	v_dot2_f32_f16 v4, v88, v96, v4
	;;#ASMEND
	;;#ASMSTART
	v_dot2_f32_f16 v4, v89, v97, v4
	;;#ASMEND
	;;#ASMSTART
	v_dot2_f32_f16 v4, v90, v98, v4
	;;#ASMEND
	ds_load_b128 v[87:90], v59 offset:256
	ds_load_b128 v[91:94], v63 offset:256
	ds_load_b128 v[95:98], v63 offset:768
	s_wait_dscnt 0x1
	;;#ASMSTART
	v_dot2_f32_f16 v5, v87, v91, v5
	;;#ASMEND
	;;#ASMSTART
	v_dot2_f32_f16 v5, v88, v92, v5
	;;#ASMEND
	;;#ASMSTART
	v_dot2_f32_f16 v5, v89, v93, v5
	;;#ASMEND
	;;#ASMSTART
	v_dot2_f32_f16 v5, v90, v94, v5
	;;#ASMEND
	s_wait_dscnt 0x0
	;;#ASMSTART
	v_dot2_f32_f16 v4, v87, v95, v4
	;;#ASMEND
	;;#ASMSTART
	v_dot2_f32_f16 v4, v88, v96, v4
	;;#ASMEND
	;;#ASMSTART
	v_dot2_f32_f16 v4, v89, v97, v4
	;;#ASMEND
	;;#ASMSTART
	v_dot2_f32_f16 v4, v90, v98, v4
	;;#ASMEND
	ds_load_b128 v[87:90], v59 offset:272
	ds_load_b128 v[91:94], v63 offset:272
	ds_load_b128 v[95:98], v63 offset:784
	s_wait_dscnt 0x1
	;;#ASMSTART
	v_dot2_f32_f16 v5, v87, v91, v5
	;;#ASMEND
	;;#ASMSTART
	v_dot2_f32_f16 v5, v88, v92, v5
	;;#ASMEND
	;;#ASMSTART
	v_dot2_f32_f16 v5, v89, v93, v5
	;;#ASMEND
	;;#ASMSTART
	v_dot2_f32_f16 v5, v90, v94, v5
	;;#ASMEND
	s_wait_dscnt 0x0
	;;#ASMSTART
	v_dot2_f32_f16 v4, v87, v95, v4
	;;#ASMEND
	;;#ASMSTART
	v_dot2_f32_f16 v4, v88, v96, v4
	;;#ASMEND
	;;#ASMSTART
	v_dot2_f32_f16 v4, v89, v97, v4
	;;#ASMEND
	;;#ASMSTART
	v_dot2_f32_f16 v4, v90, v98, v4
	;;#ASMEND
	ds_load_b128 v[87:90], v59 offset:288
	ds_load_b128 v[91:94], v63 offset:288
	ds_load_b128 v[95:98], v63 offset:800
	s_wait_dscnt 0x1
	;;#ASMSTART
	v_dot2_f32_f16 v5, v87, v91, v5
	;;#ASMEND
	;;#ASMSTART
	v_dot2_f32_f16 v5, v88, v92, v5
	;;#ASMEND
	;;#ASMSTART
	v_dot2_f32_f16 v5, v89, v93, v5
	;;#ASMEND
	;;#ASMSTART
	v_dot2_f32_f16 v5, v90, v94, v5
	;;#ASMEND
	s_wait_dscnt 0x0
	;;#ASMSTART
	v_dot2_f32_f16 v4, v87, v95, v4
	;;#ASMEND
	;;#ASMSTART
	v_dot2_f32_f16 v4, v88, v96, v4
	;;#ASMEND
	;;#ASMSTART
	v_dot2_f32_f16 v4, v89, v97, v4
	;;#ASMEND
	;;#ASMSTART
	v_dot2_f32_f16 v4, v90, v98, v4
	;;#ASMEND
	ds_load_b128 v[87:90], v59 offset:304
	ds_load_b128 v[91:94], v63 offset:304
	ds_load_b128 v[95:98], v63 offset:816
	s_wait_dscnt 0x1
	;;#ASMSTART
	v_dot2_f32_f16 v5, v87, v91, v5
	;;#ASMEND
	;;#ASMSTART
	v_dot2_f32_f16 v5, v88, v92, v5
	;;#ASMEND
	;;#ASMSTART
	v_dot2_f32_f16 v5, v89, v93, v5
	;;#ASMEND
	;;#ASMSTART
	v_dot2_f32_f16 v5, v90, v94, v5
	;;#ASMEND
	s_wait_dscnt 0x0
	;;#ASMSTART
	v_dot2_f32_f16 v4, v87, v95, v4
	;;#ASMEND
	;;#ASMSTART
	v_dot2_f32_f16 v4, v88, v96, v4
	;;#ASMEND
	;;#ASMSTART
	v_dot2_f32_f16 v4, v89, v97, v4
	;;#ASMEND
	;;#ASMSTART
	v_dot2_f32_f16 v4, v90, v98, v4
	;;#ASMEND
	ds_load_b128 v[87:90], v59 offset:320
	ds_load_b128 v[91:94], v63 offset:320
	ds_load_b128 v[95:98], v63 offset:832
	s_wait_dscnt 0x1
	;;#ASMSTART
	v_dot2_f32_f16 v5, v87, v91, v5
	;;#ASMEND
	;;#ASMSTART
	v_dot2_f32_f16 v5, v88, v92, v5
	;;#ASMEND
	;;#ASMSTART
	v_dot2_f32_f16 v5, v89, v93, v5
	;;#ASMEND
	;;#ASMSTART
	v_dot2_f32_f16 v5, v90, v94, v5
	;;#ASMEND
	s_wait_dscnt 0x0
	;;#ASMSTART
	v_dot2_f32_f16 v4, v87, v95, v4
	;;#ASMEND
	;;#ASMSTART
	v_dot2_f32_f16 v4, v88, v96, v4
	;;#ASMEND
	;;#ASMSTART
	v_dot2_f32_f16 v4, v89, v97, v4
	;;#ASMEND
	;;#ASMSTART
	v_dot2_f32_f16 v4, v90, v98, v4
	;;#ASMEND
	ds_load_b128 v[87:90], v59 offset:336
	ds_load_b128 v[91:94], v63 offset:336
	ds_load_b128 v[95:98], v63 offset:848
	s_wait_dscnt 0x1
	;;#ASMSTART
	v_dot2_f32_f16 v5, v87, v91, v5
	;;#ASMEND
	;;#ASMSTART
	v_dot2_f32_f16 v5, v88, v92, v5
	;;#ASMEND
	;;#ASMSTART
	v_dot2_f32_f16 v5, v89, v93, v5
	;;#ASMEND
	;;#ASMSTART
	v_dot2_f32_f16 v5, v90, v94, v5
	;;#ASMEND
	s_wait_dscnt 0x0
	;;#ASMSTART
	v_dot2_f32_f16 v4, v87, v95, v4
	;;#ASMEND
	;;#ASMSTART
	v_dot2_f32_f16 v4, v88, v96, v4
	;;#ASMEND
	;;#ASMSTART
	v_dot2_f32_f16 v4, v89, v97, v4
	;;#ASMEND
	;;#ASMSTART
	v_dot2_f32_f16 v4, v90, v98, v4
	;;#ASMEND
	ds_load_b128 v[87:90], v59 offset:352
	ds_load_b128 v[91:94], v63 offset:352
	ds_load_b128 v[95:98], v63 offset:864
	s_wait_dscnt 0x1
	;;#ASMSTART
	v_dot2_f32_f16 v5, v87, v91, v5
	;;#ASMEND
	;;#ASMSTART
	v_dot2_f32_f16 v5, v88, v92, v5
	;;#ASMEND
	;;#ASMSTART
	v_dot2_f32_f16 v5, v89, v93, v5
	;;#ASMEND
	;;#ASMSTART
	v_dot2_f32_f16 v5, v90, v94, v5
	;;#ASMEND
	s_wait_dscnt 0x0
	;;#ASMSTART
	v_dot2_f32_f16 v4, v87, v95, v4
	;;#ASMEND
	;;#ASMSTART
	v_dot2_f32_f16 v4, v88, v96, v4
	;;#ASMEND
	;;#ASMSTART
	v_dot2_f32_f16 v4, v89, v97, v4
	;;#ASMEND
	;;#ASMSTART
	v_dot2_f32_f16 v4, v90, v98, v4
	;;#ASMEND
	ds_load_b128 v[87:90], v59 offset:368
	ds_load_b128 v[91:94], v63 offset:368
	ds_load_b128 v[95:98], v63 offset:880
	s_wait_dscnt 0x1
	;;#ASMSTART
	v_dot2_f32_f16 v5, v87, v91, v5
	;;#ASMEND
	;;#ASMSTART
	v_dot2_f32_f16 v5, v88, v92, v5
	;;#ASMEND
	;;#ASMSTART
	v_dot2_f32_f16 v5, v89, v93, v5
	;;#ASMEND
	;;#ASMSTART
	v_dot2_f32_f16 v5, v90, v94, v5
	;;#ASMEND
	s_wait_dscnt 0x0
	;;#ASMSTART
	v_dot2_f32_f16 v4, v87, v95, v4
	;;#ASMEND
	;;#ASMSTART
	v_dot2_f32_f16 v4, v88, v96, v4
	;;#ASMEND
	;;#ASMSTART
	v_dot2_f32_f16 v4, v89, v97, v4
	;;#ASMEND
	;;#ASMSTART
	v_dot2_f32_f16 v4, v90, v98, v4
	;;#ASMEND
	ds_load_b128 v[87:90], v59 offset:384
	ds_load_b128 v[91:94], v63 offset:384
	ds_load_b128 v[95:98], v63 offset:896
	s_wait_dscnt 0x1
	;;#ASMSTART
	v_dot2_f32_f16 v5, v87, v91, v5
	;;#ASMEND
	;;#ASMSTART
	v_dot2_f32_f16 v5, v88, v92, v5
	;;#ASMEND
	;;#ASMSTART
	v_dot2_f32_f16 v5, v89, v93, v5
	;;#ASMEND
	;;#ASMSTART
	v_dot2_f32_f16 v5, v90, v94, v5
	;;#ASMEND
	s_wait_dscnt 0x0
	;;#ASMSTART
	v_dot2_f32_f16 v4, v87, v95, v4
	;;#ASMEND
	;;#ASMSTART
	v_dot2_f32_f16 v4, v88, v96, v4
	;;#ASMEND
	;;#ASMSTART
	v_dot2_f32_f16 v4, v89, v97, v4
	;;#ASMEND
	;;#ASMSTART
	v_dot2_f32_f16 v4, v90, v98, v4
	;;#ASMEND
	ds_load_b128 v[87:90], v59 offset:400
	ds_load_b128 v[91:94], v63 offset:400
	ds_load_b128 v[95:98], v63 offset:912
	s_wait_dscnt 0x1
	;;#ASMSTART
	v_dot2_f32_f16 v5, v87, v91, v5
	;;#ASMEND
	;;#ASMSTART
	v_dot2_f32_f16 v5, v88, v92, v5
	;;#ASMEND
	;;#ASMSTART
	v_dot2_f32_f16 v5, v89, v93, v5
	;;#ASMEND
	;;#ASMSTART
	v_dot2_f32_f16 v5, v90, v94, v5
	;;#ASMEND
	s_wait_dscnt 0x0
	;;#ASMSTART
	v_dot2_f32_f16 v4, v87, v95, v4
	;;#ASMEND
	;;#ASMSTART
	v_dot2_f32_f16 v4, v88, v96, v4
	;;#ASMEND
	;;#ASMSTART
	v_dot2_f32_f16 v4, v89, v97, v4
	;;#ASMEND
	;;#ASMSTART
	v_dot2_f32_f16 v4, v90, v98, v4
	;;#ASMEND
	ds_load_b128 v[87:90], v59 offset:416
	ds_load_b128 v[91:94], v63 offset:416
	ds_load_b128 v[95:98], v63 offset:928
	s_wait_dscnt 0x1
	;;#ASMSTART
	v_dot2_f32_f16 v5, v87, v91, v5
	;;#ASMEND
	;;#ASMSTART
	v_dot2_f32_f16 v5, v88, v92, v5
	;;#ASMEND
	;;#ASMSTART
	v_dot2_f32_f16 v5, v89, v93, v5
	;;#ASMEND
	;;#ASMSTART
	v_dot2_f32_f16 v5, v90, v94, v5
	;;#ASMEND
	s_wait_dscnt 0x0
	;;#ASMSTART
	v_dot2_f32_f16 v4, v87, v95, v4
	;;#ASMEND
	;;#ASMSTART
	v_dot2_f32_f16 v4, v88, v96, v4
	;;#ASMEND
	;;#ASMSTART
	v_dot2_f32_f16 v4, v89, v97, v4
	;;#ASMEND
	;;#ASMSTART
	v_dot2_f32_f16 v4, v90, v98, v4
	;;#ASMEND
	ds_load_b128 v[87:90], v59 offset:432
	ds_load_b128 v[91:94], v63 offset:432
	ds_load_b128 v[95:98], v63 offset:944
	s_wait_dscnt 0x1
	;;#ASMSTART
	v_dot2_f32_f16 v5, v87, v91, v5
	;;#ASMEND
	;;#ASMSTART
	v_dot2_f32_f16 v5, v88, v92, v5
	;;#ASMEND
	;;#ASMSTART
	v_dot2_f32_f16 v5, v89, v93, v5
	;;#ASMEND
	;;#ASMSTART
	v_dot2_f32_f16 v5, v90, v94, v5
	;;#ASMEND
	s_wait_dscnt 0x0
	;;#ASMSTART
	v_dot2_f32_f16 v4, v87, v95, v4
	;;#ASMEND
	;;#ASMSTART
	v_dot2_f32_f16 v4, v88, v96, v4
	;;#ASMEND
	;;#ASMSTART
	v_dot2_f32_f16 v4, v89, v97, v4
	;;#ASMEND
	;;#ASMSTART
	v_dot2_f32_f16 v4, v90, v98, v4
	;;#ASMEND
	ds_load_b128 v[87:90], v59 offset:448
	ds_load_b128 v[91:94], v63 offset:448
	ds_load_b128 v[95:98], v63 offset:960
	s_wait_dscnt 0x1
	;;#ASMSTART
	v_dot2_f32_f16 v5, v87, v91, v5
	;;#ASMEND
	;;#ASMSTART
	v_dot2_f32_f16 v5, v88, v92, v5
	;;#ASMEND
	;;#ASMSTART
	v_dot2_f32_f16 v5, v89, v93, v5
	;;#ASMEND
	;;#ASMSTART
	v_dot2_f32_f16 v5, v90, v94, v5
	;;#ASMEND
	s_wait_dscnt 0x0
	;;#ASMSTART
	v_dot2_f32_f16 v4, v87, v95, v4
	;;#ASMEND
	;;#ASMSTART
	v_dot2_f32_f16 v4, v88, v96, v4
	;;#ASMEND
	;;#ASMSTART
	v_dot2_f32_f16 v4, v89, v97, v4
	;;#ASMEND
	;;#ASMSTART
	v_dot2_f32_f16 v4, v90, v98, v4
	;;#ASMEND
	ds_load_b128 v[87:90], v59 offset:464
	ds_load_b128 v[91:94], v63 offset:464
	ds_load_b128 v[95:98], v63 offset:976
	s_wait_dscnt 0x1
	;;#ASMSTART
	v_dot2_f32_f16 v5, v87, v91, v5
	;;#ASMEND
	;;#ASMSTART
	v_dot2_f32_f16 v5, v88, v92, v5
	;;#ASMEND
	;;#ASMSTART
	v_dot2_f32_f16 v5, v89, v93, v5
	;;#ASMEND
	;;#ASMSTART
	v_dot2_f32_f16 v5, v90, v94, v5
	;;#ASMEND
	s_wait_dscnt 0x0
	;;#ASMSTART
	v_dot2_f32_f16 v4, v87, v95, v4
	;;#ASMEND
	;;#ASMSTART
	v_dot2_f32_f16 v4, v88, v96, v4
	;;#ASMEND
	;;#ASMSTART
	v_dot2_f32_f16 v4, v89, v97, v4
	;;#ASMEND
	;;#ASMSTART
	v_dot2_f32_f16 v4, v90, v98, v4
	;;#ASMEND
	ds_load_b128 v[87:90], v59 offset:480
	ds_load_b128 v[91:94], v63 offset:480
	ds_load_b128 v[95:98], v63 offset:992
	s_wait_dscnt 0x1
	;;#ASMSTART
	v_dot2_f32_f16 v5, v87, v91, v5
	;;#ASMEND
	;;#ASMSTART
	v_dot2_f32_f16 v5, v88, v92, v5
	;;#ASMEND
	;;#ASMSTART
	v_dot2_f32_f16 v5, v89, v93, v5
	;;#ASMEND
	;;#ASMSTART
	v_dot2_f32_f16 v5, v90, v94, v5
	;;#ASMEND
	s_wait_dscnt 0x0
	;;#ASMSTART
	v_dot2_f32_f16 v4, v87, v95, v4
	;;#ASMEND
	;;#ASMSTART
	v_dot2_f32_f16 v4, v88, v96, v4
	;;#ASMEND
	;;#ASMSTART
	v_dot2_f32_f16 v4, v89, v97, v4
	;;#ASMEND
	;;#ASMSTART
	v_dot2_f32_f16 v4, v90, v98, v4
	;;#ASMEND
	ds_load_b128 v[87:90], v59 offset:496
	ds_load_b128 v[91:94], v63 offset:496
	ds_load_b128 v[95:98], v63 offset:1008
	s_wait_dscnt 0x1
	;;#ASMSTART
	v_dot2_f32_f16 v5, v87, v91, v5
	;;#ASMEND
	;;#ASMSTART
	v_dot2_f32_f16 v5, v88, v92, v5
	;;#ASMEND
	;; [unrolled: 3-line block ×4, first 2 shown]
	v_cmp_ngt_f32_e64 s31, 0x3f200000, |v5|
	s_wait_dscnt 0x0
	;;#ASMSTART
	v_dot2_f32_f16 v4, v87, v95, v4
	;;#ASMEND
	;;#ASMSTART
	v_dot2_f32_f16 v4, v88, v96, v4
	;;#ASMEND
	;; [unrolled: 3-line block ×4, first 2 shown]
	s_and_saveexec_b32 s37, s31
	s_delay_alu instid0(SALU_CYCLE_1)
	s_xor_b32 s31, exec_lo, s37
	s_cbranch_execnz .LBB72_12
; %bb.9:                                ;   in Loop: Header=BB72_8 Depth=1
	s_wait_alu 0xfffe
	s_and_not1_saveexec_b32 s31, s31
	s_cbranch_execnz .LBB72_13
.LBB72_10:                              ;   in Loop: Header=BB72_8 Depth=1
	s_wait_alu 0xfffe
	s_or_b32 exec_lo, exec_lo, s31
	v_add_nc_u32_e32 v93, s28, v43
	s_and_not1_b32 vcc_lo, exec_lo, s10
	s_wait_alu 0xfffe
	s_cbranch_vccnz .LBB72_14
.LBB72_11:                              ;   in Loop: Header=BB72_8 Depth=1
	s_delay_alu instid0(VALU_DEP_1) | instskip(NEXT) | instid1(VALU_DEP_1)
	v_add_nc_u32_e32 v87, v93, v72
	v_ashrrev_i32_e32 v88, 31, v87
	s_delay_alu instid0(VALU_DEP_1) | instskip(NEXT) | instid1(VALU_DEP_1)
	v_lshlrev_b64_e32 v[87:88], 1, v[87:88]
	v_add_co_u32 v87, vcc_lo, s38, v87
	s_wait_alu 0xfffd
	s_delay_alu instid0(VALU_DEP_2) | instskip(SKIP_3) | instid1(VALU_DEP_1)
	v_add_co_ci_u32_e64 v88, null, s39, v88, vcc_lo
	global_load_u16 v60, v[87:88], off
	s_wait_loadcnt 0x0
	v_cvt_f32_f16_e32 v60, v60
	v_mul_f32_e32 v60, v56, v60
	s_branch .LBB72_15
.LBB72_12:                              ;   in Loop: Header=BB72_8 Depth=1
	v_add_f32_e64 v60, |v5|, |v5|
	s_delay_alu instid0(VALU_DEP_1) | instskip(SKIP_1) | instid1(VALU_DEP_2)
	v_mul_f32_e32 v61, 0x3fb8aa3b, v60
	v_cmp_ngt_f32_e32 vcc_lo, 0xc2ce8ed0, v60
	v_rndne_f32_e32 v87, v61
	v_fma_f32 v88, 0x3fb8aa3b, v60, -v61
	s_delay_alu instid0(VALU_DEP_1) | instskip(SKIP_1) | instid1(VALU_DEP_2)
	v_dual_sub_f32 v61, v61, v87 :: v_dual_fmac_f32 v88, 0x32a5705f, v60
	v_cvt_i32_f32_e32 v87, v87
	v_add_f32_e32 v61, v61, v88
	s_delay_alu instid0(VALU_DEP_1) | instskip(NEXT) | instid1(TRANS32_DEP_1)
	v_exp_f32_e32 v61, v61
	v_ldexp_f32 v61, v61, v87
	s_wait_alu 0xfffd
	s_delay_alu instid0(VALU_DEP_1) | instskip(SKIP_2) | instid1(VALU_DEP_2)
	v_cndmask_b32_e32 v61, 0, v61, vcc_lo
	v_cmp_nlt_f32_e32 vcc_lo, 0x42b17218, v60
	s_wait_alu 0xfffd
	v_cndmask_b32_e32 v60, 0x7f800000, v61, vcc_lo
	s_delay_alu instid0(VALU_DEP_1) | instskip(NEXT) | instid1(VALU_DEP_1)
	v_add_f32_e32 v60, 1.0, v60
	v_rcp_f32_e32 v60, v60
	s_delay_alu instid0(TRANS32_DEP_1)
	v_fma_f32 v61, v60, -2.0, 1.0
	s_wait_alu 0xfffe
	s_and_not1_saveexec_b32 s31, s31
	s_cbranch_execz .LBB72_10
.LBB72_13:                              ;   in Loop: Header=BB72_8 Depth=1
	v_mul_f32_e32 v60, v5, v5
	s_delay_alu instid0(VALU_DEP_1) | instskip(NEXT) | instid1(VALU_DEP_1)
	v_fmaak_f32 v61, s30, v60, 0x3ca908c9
	v_fmaak_f32 v61, v60, v61, 0xbd5c1c4e
	s_delay_alu instid0(VALU_DEP_1) | instskip(NEXT) | instid1(VALU_DEP_1)
	v_fmaak_f32 v61, v60, v61, 0x3e088382
	v_fmaak_f32 v61, v60, v61, 0xbeaaaa99
	s_delay_alu instid0(VALU_DEP_1) | instskip(NEXT) | instid1(VALU_DEP_1)
	v_mul_f32_e64 v61, |v5|, v61
	v_fma_f32 v61, v60, v61, |v5|
	s_wait_alu 0xfffe
	s_or_b32 exec_lo, exec_lo, s31
	v_add_nc_u32_e32 v93, s28, v43
	s_and_not1_b32 vcc_lo, exec_lo, s10
	s_wait_alu 0xfffe
	s_cbranch_vccz .LBB72_11
.LBB72_14:                              ;   in Loop: Header=BB72_8 Depth=1
	v_mov_b32_e32 v60, 0
.LBB72_15:                              ;   in Loop: Header=BB72_8 Depth=1
	v_bfi_b32 v5, 0x7fffffff, v61, v5
	v_xor_b32_e32 v61, 16, v82
	v_xor_b32_e32 v88, 8, v82
	v_cmp_ngt_f32_e64 s31, 0x3f200000, |v4|
	s_delay_alu instid0(VALU_DEP_4) | instskip(NEXT) | instid1(VALU_DEP_4)
	v_fmac_f32_e32 v60, s11, v5
	v_cmp_gt_i32_e32 vcc_lo, 32, v61
	s_wait_alu 0xfffd
	v_cndmask_b32_e32 v5, v82, v61, vcc_lo
	s_delay_alu instid0(VALU_DEP_3) | instskip(SKIP_4) | instid1(VALU_DEP_2)
	v_add_f32_e32 v61, 0x40051340, v60
	v_cmp_gt_i32_e32 vcc_lo, 32, v88
	v_max_num_f32_e32 v87, v85, v85
	s_wait_alu 0xfffd
	v_dual_cndmask_b32 v88, v82, v88 :: v_dual_lshlrev_b32 v5, 2, v5
	v_max_num_f32_e32 v87, v87, v61
	ds_bpermute_b32 v61, v5, v87
	s_wait_dscnt 0x0
	v_max_num_f32_e32 v89, v61, v61
	s_delay_alu instid0(VALU_DEP_1)
	v_dual_max_num_f32 v88, v87, v89 :: v_dual_lshlrev_b32 v61, 2, v88
	v_xor_b32_e32 v89, 4, v82
	ds_bpermute_b32 v87, v61, v88
	v_cmp_gt_i32_e32 vcc_lo, 32, v89
	s_wait_dscnt 0x0
	s_wait_alu 0xfffd
	v_dual_cndmask_b32 v89, v82, v89 :: v_dual_max_num_f32 v90, v87, v87
	s_delay_alu instid0(VALU_DEP_1) | instskip(NEXT) | instid1(VALU_DEP_2)
	v_lshlrev_b32_e32 v87, 2, v89
	v_max_num_f32_e32 v89, v88, v90
	v_xor_b32_e32 v90, 2, v82
	ds_bpermute_b32 v88, v87, v89
	v_cmp_gt_i32_e32 vcc_lo, 32, v90
	s_wait_dscnt 0x0
	s_wait_alu 0xfffd
	v_dual_cndmask_b32 v90, v82, v90 :: v_dual_max_num_f32 v91, v88, v88
	s_delay_alu instid0(VALU_DEP_1)
	v_dual_max_num_f32 v89, v89, v91 :: v_dual_lshlrev_b32 v88, 2, v90
	v_xor_b32_e32 v91, 1, v82
	ds_bpermute_b32 v90, v88, v89
	v_cmp_gt_i32_e32 vcc_lo, 32, v91
	s_wait_alu 0xfffd
	v_cndmask_b32_e32 v91, v82, v91, vcc_lo
	s_wait_dscnt 0x0
	v_max_num_f32_e32 v92, v90, v90
	s_delay_alu instid0(VALU_DEP_1) | instskip(SKIP_2) | instid1(SALU_CYCLE_1)
	v_dual_max_num_f32 v89, v89, v92 :: v_dual_lshlrev_b32 v90, 2, v91
                                        ; implicit-def: $vgpr92
	ds_bpermute_b32 v91, v90, v89
	s_and_saveexec_b32 s37, s31
	s_xor_b32 s31, exec_lo, s37
	s_cbranch_execnz .LBB72_19
; %bb.16:                               ;   in Loop: Header=BB72_8 Depth=1
	s_wait_alu 0xfffe
	s_and_not1_saveexec_b32 s31, s31
	s_cbranch_execnz .LBB72_20
.LBB72_17:                              ;   in Loop: Header=BB72_8 Depth=1
	s_wait_alu 0xfffe
	s_or_b32 exec_lo, exec_lo, s31
	s_delay_alu instid0(SALU_CYCLE_1)
	s_and_not1_b32 vcc_lo, exec_lo, s10
	s_wait_alu 0xfffe
	s_cbranch_vccnz .LBB72_21
.LBB72_18:                              ;   in Loop: Header=BB72_8 Depth=1
	v_add_nc_u32_e32 v93, v93, v73
	s_delay_alu instid0(VALU_DEP_1) | instskip(NEXT) | instid1(VALU_DEP_1)
	v_ashrrev_i32_e32 v94, 31, v93
	v_lshlrev_b64_e32 v[93:94], 1, v[93:94]
	s_delay_alu instid0(VALU_DEP_1) | instskip(SKIP_1) | instid1(VALU_DEP_2)
	v_add_co_u32 v93, vcc_lo, s38, v93
	s_wait_alu 0xfffd
	v_add_co_ci_u32_e64 v94, null, s39, v94, vcc_lo
	global_load_u16 v93, v[93:94], off
	s_wait_loadcnt 0x0
	v_cvt_f32_f16_e32 v93, v93
	s_delay_alu instid0(VALU_DEP_1)
	v_mul_f32_e32 v93, v56, v93
	s_branch .LBB72_22
.LBB72_19:                              ;   in Loop: Header=BB72_8 Depth=1
	v_add_f32_e64 v92, |v4|, |v4|
	s_delay_alu instid0(VALU_DEP_1) | instskip(SKIP_1) | instid1(VALU_DEP_2)
	v_mul_f32_e32 v94, 0x3fb8aa3b, v92
	v_cmp_ngt_f32_e32 vcc_lo, 0xc2ce8ed0, v92
	v_rndne_f32_e32 v95, v94
	v_fma_f32 v96, 0x3fb8aa3b, v92, -v94
	s_delay_alu instid0(VALU_DEP_2) | instskip(NEXT) | instid1(VALU_DEP_2)
	v_sub_f32_e32 v94, v94, v95
	v_fmac_f32_e32 v96, 0x32a5705f, v92
	v_cvt_i32_f32_e32 v95, v95
	s_delay_alu instid0(VALU_DEP_2) | instskip(NEXT) | instid1(VALU_DEP_1)
	v_add_f32_e32 v94, v94, v96
	v_exp_f32_e32 v94, v94
	s_delay_alu instid0(TRANS32_DEP_1) | instskip(SKIP_1) | instid1(VALU_DEP_1)
	v_ldexp_f32 v94, v94, v95
	s_wait_alu 0xfffd
	v_cndmask_b32_e32 v94, 0, v94, vcc_lo
	v_cmp_nlt_f32_e32 vcc_lo, 0x42b17218, v92
	s_wait_alu 0xfffd
	s_delay_alu instid0(VALU_DEP_2) | instskip(NEXT) | instid1(VALU_DEP_1)
	v_cndmask_b32_e32 v92, 0x7f800000, v94, vcc_lo
	v_add_f32_e32 v92, 1.0, v92
	s_delay_alu instid0(VALU_DEP_1) | instskip(NEXT) | instid1(TRANS32_DEP_1)
	v_rcp_f32_e32 v92, v92
	v_fma_f32 v92, v92, -2.0, 1.0
	s_wait_alu 0xfffe
	s_and_not1_saveexec_b32 s31, s31
	s_cbranch_execz .LBB72_17
.LBB72_20:                              ;   in Loop: Header=BB72_8 Depth=1
	v_mul_f32_e32 v92, v4, v4
	s_delay_alu instid0(VALU_DEP_1) | instskip(NEXT) | instid1(VALU_DEP_1)
	v_fmaak_f32 v94, s30, v92, 0x3ca908c9
	v_fmaak_f32 v94, v92, v94, 0xbd5c1c4e
	s_delay_alu instid0(VALU_DEP_1) | instskip(NEXT) | instid1(VALU_DEP_1)
	v_fmaak_f32 v94, v92, v94, 0x3e088382
	v_fmaak_f32 v94, v92, v94, 0xbeaaaa99
	s_delay_alu instid0(VALU_DEP_1) | instskip(NEXT) | instid1(VALU_DEP_1)
	v_mul_f32_e64 v94, |v4|, v94
	v_fma_f32 v92, v92, v94, |v4|
	s_wait_alu 0xfffe
	s_or_b32 exec_lo, exec_lo, s31
	s_delay_alu instid0(SALU_CYCLE_1)
	s_and_not1_b32 vcc_lo, exec_lo, s10
	s_wait_alu 0xfffe
	s_cbranch_vccz .LBB72_18
.LBB72_21:                              ;   in Loop: Header=BB72_8 Depth=1
	v_mov_b32_e32 v93, 0
.LBB72_22:                              ;   in Loop: Header=BB72_8 Depth=1
	s_mul_u64 s[40:41], s[28:29], s[26:27]
	s_wait_loadcnt_dscnt 0x0
	s_wait_alu 0xfffe
	s_lshl_b64 s[40:41], s[40:41], 2
	s_barrier_signal -1
	s_wait_alu 0xfffe
	s_add_nc_u64 s[40:41], s[24:25], s[40:41]
	s_barrier_wait -1
	s_wait_alu 0xfffe
	v_add_co_u32 v94, vcc_lo, s40, v22
	s_wait_alu 0xfffd
	v_add_co_ci_u32_e64 v95, null, s41, v23, vcc_lo
	v_add_co_u32 v96, vcc_lo, s40, v24
	s_wait_alu 0xfffd
	v_add_co_ci_u32_e64 v97, null, s41, v25, vcc_lo
	;; [unrolled: 3-line block ×16, first 2 shown]
	global_inv scope:SCOPE_SE
	s_clause 0x7
	global_load_b128 v[94:97], v[94:95], off
	global_load_b128 v[98:101], v[98:99], off
	;; [unrolled: 1-line block ×8, first 2 shown]
	v_bfi_b32 v4, 0x7fffffff, v92, v4
	v_add_nc_u32_e32 v143, 0x1000, v45
	v_add_nc_u32_e32 v159, 0x1800, v45
	v_add_nc_u32_e32 v175, 0x2000, v45
	s_delay_alu instid0(VALU_DEP_4) | instskip(SKIP_1) | instid1(VALU_DEP_2)
	v_dual_fmac_f32 v93, s11, v4 :: v_dual_add_nc_u32 v196, 0x2800, v45
	v_max_num_f32_e32 v4, v86, v86
	v_add_f32_e32 v92, 0x40051340, v93
	s_delay_alu instid0(VALU_DEP_1) | instskip(SKIP_3) | instid1(VALU_DEP_1)
	v_max_num_f32_e32 v4, v4, v92
	ds_bpermute_b32 v5, v5, v4
	s_wait_dscnt 0x0
	v_max_num_f32_e32 v5, v5, v5
	v_max_num_f32_e32 v4, v4, v5
	ds_bpermute_b32 v5, v61, v4
	s_wait_dscnt 0x0
	v_max_num_f32_e32 v5, v5, v5
	s_delay_alu instid0(VALU_DEP_1) | instskip(SKIP_4) | instid1(VALU_DEP_1)
	v_max_num_f32_e32 v4, v4, v5
	ds_bpermute_b32 v5, v87, v4
	v_max_num_f32_e32 v87, v89, v89
	s_wait_dscnt 0x0
	v_max_num_f32_e32 v5, v5, v5
	v_max_num_f32_e32 v4, v4, v5
	ds_bpermute_b32 v5, v88, v4
	s_wait_dscnt 0x0
	v_max_num_f32_e32 v5, v5, v5
	s_delay_alu instid0(VALU_DEP_1) | instskip(NEXT) | instid1(VALU_DEP_1)
	v_dual_max_num_f32 v5, v4, v5 :: v_dual_max_num_f32 v4, v91, v91
	v_max_num_f32_e32 v4, v87, v4
	s_delay_alu instid0(VALU_DEP_1) | instskip(SKIP_1) | instid1(VALU_DEP_2)
	v_sub_f32_e32 v60, v60, v4
	v_sub_f32_e32 v85, v85, v4
	v_mul_f32_e32 v88, 0x3fb8aa3b, v60
	ds_bpermute_b32 v61, v90, v5
	v_cmp_ngt_f32_e32 vcc_lo, 0xc2ce8ed0, v85
	v_fma_f32 v91, 0x3fb8aa3b, v60, -v88
	v_rndne_f32_e32 v92, v88
	s_delay_alu instid0(VALU_DEP_2) | instskip(NEXT) | instid1(VALU_DEP_2)
	v_fmac_f32_e32 v91, 0x32a5705f, v60
	v_sub_f32_e32 v88, v88, v92
	s_wait_dscnt 0x0
	s_delay_alu instid0(VALU_DEP_1) | instskip(NEXT) | instid1(VALU_DEP_1)
	v_dual_add_f32 v88, v88, v91 :: v_dual_max_num_f32 v61, v61, v61
	v_exp_f32_e32 v88, v88
	s_delay_alu instid0(VALU_DEP_1) | instskip(NEXT) | instid1(VALU_DEP_1)
	v_max_num_f32_e32 v5, v5, v61
	v_sub_f32_e32 v86, v86, v5
	s_delay_alu instid0(VALU_DEP_1) | instskip(NEXT) | instid1(VALU_DEP_1)
	v_dual_mul_f32 v87, 0x3fb8aa3b, v85 :: v_dual_mul_f32 v126, 0x3fb8aa3b, v86
	v_fma_f32 v90, 0x3fb8aa3b, v85, -v87
	v_rndne_f32_e32 v61, v87
	s_delay_alu instid0(VALU_DEP_3) | instskip(NEXT) | instid1(VALU_DEP_3)
	v_rndne_f32_e32 v91, v126
	v_fmac_f32_e32 v90, 0x32a5705f, v85
	s_delay_alu instid0(VALU_DEP_3) | instskip(SKIP_1) | instid1(VALU_DEP_2)
	v_sub_f32_e32 v87, v87, v61
	v_cvt_i32_f32_e32 v61, v61
	v_add_f32_e32 v87, v87, v90
	v_fma_f32 v90, 0x3fb8aa3b, v86, -v126
	v_add_nc_u32_e32 v89, v74, v41
	v_sub_f32_e32 v126, v126, v91
	v_cvt_i32_f32_e32 v91, v91
	v_exp_f32_e32 v87, v87
	v_dual_fmac_f32 v90, 0x32a5705f, v86 :: v_dual_sub_f32 v93, v93, v5
	s_delay_alu instid0(VALU_DEP_1) | instskip(NEXT) | instid1(VALU_DEP_2)
	v_add_f32_e32 v90, v126, v90
	v_mul_f32_e32 v128, 0x3fb8aa3b, v93
	s_delay_alu instid0(TRANS32_DEP_1) | instskip(NEXT) | instid1(VALU_DEP_3)
	v_ldexp_f32 v61, v87, v61
	v_exp_f32_e32 v87, v90
	s_delay_alu instid0(VALU_DEP_2)
	v_fma_f32 v129, 0x3fb8aa3b, v93, -v128
	v_rndne_f32_e32 v130, v128
	v_cvt_i32_f32_e32 v90, v92
	s_wait_alu 0xfffd
	v_cndmask_b32_e32 v61, 0, v61, vcc_lo
	v_cmp_nlt_f32_e32 vcc_lo, 0x42b17218, v85
	v_dual_fmac_f32 v129, 0x32a5705f, v93 :: v_dual_sub_f32 v128, v128, v130
	v_ldexp_f32 v88, v88, v90
	v_cvt_i32_f32_e32 v90, v130
	s_wait_alu 0xfffd
	v_cndmask_b32_e32 v85, 0x7f800000, v61, vcc_lo
	v_cmp_ngt_f32_e32 vcc_lo, 0xc2ce8ed0, v60
	v_add_f32_e32 v126, v128, v129
	v_ldexp_f32 v61, v87, v91
	s_wait_alu 0xfffd
	v_cndmask_b32_e32 v87, 0, v88, vcc_lo
	s_delay_alu instid0(VALU_DEP_3) | instskip(SKIP_4) | instid1(TRANS32_DEP_1)
	v_exp_f32_e32 v92, v126
	v_cmp_ngt_f32_e32 vcc_lo, 0xc2ce8ed0, v86
	s_wait_alu 0xfffd
	v_cndmask_b32_e32 v61, 0, v61, vcc_lo
	v_cmp_ngt_f32_e32 vcc_lo, 0xc2ce8ed0, v93
	v_ldexp_f32 v88, v92, v90
	v_add_nc_u32_e32 v127, 0x800, v45
	v_cvt_f16_f32_e32 v90, v85
	s_wait_alu 0xfffd
	s_delay_alu instid0(VALU_DEP_3)
	v_cndmask_b32_e32 v88, 0, v88, vcc_lo
	v_cmp_nlt_f32_e32 vcc_lo, 0x42b17218, v86
	s_wait_alu 0xfffd
	v_cndmask_b32_e32 v86, 0x7f800000, v61, vcc_lo
	v_cmp_nlt_f32_e32 vcc_lo, 0x42b17218, v60
	s_wait_alu 0xfffd
	v_cndmask_b32_e32 v61, 0x7f800000, v87, vcc_lo
	v_cmp_nlt_f32_e32 vcc_lo, 0x42b17218, v93
	v_and_b32_e32 v87, 0xffff, v90
	s_delay_alu instid0(VALU_DEP_3) | instskip(SKIP_4) | instid1(VALU_DEP_3)
	v_cvt_f16_f32_e32 v90, v61
	s_wait_alu 0xfffd
	v_dual_cndmask_b32 v60, 0x7f800000, v88 :: v_dual_fmac_f32 v61, v83, v85
	v_cvt_f16_f32_e32 v88, v86
	v_mul_u32_u24_e32 v195, 0x10001, v87
	v_cvt_f16_f32_e32 v87, v60
	v_fmac_f32_e32 v60, v84, v86
	s_delay_alu instid0(VALU_DEP_4) | instskip(NEXT) | instid1(VALU_DEP_4)
	v_and_b32_e32 v88, 0xffff, v88
	v_pk_mul_f16 v54, v54, v195
	v_pk_mul_f16 v52, v52, v195
	v_pack_b32_f16 v83, v90, v87
	v_pk_mul_f16 v53, v53, v195
	v_mul_u32_u24_e32 v197, 0x10001, v88
	ds_store_b32 v89, v83
	s_wait_loadcnt 0x7
	ds_store_b128 v64, v[94:97]
	s_wait_loadcnt 0x6
	ds_store_b128 v75, v[98:101]
	;; [unrolled: 2-line block ×8, first 2 shown]
	s_wait_dscnt 0x0
	s_barrier_signal -1
	s_barrier_wait -1
	global_inv scope:SCOPE_SE
	ds_load_2addr_b64 v[83:86], v45 offset1:32
	ds_load_b128 v[87:90], v74
	ds_load_b128 v[91:94], v74 offset:16
	ds_load_b128 v[95:98], v74 offset:32
	;; [unrolled: 1-line block ×3, first 2 shown]
	ds_load_2addr_b64 v[103:106], v45 offset0:64 offset1:96
	ds_load_2addr_b64 v[107:110], v45 offset0:128 offset1:160
	ds_load_2addr_b64 v[111:114], v45 offset0:192 offset1:224
	ds_load_2addr_b64 v[115:118], v127 offset1:32
	ds_load_2addr_b64 v[119:122], v127 offset0:64 offset1:96
	ds_load_2addr_b64 v[123:126], v127 offset0:128 offset1:160
	ds_load_2addr_b64 v[127:130], v127 offset0:192 offset1:224
	ds_load_2addr_b64 v[131:134], v143 offset1:32
	;; [unrolled: 4-line block ×5, first 2 shown]
	ds_load_b128 v[183:186], v74 offset:64
	ds_load_b128 v[187:190], v74 offset:80
	ds_load_2addr_b64 v[191:194], v196 offset0:64 offset1:96
	s_wait_dscnt 0x1a
	v_lshrrev_b32_e32 v198, 16, v87
	v_and_b32_e32 v87, 0xffff, v87
	v_lshrrev_b32_e32 v199, 16, v88
	v_and_b32_e32 v88, 0xffff, v88
	v_pk_mul_f16 v49, v49, v197
	v_mul_u32_u24_e32 v198, 0x10001, v198
	v_mul_u32_u24_e32 v87, 0x10001, v87
	v_pk_mul_f16 v48, v48, v197
	v_lshrrev_b32_e32 v200, 16, v89
	v_and_b32_e32 v89, 0xffff, v89
	v_mul_u32_u24_e32 v88, 0x10001, v88
	v_pk_mul_f16 v220, v83, v87
	v_pk_mul_f16 v83, v83, v198
	v_mul_u32_u24_e32 v199, 0x10001, v199
	v_lshrrev_b32_e32 v201, 16, v90
	v_and_b32_e32 v90, 0xffff, v90
	v_pk_fma_f16 v47, v47, v195, v220
	v_pk_fma_f16 v46, v46, v197, v83
	v_mul_u32_u24_e32 v89, 0x10001, v89
	v_mul_u32_u24_e32 v200, 0x10001, v200
	v_pk_fma_f16 v54, v84, v87, v54
	v_pk_fma_f16 v52, v85, v87, v52
	;; [unrolled: 1-line block ×5, first 2 shown]
	s_wait_dscnt 0x16
	v_pk_fma_f16 v47, v103, v88, v47
	v_pk_fma_f16 v46, v103, v199, v46
	v_pk_mul_f16 v50, v50, v197
	v_lshrrev_b32_e32 v202, 16, v91
	v_and_b32_e32 v91, 0xffff, v91
	v_mul_u32_u24_e32 v90, 0x10001, v90
	v_mul_u32_u24_e32 v201, 0x10001, v201
	v_pk_fma_f16 v54, v104, v88, v54
	v_pk_fma_f16 v52, v105, v88, v52
	v_pk_fma_f16 v49, v105, v199, v49
	v_pk_fma_f16 v53, v106, v88, v53
	v_pk_fma_f16 v48, v106, v199, v48
	s_wait_dscnt 0x15
	v_pk_fma_f16 v47, v107, v89, v47
	v_pk_fma_f16 v46, v107, v200, v46
	v_lshrrev_b32_e32 v203, 16, v92
	v_and_b32_e32 v92, 0xffff, v92
	v_mul_u32_u24_e32 v91, 0x10001, v91
	v_mul_u32_u24_e32 v202, 0x10001, v202
	v_pk_fma_f16 v50, v84, v198, v50
	v_pk_fma_f16 v54, v108, v89, v54
	v_pk_fma_f16 v52, v109, v89, v52
	v_pk_fma_f16 v49, v109, v200, v49
	v_pk_fma_f16 v53, v110, v89, v53
	v_pk_fma_f16 v48, v110, v200, v48
	s_wait_dscnt 0x14
	v_pk_fma_f16 v47, v111, v90, v47
	v_pk_fma_f16 v46, v111, v201, v46
	v_lshrrev_b32_e32 v204, 16, v93
	v_and_b32_e32 v93, 0xffff, v93
	v_mul_u32_u24_e32 v92, 0x10001, v92
	v_mul_u32_u24_e32 v203, 0x10001, v203
	v_pk_fma_f16 v50, v104, v199, v50
	;; [unrolled: 13-line block ×11, first 2 shown]
	v_pk_fma_f16 v54, v148, v99, v54
	v_pk_fma_f16 v52, v149, v99, v52
	v_pk_fma_f16 v49, v149, v210, v49
	v_pk_fma_f16 v53, v150, v99, v53
	v_pk_fma_f16 v48, v150, v210, v48
	s_wait_dscnt 0xa
	v_pk_fma_f16 v47, v151, v100, v47
	v_pk_fma_f16 v46, v151, v211, v46
	s_wait_dscnt 0x2
	v_lshrrev_b32_e32 v214, 16, v183
	v_and_b32_e32 v183, 0xffff, v183
	v_mul_u32_u24_e32 v102, 0x10001, v102
	v_mul_u32_u24_e32 v213, 0x10001, v213
	v_pk_fma_f16 v50, v144, v209, v50
	v_pk_fma_f16 v54, v152, v100, v54
	v_pk_fma_f16 v52, v153, v100, v52
	v_pk_fma_f16 v49, v153, v211, v49
	v_pk_fma_f16 v53, v154, v100, v53
	v_pk_fma_f16 v48, v154, v211, v48
	v_pk_fma_f16 v47, v155, v101, v47
	v_pk_fma_f16 v46, v155, v212, v46
	v_lshrrev_b32_e32 v215, 16, v184
	v_and_b32_e32 v184, 0xffff, v184
	v_mul_u32_u24_e32 v183, 0x10001, v183
	v_mul_u32_u24_e32 v214, 0x10001, v214
	v_pk_fma_f16 v50, v148, v210, v50
	v_pk_fma_f16 v54, v156, v101, v54
	v_pk_fma_f16 v52, v157, v101, v52
	v_pk_fma_f16 v49, v157, v212, v49
	v_pk_fma_f16 v53, v158, v101, v53
	v_pk_fma_f16 v48, v158, v212, v48
	v_pk_fma_f16 v47, v159, v102, v47
	v_pk_fma_f16 v46, v159, v213, v46
	;; [unrolled: 12-line block ×4, first 2 shown]
	s_wait_dscnt 0x1
	v_lshrrev_b32_e32 v218, 16, v187
	v_and_b32_e32 v187, 0xffff, v187
	v_mul_u32_u24_e32 v186, 0x10001, v186
	v_mul_u32_u24_e32 v217, 0x10001, v217
	v_pk_fma_f16 v50, v160, v213, v50
	v_pk_fma_f16 v54, v168, v184, v54
	;; [unrolled: 1-line block ×8, first 2 shown]
	v_mul_u32_u24_e32 v187, 0x10001, v187
	v_mul_u32_u24_e32 v218, 0x10001, v218
	v_pk_fma_f16 v50, v164, v214, v50
	v_pk_fma_f16 v54, v172, v185, v54
	;; [unrolled: 1-line block ×8, first 2 shown]
	v_lshrrev_b32_e32 v219, 16, v188
	v_and_b32_e32 v188, 0xffff, v188
	v_pk_fma_f16 v50, v168, v215, v50
	v_pk_fma_f16 v54, v176, v186, v54
	;; [unrolled: 1-line block ×8, first 2 shown]
	ds_load_2addr_b64 v[46:49], v196 offset0:128 offset1:160
	v_pk_fma_f16 v50, v172, v216, v50
	v_pk_fma_f16 v54, v180, v187, v54
	;; [unrolled: 1-line block ×3, first 2 shown]
	v_mul_u32_u24_e32 v87, 0x10001, v188
	v_mul_u32_u24_e32 v91, 0x10001, v219
	v_pk_fma_f16 v83, v181, v218, v83
	v_pk_fma_f16 v53, v182, v187, v53
	v_and_b32_e32 v88, 0xffff, v189
	v_lshrrev_b32_e32 v89, 16, v189
	v_pk_fma_f16 v50, v176, v217, v50
	v_pk_fma_f16 v92, v182, v218, v84
	s_wait_dscnt 0x1
	v_pk_fma_f16 v93, v191, v87, v85
	v_pk_fma_f16 v94, v191, v91, v86
	;; [unrolled: 1-line block ×5, first 2 shown]
	ds_load_2addr_b64 v[83:86], v196 offset0:192 offset1:224
	v_mul_u32_u24_e32 v96, 0x10001, v88
	v_mul_u32_u24_e32 v97, 0x10001, v89
	v_pk_fma_f16 v53, v194, v87, v53
	ds_load_b128 v[87:90], v74 offset:96
	v_pk_fma_f16 v50, v180, v218, v50
	v_add_nc_u32_e32 v100, 0x3000, v45
	v_pk_fma_f16 v98, v194, v91, v92
	s_wait_dscnt 0x2
	v_pk_fma_f16 v99, v46, v96, v93
	v_pk_fma_f16 v46, v46, v97, v94
	;; [unrolled: 1-line block ×3, first 2 shown]
	v_and_b32_e32 v101, 0xffff, v190
	v_lshrrev_b32_e32 v102, 16, v190
	ds_load_2addr_b64 v[91:94], v100 offset1:32
	v_pk_fma_f16 v54, v47, v96, v54
	v_pk_fma_f16 v50, v47, v97, v50
	v_mul_u32_u24_e32 v101, 0x10001, v101
	v_mul_u32_u24_e32 v102, 0x10001, v102
	v_pk_fma_f16 v52, v48, v96, v52
	v_pk_fma_f16 v103, v48, v97, v95
	;; [unrolled: 1-line block ×4, first 2 shown]
	s_wait_dscnt 0x2
	v_pk_fma_f16 v99, v83, v101, v99
	v_pk_fma_f16 v83, v83, v102, v46
	ds_load_b128 v[46:49], v74 offset:112
	s_wait_dscnt 0x2
	v_and_b32_e32 v105, 0xffff, v87
	v_lshrrev_b32_e32 v87, 16, v87
	ds_load_2addr_b64 v[95:98], v100 offset0:64 offset1:96
	v_pk_fma_f16 v54, v84, v101, v54
	v_pk_fma_f16 v50, v84, v102, v50
	v_mul_u32_u24_e32 v105, 0x10001, v105
	v_mul_u32_u24_e32 v87, 0x10001, v87
	v_pk_fma_f16 v52, v85, v101, v52
	v_pk_fma_f16 v103, v85, v102, v103
	;; [unrolled: 1-line block ×4, first 2 shown]
	s_wait_dscnt 0x2
	v_pk_fma_f16 v99, v91, v105, v99
	v_pk_fma_f16 v91, v91, v87, v83
	ds_load_2addr_b64 v[83:86], v100 offset0:128 offset1:160
	v_and_b32_e32 v102, 0xffff, v88
	v_lshrrev_b32_e32 v88, 16, v88
	v_pk_fma_f16 v54, v92, v105, v54
	v_pk_fma_f16 v50, v92, v87, v50
	;; [unrolled: 1-line block ×3, first 2 shown]
	v_mul_u32_u24_e32 v102, 0x10001, v102
	v_mul_u32_u24_e32 v88, 0x10001, v88
	v_pk_fma_f16 v87, v94, v87, v101
	v_and_b32_e32 v101, 0xffff, v89
	v_lshrrev_b32_e32 v89, 16, v89
	v_pk_fma_f16 v52, v93, v105, v52
	v_pk_fma_f16 v53, v94, v105, v53
	s_wait_dscnt 0x1
	v_pk_fma_f16 v99, v95, v102, v99
	v_pk_fma_f16 v95, v95, v88, v91
	;; [unrolled: 1-line block ×4, first 2 shown]
	ds_load_2addr_b64 v[91:94], v100 offset0:192 offset1:224
	v_mul_u32_u24_e32 v96, 0x10001, v101
	v_mul_u32_u24_e32 v100, 0x10001, v89
	v_pk_fma_f16 v52, v97, v102, v52
	v_pk_fma_f16 v97, v97, v88, v103
	;; [unrolled: 1-line block ×3, first 2 shown]
	s_wait_dscnt 0x1
	v_pk_fma_f16 v99, v83, v96, v99
	v_pk_fma_f16 v83, v83, v100, v95
	v_add_nc_u32_e32 v95, 0x3800, v45
	v_pk_fma_f16 v98, v98, v88, v87
	v_and_b32_e32 v101, 0xffff, v90
	v_lshrrev_b32_e32 v102, 16, v90
	v_pk_fma_f16 v54, v84, v96, v54
	ds_load_2addr_b64 v[87:90], v95 offset1:32
	v_pk_fma_f16 v50, v84, v100, v50
	v_mul_u32_u24_e32 v101, 0x10001, v101
	v_mul_u32_u24_e32 v102, 0x10001, v102
	v_pk_fma_f16 v52, v85, v96, v52
	v_pk_fma_f16 v53, v86, v96, v53
	;; [unrolled: 1-line block ×3, first 2 shown]
	s_wait_dscnt 0x1
	v_pk_fma_f16 v98, v91, v101, v99
	v_and_b32_e32 v99, 0xffff, v46
	v_lshrrev_b32_e32 v46, 16, v46
	v_pk_fma_f16 v97, v85, v100, v97
	v_pk_fma_f16 v91, v91, v102, v83
	ds_load_2addr_b64 v[83:86], v95 offset0:64 offset1:96
	v_pk_fma_f16 v54, v92, v101, v54
	v_pk_fma_f16 v50, v92, v102, v50
	v_mul_u32_u24_e32 v92, 0x10001, v99
	v_mul_u32_u24_e32 v46, 0x10001, v46
	v_pk_fma_f16 v52, v93, v101, v52
	v_pk_fma_f16 v93, v93, v102, v97
	v_pk_fma_f16 v53, v94, v101, v53
	s_wait_dscnt 0x1
	v_pk_fma_f16 v97, v87, v92, v98
	v_pk_fma_f16 v87, v87, v46, v91
	v_and_b32_e32 v91, 0xffff, v47
	v_pk_fma_f16 v96, v94, v102, v96
	v_lshrrev_b32_e32 v47, 16, v47
	v_pk_fma_f16 v54, v88, v92, v54
	v_pk_fma_f16 v50, v88, v46, v50
	;; [unrolled: 1-line block ×4, first 2 shown]
	v_mul_u32_u24_e32 v89, 0x10001, v91
	v_pk_fma_f16 v53, v90, v92, v53
	ds_load_2addr_b64 v[91:94], v95 offset0:128 offset1:160
	v_mul_u32_u24_e32 v47, 0x10001, v47
	v_pk_fma_f16 v46, v90, v46, v96
	s_wait_dscnt 0x1
	v_pk_fma_f16 v90, v83, v89, v97
	v_pk_fma_f16 v54, v84, v89, v54
	;; [unrolled: 1-line block ×8, first 2 shown]
	ds_load_2addr_b64 v[83:86], v95 offset0:192 offset1:224
	s_wait_loadcnt_dscnt 0x0
	s_barrier_signal -1
	s_barrier_wait -1
	global_inv scope:SCOPE_SE
	s_load_b32 s29, s[8:9], 0x4
	v_and_b32_e32 v96, 0xffff, v48
	v_lshrrev_b32_e32 v48, 16, v48
	s_delay_alu instid0(VALU_DEP_2) | instskip(NEXT) | instid1(VALU_DEP_2)
	v_mul_u32_u24_e32 v47, 0x10001, v96
	v_mul_u32_u24_e32 v48, 0x10001, v48
	s_delay_alu instid0(VALU_DEP_2) | instskip(SKIP_2) | instid1(VALU_DEP_4)
	v_pk_fma_f16 v89, v91, v47, v90
	v_and_b32_e32 v90, 0xffff, v49
	v_lshrrev_b32_e32 v49, 16, v49
	v_pk_fma_f16 v87, v91, v48, v87
	v_pk_fma_f16 v54, v92, v47, v54
	;; [unrolled: 1-line block ×4, first 2 shown]
	v_mul_u32_u24_e32 v90, 0x10001, v90
	v_mul_u32_u24_e32 v91, 0x10001, v49
	v_pk_fma_f16 v49, v93, v48, v88
	v_pk_fma_f16 v53, v94, v47, v53
	;; [unrolled: 1-line block ×3, first 2 shown]
	s_wait_kmcnt 0x0
	s_lshl_b32 s29, s29, 5
	v_pk_fma_f16 v47, v83, v90, v89
	v_pk_fma_f16 v46, v83, v91, v87
	;; [unrolled: 1-line block ×8, first 2 shown]
	s_wait_alu 0xfffe
	s_add_co_i32 s28, s29, s28
	s_wait_alu 0xfffe
	s_cmp_lt_i32 s28, s3
	s_cbranch_scc0 .LBB72_25
; %bb.23:                               ;   in Loop: Header=BB72_8 Depth=1
	v_dual_mov_b32 v85, v4 :: v_dual_mov_b32 v86, v5
	v_dual_mov_b32 v83, v61 :: v_dual_mov_b32 v84, v60
	s_branch .LBB72_8
.LBB72_24:
	v_dual_mov_b32 v4, 0xfeffffff :: v_dual_mov_b32 v47, 0
	v_dual_mov_b32 v61, 0 :: v_dual_mov_b32 v54, 0
	s_delay_alu instid0(VALU_DEP_2)
	v_dual_mov_b32 v52, 0 :: v_dual_mov_b32 v5, v4
	v_dual_mov_b32 v53, 0 :: v_dual_mov_b32 v46, 0
	;; [unrolled: 1-line block ×3, first 2 shown]
	v_mov_b32_e32 v48, 0
.LBB72_25:
	s_cmp_gt_i32 s2, s28
	s_cbranch_scc1 .LBB72_28
; %bb.26:
	v_mbcnt_lo_u32_b32 v6, -1, 0
	v_mov_b32_e32 v18, 32
	s_delay_alu instid0(VALU_DEP_2)
	v_xor_b32_e32 v16, 16, v6
	v_xor_b32_e32 v15, 8, v6
	;; [unrolled: 1-line block ×5, first 2 shown]
	s_cbranch_execz .LBB72_29
; %bb.27:
	v_mov_b32_e32 v44, v6
	s_branch .LBB72_48
.LBB72_28:
                                        ; implicit-def: $vgpr6
                                        ; implicit-def: $vgpr18
                                        ; implicit-def: $vgpr16
                                        ; implicit-def: $vgpr15
                                        ; implicit-def: $vgpr17
                                        ; implicit-def: $vgpr19
                                        ; implicit-def: $vgpr20
.LBB72_29:
	s_ashr_i32 s29, s28, 31
	s_ashr_i32 s5, s4, 31
	v_lshlrev_b64_e32 v[6:7], 2, v[2:3]
	s_wait_alu 0xfffe
	s_mul_u64 s[8:9], s[28:29], s[4:5]
	s_mov_b64 s[30:31], src_private_base
	s_wait_alu 0xfffe
	s_lshl_b64 s[8:9], s[8:9], 2
	s_sub_co_i32 s30, s2, s28
	s_wait_alu 0xfffe
	s_add_nc_u64 s[40:41], s[6:7], s[8:9]
	s_mov_b32 s8, 0
	s_wait_alu 0xfffe
	v_add_co_u32 v3, vcc_lo, s40, v6
	s_wait_alu 0xfffd
	v_add_co_ci_u32_e64 v6, null, s41, v7, vcc_lo
	v_cmp_gt_i32_e64 s2, s30, v51
	s_delay_alu instid0(VALU_DEP_3) | instskip(SKIP_1) | instid1(VALU_DEP_3)
	v_add_co_u32 v3, vcc_lo, v3, v55
	s_wait_alu 0xfffd
	v_add_co_ci_u32_e64 v7, null, 0, v6, vcc_lo
	s_mov_b32 s10, s8
	s_mov_b32 s9, s8
	s_wait_alu 0xfffe
	v_dual_mov_b32 v6, 0 :: v_dual_mov_b32 v21, s10
	v_dual_mov_b32 v20, s9 :: v_dual_mov_b32 v19, s8
	v_cndmask_b32_e64 v8, s31, v7, s2
	v_cndmask_b32_e64 v7, 0, v3, s2
	s_clause 0x1
	scratch_store_b32 off, v6, off
	scratch_store_b96 off, v[19:21], off offset:4
	s_lshl_b32 s9, s4, 2
	v_add_nc_u32_e32 v9, 4, v51
	flat_load_b128 v[10:13], v[7:8]
	s_wait_alu 0xfffe
	v_add_nc_u32_e32 v2, s9, v2
	v_mad_u32_u24 v22, 0x210, v51, v55
	s_clause 0x1
	scratch_store_b32 off, v6, off
	scratch_store_b96 off, v[19:21], off offset:4
	v_cmp_gt_i32_e64 s3, s30, v9
	v_ashrrev_i32_e32 v3, 31, v2
	s_delay_alu instid0(VALU_DEP_1) | instskip(SKIP_1) | instid1(VALU_DEP_2)
	v_lshlrev_b64_e32 v[7:8], 2, v[2:3]
	v_add_nc_u32_e32 v2, s9, v2
	v_add_co_u32 v3, vcc_lo, s40, v7
	s_wait_alu 0xfffd
	s_delay_alu instid0(VALU_DEP_3) | instskip(NEXT) | instid1(VALU_DEP_2)
	v_add_co_ci_u32_e64 v7, null, s41, v8, vcc_lo
	v_add_co_u32 v3, vcc_lo, v3, v55
	s_wait_alu 0xfffd
	s_delay_alu instid0(VALU_DEP_2) | instskip(SKIP_1) | instid1(VALU_DEP_1)
	v_add_co_ci_u32_e64 v7, null, 0, v7, vcc_lo
	s_wait_alu 0xf1ff
	v_cndmask_b32_e64 v8, s31, v7, s3
	v_cndmask_b32_e64 v7, 0, v3, s3
	v_ashrrev_i32_e32 v3, 31, v2
	s_wait_loadcnt_dscnt 0x0
	ds_store_b128 v22, v[10:13]
	flat_load_b128 v[11:14], v[7:8]
	v_lshlrev_b64_e32 v[7:8], 2, v[2:3]
	v_add_nc_u32_e32 v10, 8, v51
	s_clause 0x1
	scratch_store_b32 off, v6, off
	scratch_store_b96 off, v[19:21], off offset:4
	v_add_nc_u32_e32 v2, s9, v2
	v_add_co_u32 v3, vcc_lo, s40, v7
	s_wait_alu 0xfffd
	v_add_co_ci_u32_e64 v7, null, s41, v8, vcc_lo
	v_cmp_gt_i32_e64 s4, s30, v10
	s_delay_alu instid0(VALU_DEP_3) | instskip(SKIP_1) | instid1(VALU_DEP_3)
	v_add_co_u32 v3, vcc_lo, v3, v55
	s_wait_alu 0xfffd
	v_add_co_ci_u32_e64 v7, null, 0, v7, vcc_lo
	s_wait_alu 0xf1ff
	s_delay_alu instid0(VALU_DEP_1)
	v_cndmask_b32_e64 v8, s31, v7, s4
	v_cndmask_b32_e64 v7, 0, v3, s4
	v_ashrrev_i32_e32 v3, 31, v2
	s_wait_loadcnt_dscnt 0x0
	ds_store_b128 v22, v[11:14] offset:2112
	flat_load_b128 v[12:15], v[7:8]
	v_lshlrev_b64_e32 v[7:8], 2, v[2:3]
	v_add_nc_u32_e32 v11, 12, v51
	s_clause 0x1
	scratch_store_b32 off, v6, off
	scratch_store_b96 off, v[19:21], off offset:4
	v_add_nc_u32_e32 v2, s9, v2
	v_add_co_u32 v3, vcc_lo, s40, v7
	s_wait_alu 0xfffd
	v_add_co_ci_u32_e64 v7, null, s41, v8, vcc_lo
	v_cmp_gt_i32_e64 s5, s30, v11
	s_delay_alu instid0(VALU_DEP_3) | instskip(SKIP_1) | instid1(VALU_DEP_3)
	v_add_co_u32 v3, vcc_lo, v3, v55
	s_wait_alu 0xfffd
	v_add_co_ci_u32_e64 v7, null, 0, v7, vcc_lo
	s_wait_alu 0xf1ff
	s_delay_alu instid0(VALU_DEP_1)
	v_cndmask_b32_e64 v8, s31, v7, s5
	v_cndmask_b32_e64 v7, 0, v3, s5
	v_ashrrev_i32_e32 v3, 31, v2
	s_wait_loadcnt_dscnt 0x0
	ds_store_b128 v22, v[12:15] offset:4224
	flat_load_b128 v[13:16], v[7:8]
	v_lshlrev_b64_e32 v[7:8], 2, v[2:3]
	v_add_nc_u32_e32 v12, 16, v51
	s_clause 0x1
	scratch_store_b32 off, v6, off
	scratch_store_b96 off, v[19:21], off offset:4
	v_add_nc_u32_e32 v2, s9, v2
	v_add_co_u32 v3, vcc_lo, s40, v7
	s_wait_alu 0xfffd
	v_add_co_ci_u32_e64 v7, null, s41, v8, vcc_lo
	v_cmp_gt_i32_e64 s6, s30, v12
	s_delay_alu instid0(VALU_DEP_3) | instskip(SKIP_1) | instid1(VALU_DEP_3)
	v_add_co_u32 v3, vcc_lo, v3, v55
	s_wait_alu 0xfffd
	v_add_co_ci_u32_e64 v7, null, 0, v7, vcc_lo
	s_delay_alu instid0(VALU_DEP_1) | instskip(NEXT) | instid1(VALU_DEP_3)
	v_cndmask_b32_e64 v8, s31, v7, s6
	v_cndmask_b32_e64 v7, 0, v3, s6
	v_ashrrev_i32_e32 v3, 31, v2
	s_wait_loadcnt_dscnt 0x0
	ds_store_b128 v22, v[13:16] offset:6336
	flat_load_b128 v[14:17], v[7:8]
	v_lshlrev_b64_e32 v[7:8], 2, v[2:3]
	v_add_nc_u32_e32 v13, 20, v51
	s_clause 0x1
	scratch_store_b32 off, v6, off
	scratch_store_b96 off, v[19:21], off offset:4
	v_add_nc_u32_e32 v2, s9, v2
	v_add_co_u32 v3, vcc_lo, s40, v7
	s_wait_alu 0xfffd
	v_add_co_ci_u32_e64 v7, null, s41, v8, vcc_lo
	v_cmp_gt_i32_e64 s7, s30, v13
	s_delay_alu instid0(VALU_DEP_3) | instskip(SKIP_1) | instid1(VALU_DEP_3)
	v_add_co_u32 v3, vcc_lo, v3, v55
	s_wait_alu 0xfffd
	v_add_co_ci_u32_e64 v7, null, 0, v7, vcc_lo
	s_wait_alu 0xf1ff
	s_delay_alu instid0(VALU_DEP_1)
	v_cndmask_b32_e64 v8, s31, v7, s7
	v_cndmask_b32_e64 v7, 0, v3, s7
	v_ashrrev_i32_e32 v3, 31, v2
	s_wait_loadcnt_dscnt 0x0
	ds_store_b128 v22, v[14:17] offset:8448
	flat_load_b128 v[15:18], v[7:8]
	v_lshlrev_b64_e32 v[7:8], 2, v[2:3]
	v_add_nc_u32_e32 v14, 24, v51
	s_clause 0x1
	scratch_store_b32 off, v6, off
	scratch_store_b96 off, v[19:21], off offset:4
	v_add_nc_u32_e32 v2, s9, v2
	v_add_co_u32 v3, vcc_lo, s40, v7
	s_wait_alu 0xfffd
	v_add_co_ci_u32_e64 v7, null, s41, v8, vcc_lo
	v_cmp_gt_i32_e64 s8, s30, v14
	s_delay_alu instid0(VALU_DEP_3) | instskip(SKIP_1) | instid1(VALU_DEP_3)
	v_add_co_u32 v3, vcc_lo, v3, v55
	s_wait_alu 0xfffd
	v_add_co_ci_u32_e64 v7, null, 0, v7, vcc_lo
	s_wait_alu 0xf1ff
	s_delay_alu instid0(VALU_DEP_1) | instskip(SKIP_2) | instid1(VALU_DEP_1)
	v_cndmask_b32_e64 v8, s31, v7, s8
	v_cndmask_b32_e64 v7, 0, v3, s8
	v_ashrrev_i32_e32 v3, 31, v2
	v_lshlrev_b64_e32 v[2:3], 2, v[2:3]
	s_delay_alu instid0(VALU_DEP_1) | instskip(SKIP_1) | instid1(VALU_DEP_2)
	v_add_co_u32 v2, vcc_lo, s40, v2
	s_wait_alu 0xfffd
	v_add_co_ci_u32_e64 v3, null, s41, v3, vcc_lo
	s_delay_alu instid0(VALU_DEP_2) | instskip(SKIP_1) | instid1(VALU_DEP_2)
	v_add_co_u32 v2, vcc_lo, v2, v55
	s_wait_alu 0xfffd
	v_add_co_ci_u32_e64 v3, null, 0, v3, vcc_lo
	s_wait_loadcnt_dscnt 0x0
	ds_store_b128 v22, v[15:18] offset:10560
	flat_load_b128 v[15:18], v[7:8]
	v_add_nc_u32_e32 v8, 28, v51
	s_clause 0x1
	scratch_store_b32 off, v6, off
	scratch_store_b96 off, v[19:21], off offset:4
	v_cmp_gt_i32_e64 s9, s30, v8
	s_wait_alu 0xf1ff
	s_delay_alu instid0(VALU_DEP_1)
	v_cndmask_b32_e64 v3, s31, v3, s9
	v_cndmask_b32_e64 v2, 0, v2, s9
	s_wait_loadcnt_dscnt 0x0
	ds_store_b128 v22, v[15:18] offset:12672
	flat_load_b128 v[15:18], v[2:3]
	v_mov_b32_e32 v2, 0
                                        ; implicit-def: $vgpr3
	s_wait_loadcnt_dscnt 0x0
	ds_store_b128 v22, v[15:18] offset:14784
	s_wait_storecnt_dscnt 0x0
	s_barrier_signal -1
	s_barrier_wait -1
	global_inv scope:SCOPE_SE
	ds_load_b128 v[15:18], v59
	ds_load_b128 v[19:22], v58 offset:16896
	ds_load_b128 v[23:26], v58 offset:17408
	s_wait_dscnt 0x1
	;;#ASMSTART
	v_dot2_f32_f16 v2, v15, v19, v2
	;;#ASMEND
	;;#ASMSTART
	v_dot2_f32_f16 v2, v16, v20, v2
	;;#ASMEND
	;;#ASMSTART
	v_dot2_f32_f16 v2, v17, v21, v2
	;;#ASMEND
	;;#ASMSTART
	v_dot2_f32_f16 v2, v18, v22, v2
	;;#ASMEND
	s_wait_dscnt 0x0
	;;#ASMSTART
	v_dot2_f32_f16 v6, v15, v23, v6
	;;#ASMEND
	;;#ASMSTART
	v_dot2_f32_f16 v6, v16, v24, v6
	;;#ASMEND
	;;#ASMSTART
	v_dot2_f32_f16 v6, v17, v25, v6
	;;#ASMEND
	;;#ASMSTART
	v_dot2_f32_f16 v6, v18, v26, v6
	;;#ASMEND
	ds_load_b128 v[15:18], v59 offset:16
	ds_load_b128 v[19:22], v58 offset:16912
	ds_load_b128 v[23:26], v58 offset:17424
	s_wait_dscnt 0x1
	;;#ASMSTART
	v_dot2_f32_f16 v2, v15, v19, v2
	;;#ASMEND
	;;#ASMSTART
	v_dot2_f32_f16 v2, v16, v20, v2
	;;#ASMEND
	;;#ASMSTART
	v_dot2_f32_f16 v2, v17, v21, v2
	;;#ASMEND
	;;#ASMSTART
	v_dot2_f32_f16 v2, v18, v22, v2
	;;#ASMEND
	s_wait_dscnt 0x0
	;;#ASMSTART
	v_dot2_f32_f16 v6, v15, v23, v6
	;;#ASMEND
	;;#ASMSTART
	v_dot2_f32_f16 v6, v16, v24, v6
	;;#ASMEND
	;;#ASMSTART
	v_dot2_f32_f16 v6, v17, v25, v6
	;;#ASMEND
	;;#ASMSTART
	v_dot2_f32_f16 v6, v18, v26, v6
	;;#ASMEND
	ds_load_b128 v[15:18], v59 offset:32
	;; [unrolled: 29-line block ×31, first 2 shown]
	ds_load_b128 v[19:22], v58 offset:17392
	ds_load_b128 v[23:26], v58 offset:17904
	s_wait_dscnt 0x1
	;;#ASMSTART
	v_dot2_f32_f16 v2, v15, v19, v2
	;;#ASMEND
	;;#ASMSTART
	v_dot2_f32_f16 v2, v16, v20, v2
	;;#ASMEND
	;; [unrolled: 3-line block ×4, first 2 shown]
	v_cmp_ngt_f32_e64 s10, 0x3f200000, |v2|
	s_wait_dscnt 0x0
	;;#ASMSTART
	v_dot2_f32_f16 v6, v15, v23, v6
	;;#ASMEND
	;;#ASMSTART
	v_dot2_f32_f16 v6, v16, v24, v6
	;;#ASMEND
	;; [unrolled: 3-line block ×4, first 2 shown]
	s_and_saveexec_b32 s27, s10
	s_wait_alu 0xfffe
	s_xor_b32 s10, exec_lo, s27
	s_cbranch_execz .LBB72_31
; %bb.30:
	v_add_f32_e64 v3, |v2|, |v2|
	s_delay_alu instid0(VALU_DEP_1) | instskip(SKIP_1) | instid1(VALU_DEP_2)
	v_mul_f32_e32 v7, 0x3fb8aa3b, v3
	v_cmp_ngt_f32_e32 vcc_lo, 0xc2ce8ed0, v3
	v_rndne_f32_e32 v15, v7
	v_fma_f32 v16, 0x3fb8aa3b, v3, -v7
	s_delay_alu instid0(VALU_DEP_2) | instskip(NEXT) | instid1(VALU_DEP_2)
	v_sub_f32_e32 v7, v7, v15
	v_fmamk_f32 v16, v3, 0x32a5705f, v16
	v_cvt_i32_f32_e32 v15, v15
	s_delay_alu instid0(VALU_DEP_2) | instskip(NEXT) | instid1(VALU_DEP_1)
	v_add_f32_e32 v7, v7, v16
	v_exp_f32_e32 v7, v7
	s_delay_alu instid0(TRANS32_DEP_1) | instskip(SKIP_1) | instid1(VALU_DEP_1)
	v_ldexp_f32 v7, v7, v15
	s_wait_alu 0xfffd
	v_cndmask_b32_e32 v7, 0, v7, vcc_lo
	v_cmp_nlt_f32_e32 vcc_lo, 0x42b17218, v3
	s_wait_alu 0xfffd
	s_delay_alu instid0(VALU_DEP_2) | instskip(NEXT) | instid1(VALU_DEP_1)
	v_cndmask_b32_e32 v3, 0x7f800000, v7, vcc_lo
	v_add_f32_e32 v3, 1.0, v3
	s_delay_alu instid0(VALU_DEP_1) | instskip(NEXT) | instid1(TRANS32_DEP_1)
	v_rcp_f32_e32 v3, v3
	v_fma_f32 v3, v3, -2.0, 1.0
.LBB72_31:
	s_wait_alu 0xfffe
	s_and_not1_saveexec_b32 s10, s10
	s_cbranch_execz .LBB72_33
; %bb.32:
	v_mul_f32_e32 v3, v2, v2
	s_mov_b32 s27, 0xbbbac73d
	s_wait_alu 0xfffe
	s_delay_alu instid0(VALU_DEP_1) | instskip(NEXT) | instid1(VALU_DEP_1)
	v_fmaak_f32 v7, s27, v3, 0x3ca908c9
	v_fmaak_f32 v7, v3, v7, 0xbd5c1c4e
	s_delay_alu instid0(VALU_DEP_1) | instskip(NEXT) | instid1(VALU_DEP_1)
	v_fmaak_f32 v7, v3, v7, 0x3e088382
	v_fmaak_f32 v7, v3, v7, 0xbeaaaa99
	s_delay_alu instid0(VALU_DEP_1) | instskip(NEXT) | instid1(VALU_DEP_1)
	v_mul_f32_e64 v7, |v2|, v7
	v_fma_f32 v3, v3, v7, |v2|
.LBB72_33:
	s_wait_alu 0xfffe
	s_or_b32 exec_lo, exec_lo, s10
	s_delay_alu instid0(VALU_DEP_1)
	v_bfi_b32 v2, 0x7fffffff, v3, v2
	s_cmp_lg_u64 s[38:39], 0
	v_add_nc_u32_e32 v7, s28, v43
	s_cselect_b32 s31, -1, 0
	v_cmp_gt_i32_e64 s10, s30, v43
	v_dual_mul_f32 v21, s11, v2 :: v_dual_mov_b32 v2, v4
	s_wait_alu 0xfffe
	v_cndmask_b32_e64 v22, 0, 1, s31
	v_mov_b32_e32 v3, v5
	v_mov_b32_e32 v17, v4
	s_and_saveexec_b32 s27, s10
	s_cbranch_execz .LBB72_38
; %bb.34:
	s_and_not1_b32 vcc_lo, exec_lo, s31
	s_wait_alu 0xfffe
	s_cbranch_vccnz .LBB72_36
; %bb.35:
	v_mad_co_u64_u32 v[2:3], null, v57, s15, v[7:8]
	s_delay_alu instid0(VALU_DEP_1) | instskip(NEXT) | instid1(VALU_DEP_1)
	v_ashrrev_i32_e32 v3, 31, v2
	v_lshlrev_b64_e32 v[2:3], 1, v[2:3]
	s_delay_alu instid0(VALU_DEP_1) | instskip(SKIP_1) | instid1(VALU_DEP_2)
	v_add_co_u32 v2, vcc_lo, s38, v2
	s_wait_alu 0xfffd
	v_add_co_ci_u32_e64 v3, null, s39, v3, vcc_lo
	global_load_u16 v2, v[2:3], off
	s_wait_loadcnt 0x0
	v_cvt_f32_f16_e32 v2, v2
	s_delay_alu instid0(VALU_DEP_1)
	v_mul_f32_e32 v2, v56, v2
	s_branch .LBB72_37
.LBB72_36:
	v_mov_b32_e32 v2, 0
.LBB72_37:
	s_delay_alu instid0(VALU_DEP_1) | instskip(NEXT) | instid1(VALU_DEP_1)
	v_dual_add_f32 v21, v21, v2 :: v_dual_max_num_f32 v2, v4, v4
	v_add_f32_e32 v3, 0x40051340, v21
	s_delay_alu instid0(VALU_DEP_1)
	v_dual_max_num_f32 v17, v2, v3 :: v_dual_mov_b32 v2, v4
	v_mov_b32_e32 v3, v5
.LBB72_38:
	s_wait_alu 0xfffe
	s_or_b32 exec_lo, exec_lo, s27
	v_xor_b32_e32 v16, 16, v44
	v_xor_b32_e32 v15, 8, v44
	v_cmp_ngt_f32_e64 s27, 0x3f200000, |v6|
                                        ; implicit-def: $vgpr29
	s_delay_alu instid0(VALU_DEP_3) | instskip(SKIP_4) | instid1(VALU_DEP_2)
	v_cmp_gt_i32_e32 vcc_lo, 32, v16
	s_wait_alu 0xfffd
	v_cndmask_b32_e32 v2, v44, v16, vcc_lo
	v_cmp_gt_i32_e32 vcc_lo, 32, v15
	s_wait_alu 0xfffd
	v_dual_cndmask_b32 v19, v44, v15 :: v_dual_lshlrev_b32 v2, 2, v2
	ds_bpermute_b32 v18, v2, v17
	v_max_num_f32_e32 v17, v17, v17
	s_wait_dscnt 0x0
	v_dual_max_num_f32 v18, v18, v18 :: v_dual_lshlrev_b32 v23, 2, v19
	s_delay_alu instid0(VALU_DEP_1)
	v_max_num_f32_e32 v18, v17, v18
	v_xor_b32_e32 v17, 4, v44
	ds_bpermute_b32 v19, v23, v18
	v_cmp_gt_i32_e32 vcc_lo, 32, v17
	s_wait_dscnt 0x0
	s_wait_alu 0xfffd
	v_dual_cndmask_b32 v20, v44, v17 :: v_dual_max_num_f32 v19, v19, v19
	s_delay_alu instid0(VALU_DEP_1) | instskip(SKIP_1) | instid1(VALU_DEP_1)
	v_max_num_f32_e32 v18, v18, v19
	v_xor_b32_e32 v19, 2, v44
	v_cmp_gt_i32_e32 vcc_lo, 32, v19
	s_wait_alu 0xfffd
	v_dual_cndmask_b32 v25, v44, v19 :: v_dual_lshlrev_b32 v24, 2, v20
	ds_bpermute_b32 v20, v24, v18
	v_lshlrev_b32_e32 v26, 2, v25
	s_wait_dscnt 0x0
	v_max_num_f32_e32 v20, v20, v20
	s_delay_alu instid0(VALU_DEP_1)
	v_max_num_f32_e32 v18, v18, v20
	v_xor_b32_e32 v20, 1, v44
	ds_bpermute_b32 v25, v26, v18
	v_cmp_gt_i32_e32 vcc_lo, 32, v20
	s_wait_alu 0xfffd
	v_cndmask_b32_e32 v27, v44, v20, vcc_lo
	s_delay_alu instid0(VALU_DEP_1) | instskip(SKIP_2) | instid1(VALU_DEP_1)
	v_lshlrev_b32_e32 v27, 2, v27
	s_wait_dscnt 0x0
	v_max_num_f32_e32 v25, v25, v25
	v_dual_max_num_f32 v25, v18, v25 :: v_dual_mov_b32 v18, 32
	ds_bpermute_b32 v28, v27, v25
	s_and_saveexec_b32 s31, s27
	s_wait_alu 0xfffe
	s_xor_b32 s27, exec_lo, s31
	s_cbranch_execz .LBB72_40
; %bb.39:
	v_add_f32_e64 v29, |v6|, |v6|
	s_delay_alu instid0(VALU_DEP_1) | instskip(SKIP_1) | instid1(VALU_DEP_2)
	v_mul_f32_e32 v30, 0x3fb8aa3b, v29
	v_cmp_ngt_f32_e32 vcc_lo, 0xc2ce8ed0, v29
	v_rndne_f32_e32 v31, v30
	v_fma_f32 v32, 0x3fb8aa3b, v29, -v30
	s_delay_alu instid0(VALU_DEP_2) | instskip(NEXT) | instid1(VALU_DEP_2)
	v_sub_f32_e32 v30, v30, v31
	v_fmamk_f32 v32, v29, 0x32a5705f, v32
	v_cvt_i32_f32_e32 v31, v31
	s_delay_alu instid0(VALU_DEP_2) | instskip(NEXT) | instid1(VALU_DEP_1)
	v_add_f32_e32 v30, v30, v32
	v_exp_f32_e32 v30, v30
	s_delay_alu instid0(TRANS32_DEP_1) | instskip(SKIP_1) | instid1(VALU_DEP_1)
	v_ldexp_f32 v30, v30, v31
	s_wait_alu 0xfffd
	v_cndmask_b32_e32 v30, 0, v30, vcc_lo
	v_cmp_nlt_f32_e32 vcc_lo, 0x42b17218, v29
	s_wait_alu 0xfffd
	s_delay_alu instid0(VALU_DEP_2) | instskip(NEXT) | instid1(VALU_DEP_1)
	v_cndmask_b32_e32 v29, 0x7f800000, v30, vcc_lo
	v_add_f32_e32 v29, 1.0, v29
	s_delay_alu instid0(VALU_DEP_1) | instskip(NEXT) | instid1(TRANS32_DEP_1)
	v_rcp_f32_e32 v29, v29
	v_fma_f32 v29, v29, -2.0, 1.0
.LBB72_40:
	s_wait_alu 0xfffe
	s_and_not1_saveexec_b32 s27, s27
	s_cbranch_execz .LBB72_42
; %bb.41:
	v_mul_f32_e32 v29, v6, v6
	s_mov_b32 s31, 0xbbbac73d
	s_wait_alu 0xfffe
	s_delay_alu instid0(VALU_DEP_1) | instskip(NEXT) | instid1(VALU_DEP_1)
	v_fmaak_f32 v30, s31, v29, 0x3ca908c9
	v_fmaak_f32 v30, v29, v30, 0xbd5c1c4e
	s_delay_alu instid0(VALU_DEP_1) | instskip(NEXT) | instid1(VALU_DEP_1)
	v_fmaak_f32 v30, v29, v30, 0x3e088382
	v_fmaak_f32 v30, v29, v30, 0xbeaaaa99
	s_delay_alu instid0(VALU_DEP_1) | instskip(NEXT) | instid1(VALU_DEP_1)
	v_mul_f32_e64 v30, |v6|, v30
	v_fma_f32 v29, v29, v30, |v6|
.LBB72_42:
	s_wait_alu 0xfffe
	s_or_b32 exec_lo, exec_lo, s27
	s_wait_dscnt 0x0
	v_dual_max_num_f32 v28, v28, v28 :: v_dual_max_num_f32 v25, v25, v25
	v_bfi_b32 v29, 0x7fffffff, v29, v6
	s_delay_alu instid0(VALU_DEP_1)
	v_dual_max_num_f32 v6, v25, v28 :: v_dual_mul_f32 v25, s11, v29
	s_and_saveexec_b32 s11, s10
	s_cbranch_execz .LBB72_47
; %bb.43:
	v_cmp_ne_u32_e32 vcc_lo, 1, v22
	s_cbranch_vccnz .LBB72_45
; %bb.44:
	v_or_b32_e32 v22, 1, v42
	s_delay_alu instid0(VALU_DEP_1) | instskip(NEXT) | instid1(VALU_DEP_1)
	v_mul_hi_u32 v28, s20, v22
	v_add_nc_u32_e32 v28, v22, v28
	s_delay_alu instid0(VALU_DEP_1) | instskip(NEXT) | instid1(VALU_DEP_1)
	v_lshrrev_b32_e32 v28, s21, v28
	v_mul_lo_u32 v28, v28, s22
	s_delay_alu instid0(VALU_DEP_1) | instskip(NEXT) | instid1(VALU_DEP_1)
	v_sub_nc_u32_e32 v22, v22, v28
	v_mad_co_u64_u32 v[28:29], null, v22, s15, v[7:8]
	s_delay_alu instid0(VALU_DEP_1) | instskip(NEXT) | instid1(VALU_DEP_1)
	v_ashrrev_i32_e32 v29, 31, v28
	v_lshlrev_b64_e32 v[28:29], 1, v[28:29]
	s_delay_alu instid0(VALU_DEP_1) | instskip(SKIP_1) | instid1(VALU_DEP_2)
	v_add_co_u32 v28, vcc_lo, s38, v28
	s_wait_alu 0xfffd
	v_add_co_ci_u32_e64 v29, null, s39, v29, vcc_lo
	global_load_u16 v7, v[28:29], off
	s_wait_loadcnt 0x0
	v_cvt_f32_f16_e32 v7, v7
	s_delay_alu instid0(VALU_DEP_1)
	v_mul_f32_e32 v7, v56, v7
	s_branch .LBB72_46
.LBB72_45:
	v_mov_b32_e32 v7, 0
.LBB72_46:
	s_delay_alu instid0(VALU_DEP_1) | instskip(SKIP_1) | instid1(VALU_DEP_2)
	v_add_f32_e32 v25, v25, v7
	v_max_num_f32_e32 v3, v3, v3
	v_add_f32_e32 v7, 0x40051340, v25
	s_delay_alu instid0(VALU_DEP_1)
	v_max_num_f32_e32 v3, v3, v7
.LBB72_47:
	s_wait_alu 0xfffe
	s_or_b32 exec_lo, exec_lo, s11
	ds_bpermute_b32 v2, v2, v3
	v_max_num_f32_e32 v3, v3, v3
	s_mov_b32 s40, 0
	s_ashr_i32 s27, s26, 31
	s_wait_alu 0xfffe
	s_mov_b32 s41, s40
	s_mov_b32 s42, s40
	s_mov_b64 s[10:11], src_private_base
	s_mul_u64 s[20:21], s[28:29], s[26:27]
	s_wait_loadcnt_dscnt 0x0
	s_wait_alu 0xfffe
	s_lshl_b64 s[20:21], s[20:21], 2
	s_barrier_signal -1
	s_wait_alu 0xfffe
	s_add_nc_u64 s[20:21], s[24:25], s[20:21]
	s_barrier_wait -1
	global_inv scope:SCOPE_SE
	v_lshl_add_u32 v9, v9, 9, v55
	v_lshl_add_u32 v12, v12, 9, v55
	v_add_nc_u32_e32 v182, 0x3800, v45
	v_dual_mov_b32 v28, s40 :: v_dual_mov_b32 v29, s41
	v_mov_b32_e32 v30, s42
	v_max_num_f32_e32 v2, v2, v2
	v_sub_f32_e32 v4, v4, v6
	v_add_nc_u32_e32 v118, 0x2000, v45
	s_delay_alu instid0(VALU_DEP_3) | instskip(SKIP_3) | instid1(VALU_DEP_1)
	v_max_num_f32_e32 v2, v3, v2
	ds_bpermute_b32 v3, v23, v2
	s_wait_dscnt 0x0
	v_max_num_f32_e32 v3, v3, v3
	v_max_num_f32_e32 v2, v2, v3
	ds_bpermute_b32 v3, v24, v2
	s_wait_dscnt 0x0
	v_max_num_f32_e32 v3, v3, v3
	s_delay_alu instid0(VALU_DEP_1) | instskip(SKIP_3) | instid1(VALU_DEP_1)
	v_max_num_f32_e32 v2, v2, v3
	ds_bpermute_b32 v3, v26, v2
	s_wait_dscnt 0x0
	v_max_num_f32_e32 v3, v3, v3
	v_max_num_f32_e32 v2, v2, v3
	ds_bpermute_b32 v3, v27, v2
	s_wait_dscnt 0x0
	v_max_num_f32_e32 v3, v3, v3
	s_delay_alu instid0(VALU_DEP_1) | instskip(SKIP_1) | instid1(VALU_DEP_2)
	v_max_num_f32_e32 v7, v2, v3
	v_dual_sub_f32 v3, v21, v6 :: v_dual_add_nc_u32 v158, 0x3000, v45
	v_sub_f32_e32 v22, v25, v7
	s_delay_alu instid0(VALU_DEP_2) | instskip(SKIP_1) | instid1(VALU_DEP_3)
	v_cmp_ngt_f32_e32 vcc_lo, 0xc2ce8ed0, v3
	v_sub_f32_e32 v5, v5, v7
	v_mul_f32_e32 v21, 0x3fb8aa3b, v22
	s_delay_alu instid0(VALU_DEP_1) | instskip(SKIP_2) | instid1(VALU_DEP_3)
	v_rndne_f32_e32 v26, v21
	v_mul_f32_e32 v2, 0x3fb8aa3b, v3
	v_fma_f32 v25, 0x3fb8aa3b, v22, -v21
	v_sub_f32_e32 v21, v21, v26
	s_delay_alu instid0(VALU_DEP_3) | instskip(SKIP_1) | instid1(VALU_DEP_4)
	v_fma_f32 v23, 0x3fb8aa3b, v3, -v2
	v_rndne_f32_e32 v24, v2
	v_fmac_f32_e32 v25, 0x32a5705f, v22
	v_cvt_i32_f32_e32 v26, v26
	s_delay_alu instid0(VALU_DEP_3) | instskip(SKIP_1) | instid1(VALU_DEP_2)
	v_dual_fmac_f32 v23, 0x32a5705f, v3 :: v_dual_sub_f32 v2, v2, v24
	v_cvt_i32_f32_e32 v24, v24
	v_dual_add_f32 v2, v2, v23 :: v_dual_add_f32 v23, v21, v25
	v_lshlrev_b32_e32 v21, 7, v51
	s_delay_alu instid0(VALU_DEP_2) | instskip(NEXT) | instid1(VALU_DEP_2)
	v_exp_f32_e32 v25, v2
	v_exp_f32_e32 v23, v23
	v_lshlrev_b64_e32 v[1:2], 2, v[0:1]
	s_delay_alu instid0(TRANS32_DEP_2) | instskip(NEXT) | instid1(TRANS32_DEP_1)
	v_ldexp_f32 v24, v25, v24
	v_ldexp_f32 v23, v23, v26
	v_add3_u32 v25, 0x5200, v21, v41
	s_wait_alu 0xfffd
	s_delay_alu instid0(VALU_DEP_3)
	v_cndmask_b32_e32 v24, 0, v24, vcc_lo
	v_cmp_ngt_f32_e32 vcc_lo, 0xc2ce8ed0, v22
	s_wait_alu 0xfffd
	v_cndmask_b32_e32 v23, 0, v23, vcc_lo
	v_cmp_nlt_f32_e32 vcc_lo, 0x42b17218, v3
	s_wait_alu 0xfffd
	v_cndmask_b32_e32 v3, 0x7f800000, v24, vcc_lo
	v_cmp_nlt_f32_e64 s10, 0x42b17218, v22
	v_cmp_gt_u32_e32 vcc_lo, s30, v43
	s_wait_alu 0xf1ff
	s_delay_alu instid0(VALU_DEP_2)
	v_cndmask_b32_e64 v22, 0x7f800000, v23, s10
	s_wait_alu 0xfffe
	v_add_co_u32 v1, s10, s20, v1
	s_wait_alu 0xf1ff
	v_add_co_ci_u32_e64 v2, null, s21, v2, s10
	s_wait_alu 0xfffd
	v_dual_cndmask_b32 v23, 0, v3 :: v_dual_cndmask_b32 v22, 0, v22
	v_add_co_u32 v1, vcc_lo, v1, v55
	s_wait_alu 0xfffd
	v_add_co_ci_u32_e64 v2, null, 0, v2, vcc_lo
	s_delay_alu instid0(VALU_DEP_3) | instskip(SKIP_2) | instid1(VALU_DEP_4)
	v_cvt_f16_f32_e32 v3, v23
	v_cvt_f16_f32_e32 v24, v22
	v_cndmask_b32_e64 v1, 0, v1, s2
	v_cndmask_b32_e64 v2, s11, v2, s2
	s_lshl_b32 s2, s26, 2
	s_delay_alu instid0(VALU_DEP_3)
	v_pack_b32_f16 v3, v3, v24
	s_wait_alu 0xfffe
	v_add_nc_u32_e32 v31, s2, v0
	v_mov_b32_e32 v33, 0
	s_clause 0x1
	scratch_store_b32 off, v33, off
	scratch_store_b96 off, v[28:30], off offset:4
	ds_store_b32 v25, v3
	flat_load_b128 v[24:27], v[1:2]
	v_ashrrev_i32_e32 v32, 31, v31
	v_lshl_add_u32 v2, v51, 9, v55
	s_clause 0x1
	scratch_store_b32 off, v33, off
	scratch_store_b96 off, v[28:30], off offset:4
	v_lshlrev_b64_e32 v[0:1], 2, v[31:32]
	s_delay_alu instid0(VALU_DEP_1) | instskip(SKIP_1) | instid1(VALU_DEP_2)
	v_add_co_u32 v0, vcc_lo, s20, v0
	s_wait_alu 0xfffd
	v_add_co_ci_u32_e64 v1, null, s21, v1, vcc_lo
	s_delay_alu instid0(VALU_DEP_2) | instskip(SKIP_1) | instid1(VALU_DEP_2)
	v_add_co_u32 v0, vcc_lo, v0, v55
	s_wait_alu 0xfffd
	v_add_co_ci_u32_e64 v1, null, 0, v1, vcc_lo
	s_delay_alu instid0(VALU_DEP_2) | instskip(NEXT) | instid1(VALU_DEP_2)
	v_cndmask_b32_e64 v0, 0, v0, s3
	v_cndmask_b32_e64 v1, s11, v1, s3
	s_wait_loadcnt_dscnt 0x0
	ds_store_b128 v2, v[24:27]
	flat_load_b128 v[0:3], v[0:1]
	v_add_nc_u32_e32 v24, s2, v31
	s_clause 0x1
	scratch_store_b32 off, v33, off
	scratch_store_b96 off, v[28:30], off offset:4
	v_ashrrev_i32_e32 v25, 31, v24
	s_delay_alu instid0(VALU_DEP_1) | instskip(SKIP_1) | instid1(VALU_DEP_2)
	v_lshlrev_b64_e32 v[25:26], 2, v[24:25]
	v_add_nc_u32_e32 v24, s2, v24
	v_add_co_u32 v25, vcc_lo, s20, v25
	s_wait_alu 0xfffd
	s_delay_alu instid0(VALU_DEP_3) | instskip(NEXT) | instid1(VALU_DEP_2)
	v_add_co_ci_u32_e64 v26, null, s21, v26, vcc_lo
	v_add_co_u32 v25, vcc_lo, v25, v55
	s_wait_alu 0xfffd
	s_delay_alu instid0(VALU_DEP_2) | instskip(NEXT) | instid1(VALU_DEP_2)
	v_add_co_ci_u32_e64 v26, null, 0, v26, vcc_lo
	v_cndmask_b32_e64 v25, 0, v25, s4
	s_delay_alu instid0(VALU_DEP_2)
	v_cndmask_b32_e64 v26, s11, v26, s4
	s_wait_loadcnt_dscnt 0x0
	ds_store_b128 v9, v[0:3]
	flat_load_b128 v[0:3], v[25:26]
	v_ashrrev_i32_e32 v25, 31, v24
	s_clause 0x1
	scratch_store_b32 off, v33, off
	scratch_store_b96 off, v[28:30], off offset:4
	v_lshlrev_b64_e32 v[25:26], 2, v[24:25]
	s_delay_alu instid0(VALU_DEP_1) | instskip(SKIP_1) | instid1(VALU_DEP_2)
	v_add_co_u32 v9, vcc_lo, s20, v25
	s_wait_alu 0xfffd
	v_add_co_ci_u32_e64 v25, null, s21, v26, vcc_lo
	v_lshl_add_u32 v26, v10, 9, v55
	s_delay_alu instid0(VALU_DEP_3) | instskip(SKIP_1) | instid1(VALU_DEP_3)
	v_add_co_u32 v9, vcc_lo, v9, v55
	s_wait_alu 0xfffd
	v_add_co_ci_u32_e64 v25, null, 0, v25, vcc_lo
	s_delay_alu instid0(VALU_DEP_2) | instskip(NEXT) | instid1(VALU_DEP_2)
	v_cndmask_b32_e64 v9, 0, v9, s5
	v_cndmask_b32_e64 v10, s11, v25, s5
	s_wait_loadcnt_dscnt 0x0
	ds_store_b128 v26, v[0:3]
	flat_load_b128 v[0:3], v[9:10]
	v_add_nc_u32_e32 v9, s2, v24
	s_clause 0x1
	scratch_store_b32 off, v33, off
	scratch_store_b96 off, v[28:30], off offset:4
	v_ashrrev_i32_e32 v10, 31, v9
	s_delay_alu instid0(VALU_DEP_1) | instskip(SKIP_1) | instid1(VALU_DEP_2)
	v_lshlrev_b64_e32 v[24:25], 2, v[9:10]
	v_add_nc_u32_e32 v9, s2, v9
	v_add_co_u32 v10, vcc_lo, s20, v24
	s_wait_alu 0xfffd
	s_delay_alu instid0(VALU_DEP_3) | instskip(SKIP_1) | instid1(VALU_DEP_3)
	v_add_co_ci_u32_e64 v24, null, s21, v25, vcc_lo
	v_lshl_add_u32 v25, v11, 9, v55
	v_add_co_u32 v10, vcc_lo, v10, v55
	s_wait_alu 0xfffd
	s_delay_alu instid0(VALU_DEP_3) | instskip(NEXT) | instid1(VALU_DEP_2)
	v_add_co_ci_u32_e64 v24, null, 0, v24, vcc_lo
	v_cndmask_b32_e64 v10, 0, v10, s6
	s_delay_alu instid0(VALU_DEP_2)
	v_cndmask_b32_e64 v11, s11, v24, s6
	s_wait_loadcnt_dscnt 0x0
	ds_store_b128 v25, v[0:3]
	flat_load_b128 v[0:3], v[10:11]
	v_ashrrev_i32_e32 v10, 31, v9
	s_clause 0x1
	scratch_store_b32 off, v33, off
	scratch_store_b96 off, v[28:30], off offset:4
	v_lshlrev_b64_e32 v[10:11], 2, v[9:10]
	v_add_nc_u32_e32 v9, s2, v9
	s_delay_alu instid0(VALU_DEP_2) | instskip(SKIP_1) | instid1(VALU_DEP_3)
	v_add_co_u32 v10, vcc_lo, s20, v10
	s_wait_alu 0xfffd
	v_add_co_ci_u32_e64 v11, null, s21, v11, vcc_lo
	s_delay_alu instid0(VALU_DEP_2) | instskip(SKIP_1) | instid1(VALU_DEP_2)
	v_add_co_u32 v10, vcc_lo, v10, v55
	s_wait_alu 0xfffd
	v_add_co_ci_u32_e64 v11, null, 0, v11, vcc_lo
	s_delay_alu instid0(VALU_DEP_2) | instskip(NEXT) | instid1(VALU_DEP_2)
	v_cndmask_b32_e64 v10, 0, v10, s7
	v_cndmask_b32_e64 v11, s11, v11, s7
	s_wait_loadcnt_dscnt 0x0
	ds_store_b128 v12, v[0:3]
	flat_load_b128 v[0:3], v[10:11]
	v_ashrrev_i32_e32 v10, 31, v9
	v_lshl_add_u32 v12, v13, 9, v55
	s_clause 0x1
	scratch_store_b32 off, v33, off
	scratch_store_b96 off, v[28:30], off offset:4
	v_lshlrev_b64_e32 v[10:11], 2, v[9:10]
	v_add_nc_u32_e32 v9, s2, v9
	s_delay_alu instid0(VALU_DEP_2) | instskip(SKIP_1) | instid1(VALU_DEP_3)
	v_add_co_u32 v10, vcc_lo, s20, v10
	s_wait_alu 0xfffd
	v_add_co_ci_u32_e64 v11, null, s21, v11, vcc_lo
	s_delay_alu instid0(VALU_DEP_2) | instskip(SKIP_1) | instid1(VALU_DEP_2)
	v_add_co_u32 v10, vcc_lo, v10, v55
	s_wait_alu 0xfffd
	v_add_co_ci_u32_e64 v11, null, 0, v11, vcc_lo
	s_delay_alu instid0(VALU_DEP_2) | instskip(NEXT) | instid1(VALU_DEP_2)
	v_cndmask_b32_e64 v10, 0, v10, s8
	v_cndmask_b32_e64 v11, s11, v11, s8
	s_wait_loadcnt_dscnt 0x0
	ds_store_b128 v12, v[0:3]
	flat_load_b128 v[0:3], v[10:11]
	v_ashrrev_i32_e32 v10, 31, v9
	v_lshl_add_u32 v11, v14, 9, v55
	s_clause 0x1
	scratch_store_b32 off, v33, off
	scratch_store_b96 off, v[28:30], off offset:4
	v_lshlrev_b64_e32 v[9:10], 2, v[9:10]
	s_delay_alu instid0(VALU_DEP_1) | instskip(SKIP_1) | instid1(VALU_DEP_2)
	v_add_co_u32 v9, vcc_lo, s20, v9
	s_wait_alu 0xfffd
	v_add_co_ci_u32_e64 v10, null, s21, v10, vcc_lo
	s_delay_alu instid0(VALU_DEP_2) | instskip(SKIP_1) | instid1(VALU_DEP_2)
	v_add_co_u32 v9, vcc_lo, v9, v55
	s_wait_alu 0xfffd
	v_add_co_ci_u32_e64 v10, null, 0, v10, vcc_lo
	v_cmp_ngt_f32_e32 vcc_lo, 0xc2ce8ed0, v4
	s_delay_alu instid0(VALU_DEP_3) | instskip(NEXT) | instid1(VALU_DEP_3)
	v_cndmask_b32_e64 v9, 0, v9, s9
	v_cndmask_b32_e64 v10, s11, v10, s9
	s_wait_loadcnt_dscnt 0x0
	ds_store_b128 v11, v[0:3]
	flat_load_b128 v[0:3], v[9:10]
	v_dual_mul_f32 v9, 0x3fb8aa3b, v4 :: v_dual_mul_f32 v10, 0x3fb8aa3b, v5
	s_delay_alu instid0(VALU_DEP_1) | instskip(SKIP_1) | instid1(VALU_DEP_3)
	v_fma_f32 v11, 0x3fb8aa3b, v4, -v9
	v_rndne_f32_e32 v12, v9
	v_fma_f32 v13, 0x3fb8aa3b, v5, -v10
	v_rndne_f32_e32 v14, v10
	s_delay_alu instid0(VALU_DEP_4) | instskip(NEXT) | instid1(VALU_DEP_4)
	v_fmac_f32_e32 v11, 0x32a5705f, v4
	v_sub_f32_e32 v9, v9, v12
	s_delay_alu instid0(VALU_DEP_3) | instskip(NEXT) | instid1(VALU_DEP_2)
	v_dual_fmac_f32 v13, 0x32a5705f, v5 :: v_dual_sub_f32 v10, v10, v14
	v_add_f32_e32 v9, v9, v11
	v_cvt_i32_f32_e32 v11, v12
	s_delay_alu instid0(VALU_DEP_3)
	v_add_f32_e32 v10, v10, v13
	v_cvt_i32_f32_e32 v12, v14
	v_add_nc_u32_e32 v13, 0x1000, v45
	v_exp_f32_e32 v9, v9
	v_add_nc_u32_e32 v14, 0x1800, v45
	v_exp_f32_e32 v10, v10
	s_delay_alu instid0(TRANS32_DEP_2) | instskip(NEXT) | instid1(TRANS32_DEP_1)
	v_ldexp_f32 v9, v9, v11
	v_ldexp_f32 v10, v10, v12
	v_add_nc_u32_e32 v12, 0x800, v45
	s_wait_alu 0xfffd
	s_delay_alu instid0(VALU_DEP_3)
	v_cndmask_b32_e32 v9, 0, v9, vcc_lo
	v_cmp_ngt_f32_e32 vcc_lo, 0xc2ce8ed0, v5
	s_wait_alu 0xfffd
	v_cndmask_b32_e32 v10, 0, v10, vcc_lo
	v_cmp_nlt_f32_e32 vcc_lo, 0x42b17218, v4
	v_lshl_add_u32 v4, v8, 9, v55
	s_wait_alu 0xfffd
	v_cndmask_b32_e32 v9, 0x7f800000, v9, vcc_lo
	v_cmp_nlt_f32_e32 vcc_lo, 0x42b17218, v5
	s_delay_alu instid0(VALU_DEP_2)
	v_cvt_f16_f32_e32 v8, v9
	s_wait_alu 0xfffd
	v_cndmask_b32_e32 v5, 0x7f800000, v10, vcc_lo
	v_fmac_f32_e32 v23, v61, v9
	v_add_nc_u32_e32 v142, 0x2800, v45
	v_and_b32_e32 v8, 0xffff, v8
	s_delay_alu instid0(VALU_DEP_4) | instskip(NEXT) | instid1(VALU_DEP_4)
	v_cvt_f16_f32_e32 v10, v5
	v_dual_fmac_f32 v22, v60, v5 :: v_dual_mov_b32 v61, v23
	s_delay_alu instid0(VALU_DEP_3) | instskip(NEXT) | instid1(VALU_DEP_2)
	v_mul_u32_u24_e32 v186, 0x10001, v8
	v_dual_mov_b32 v60, v22 :: v_dual_and_b32 v9, 0xffff, v10
	s_delay_alu instid0(VALU_DEP_2) | instskip(NEXT) | instid1(VALU_DEP_2)
	v_pk_mul_f16 v187, v54, v186
	v_mul_u32_u24_e32 v5, 0x10001, v9
	v_pk_mul_f16 v188, v52, v186
	v_pk_mul_f16 v189, v53, v186
	s_delay_alu instid0(VALU_DEP_3)
	v_pk_mul_f16 v190, v50, v5
	v_pk_mul_f16 v191, v49, v5
	;; [unrolled: 1-line block ×3, first 2 shown]
	s_wait_loadcnt_dscnt 0x0
	ds_store_b128 v4, v[0:3]
	s_wait_storecnt_dscnt 0x0
	s_barrier_signal -1
	s_barrier_wait -1
	global_inv scope:SCOPE_SE
	ds_load_2addr_b64 v[0:3], v45 offset1:32
	ds_load_b128 v[8:11], v21 offset:20992
	ds_load_b128 v[22:25], v21 offset:21008
	;; [unrolled: 1-line block ×4, first 2 shown]
	ds_load_2addr_b64 v[34:37], v45 offset0:64 offset1:96
	ds_load_2addr_b64 v[48:51], v45 offset0:128 offset1:160
	ds_load_2addr_b64 v[52:55], v45 offset0:192 offset1:224
	ds_load_2addr_b64 v[56:59], v12 offset1:32
	ds_load_2addr_b64 v[62:65], v12 offset0:64 offset1:96
	ds_load_2addr_b64 v[66:69], v12 offset0:128 offset1:160
	ds_load_2addr_b64 v[70:73], v12 offset0:192 offset1:224
	ds_load_2addr_b64 v[74:77], v13 offset1:32
	;; [unrolled: 4-line block ×5, first 2 shown]
	ds_load_b128 v[126:129], v21 offset:21056
	ds_load_b128 v[130:133], v21 offset:21072
	ds_load_2addr_b64 v[134:137], v142 offset0:64 offset1:96
	ds_load_2addr_b64 v[138:141], v142 offset0:128 offset1:160
	;; [unrolled: 1-line block ×3, first 2 shown]
	ds_load_2addr_b64 v[146:149], v158 offset1:32
	ds_load_2addr_b64 v[150:153], v158 offset0:64 offset1:96
	ds_load_2addr_b64 v[154:157], v158 offset0:128 offset1:160
	;; [unrolled: 1-line block ×3, first 2 shown]
	ds_load_2addr_b64 v[162:165], v182 offset1:32
	ds_load_b128 v[166:169], v21 offset:21088
	ds_load_b128 v[170:173], v21 offset:21104
	ds_load_2addr_b64 v[174:177], v182 offset0:64 offset1:96
	ds_load_2addr_b64 v[178:181], v182 offset0:128 offset1:160
	;; [unrolled: 1-line block ×3, first 2 shown]
	s_wait_dscnt 0x26
	v_lshrrev_b32_e32 v4, 16, v8
	v_and_b32_e32 v8, 0xffff, v8
	v_lshrrev_b32_e32 v12, 16, v9
	v_and_b32_e32 v9, 0xffff, v9
	v_lshrrev_b32_e32 v13, 16, v10
	v_mul_u32_u24_e32 v4, 0x10001, v4
	v_mul_u32_u24_e32 v8, 0x10001, v8
	v_and_b32_e32 v10, 0xffff, v10
	v_mul_u32_u24_e32 v9, 0x10001, v9
	v_mul_u32_u24_e32 v12, 0x10001, v12
	v_lshrrev_b32_e32 v14, 16, v11
	v_pk_mul_f16 v219, v0, v8
	v_pk_mul_f16 v0, v0, v4
	v_pk_fma_f16 v187, v1, v8, v187
	v_pk_fma_f16 v1, v1, v4, v190
	;; [unrolled: 1-line block ×8, first 2 shown]
	v_and_b32_e32 v11, 0xffff, v11
	v_mul_u32_u24_e32 v10, 0x10001, v10
	s_wait_dscnt 0x22
	v_pk_fma_f16 v5, v35, v9, v187
	v_pk_fma_f16 v4, v34, v9, v4
	v_mul_u32_u24_e32 v13, 0x10001, v13
	v_pk_fma_f16 v1, v35, v12, v1
	v_pk_fma_f16 v35, v36, v9, v188
	v_pk_fma_f16 v2, v36, v12, v2
	v_pk_fma_f16 v8, v37, v9, v8
	v_pk_fma_f16 v3, v37, v12, v3
	v_pk_fma_f16 v0, v34, v12, v0
	v_lshrrev_b32_e32 v21, 16, v22
	v_and_b32_e32 v22, 0xffff, v22
	v_mul_u32_u24_e32 v11, 0x10001, v11
	s_wait_dscnt 0x21
	v_pk_fma_f16 v5, v49, v10, v5
	v_pk_fma_f16 v4, v48, v10, v4
	v_mul_u32_u24_e32 v14, 0x10001, v14
	v_pk_fma_f16 v1, v49, v13, v1
	v_pk_fma_f16 v9, v50, v10, v35
	v_pk_fma_f16 v2, v50, v13, v2
	v_pk_fma_f16 v8, v51, v10, v8
	v_pk_fma_f16 v3, v51, v13, v3
	v_pk_fma_f16 v0, v48, v13, v0
	v_lshrrev_b32_e32 v45, 16, v23
	;; [unrolled: 13-line block ×12, first 2 shown]
	v_and_b32_e32 v33, 0xffff, v33
	v_mul_u32_u24_e32 v32, 0x10001, v32
	s_wait_dscnt 0x16
	v_pk_fma_f16 v5, v95, v31, v5
	v_pk_fma_f16 v4, v94, v31, v4
	v_mul_u32_u24_e32 v201, 0x10001, v201
	v_pk_fma_f16 v1, v95, v200, v1
	v_pk_fma_f16 v9, v96, v31, v9
	;; [unrolled: 1-line block ×6, first 2 shown]
	s_wait_dscnt 0xe
	v_lshrrev_b32_e32 v203, 16, v126
	v_and_b32_e32 v126, 0xffff, v126
	v_mul_u32_u24_e32 v33, 0x10001, v33
	v_pk_fma_f16 v5, v99, v32, v5
	v_pk_fma_f16 v4, v98, v32, v4
	v_mul_u32_u24_e32 v202, 0x10001, v202
	v_pk_fma_f16 v1, v99, v201, v1
	v_pk_fma_f16 v9, v100, v32, v9
	v_pk_fma_f16 v2, v100, v201, v2
	v_pk_fma_f16 v8, v101, v32, v8
	v_pk_fma_f16 v3, v101, v201, v3
	v_pk_fma_f16 v0, v98, v201, v0
	v_lshrrev_b32_e32 v204, 16, v127
	v_and_b32_e32 v127, 0xffff, v127
	v_mul_u32_u24_e32 v126, 0x10001, v126
	v_pk_fma_f16 v5, v103, v33, v5
	v_pk_fma_f16 v4, v102, v33, v4
	v_mul_u32_u24_e32 v203, 0x10001, v203
	v_pk_fma_f16 v1, v103, v202, v1
	v_pk_fma_f16 v9, v104, v33, v9
	v_pk_fma_f16 v2, v104, v202, v2
	v_pk_fma_f16 v8, v105, v33, v8
	v_pk_fma_f16 v3, v105, v202, v3
	v_pk_fma_f16 v0, v102, v202, v0
	;; [unrolled: 12-line block ×4, first 2 shown]
	s_wait_dscnt 0xd
	v_lshrrev_b32_e32 v207, 16, v130
	v_and_b32_e32 v130, 0xffff, v130
	v_mul_u32_u24_e32 v129, 0x10001, v129
	v_pk_fma_f16 v5, v115, v128, v5
	v_pk_fma_f16 v4, v114, v128, v4
	v_mul_u32_u24_e32 v206, 0x10001, v206
	v_pk_fma_f16 v1, v115, v205, v1
	v_pk_fma_f16 v9, v116, v128, v9
	v_pk_fma_f16 v2, v116, v205, v2
	v_pk_fma_f16 v8, v117, v128, v8
	v_pk_fma_f16 v3, v117, v205, v3
	v_pk_fma_f16 v0, v114, v205, v0
	v_lshrrev_b32_e32 v208, 16, v131
	v_and_b32_e32 v131, 0xffff, v131
	v_mul_u32_u24_e32 v130, 0x10001, v130
	v_pk_fma_f16 v5, v119, v129, v5
	v_pk_fma_f16 v4, v118, v129, v4
	v_mul_u32_u24_e32 v207, 0x10001, v207
	v_pk_fma_f16 v1, v119, v206, v1
	v_pk_fma_f16 v9, v120, v129, v9
	v_pk_fma_f16 v2, v120, v206, v2
	v_pk_fma_f16 v8, v121, v129, v8
	v_pk_fma_f16 v3, v121, v206, v3
	v_pk_fma_f16 v0, v118, v206, v0
	;; [unrolled: 12-line block ×3, first 2 shown]
	v_lshrrev_b32_e32 v210, 16, v133
	v_and_b32_e32 v133, 0xffff, v133
	v_mul_u32_u24_e32 v132, 0x10001, v132
	s_wait_dscnt 0xc
	v_pk_fma_f16 v5, v135, v131, v5
	v_pk_fma_f16 v4, v134, v131, v4
	v_mul_u32_u24_e32 v209, 0x10001, v209
	v_pk_fma_f16 v1, v135, v208, v1
	v_pk_fma_f16 v9, v136, v131, v9
	;; [unrolled: 1-line block ×6, first 2 shown]
	s_wait_dscnt 0x4
	v_lshrrev_b32_e32 v211, 16, v166
	v_and_b32_e32 v166, 0xffff, v166
	v_mul_u32_u24_e32 v133, 0x10001, v133
	v_pk_fma_f16 v5, v139, v132, v5
	v_pk_fma_f16 v4, v138, v132, v4
	v_mul_u32_u24_e32 v210, 0x10001, v210
	v_pk_fma_f16 v1, v139, v209, v1
	v_pk_fma_f16 v9, v140, v132, v9
	v_pk_fma_f16 v2, v140, v209, v2
	v_pk_fma_f16 v8, v141, v132, v8
	v_pk_fma_f16 v3, v141, v209, v3
	v_pk_fma_f16 v0, v138, v209, v0
	v_lshrrev_b32_e32 v212, 16, v167
	v_and_b32_e32 v167, 0xffff, v167
	v_mul_u32_u24_e32 v166, 0x10001, v166
	v_pk_fma_f16 v5, v143, v133, v5
	v_pk_fma_f16 v4, v142, v133, v4
	v_mul_u32_u24_e32 v211, 0x10001, v211
	v_pk_fma_f16 v1, v143, v210, v1
	v_pk_fma_f16 v9, v144, v133, v9
	v_pk_fma_f16 v2, v144, v210, v2
	v_pk_fma_f16 v8, v145, v133, v8
	v_pk_fma_f16 v3, v145, v210, v3
	v_pk_fma_f16 v0, v142, v210, v0
	;; [unrolled: 12-line block ×4, first 2 shown]
	s_wait_dscnt 0x3
	v_lshrrev_b32_e32 v215, 16, v170
	v_and_b32_e32 v170, 0xffff, v170
	v_mul_u32_u24_e32 v169, 0x10001, v169
	v_pk_fma_f16 v5, v155, v168, v5
	v_pk_fma_f16 v4, v154, v168, v4
	v_mul_u32_u24_e32 v214, 0x10001, v214
	v_pk_fma_f16 v1, v155, v213, v1
	v_pk_fma_f16 v9, v156, v168, v9
	v_pk_fma_f16 v2, v156, v213, v2
	v_pk_fma_f16 v8, v157, v168, v8
	v_pk_fma_f16 v3, v157, v213, v3
	v_pk_fma_f16 v0, v154, v213, v0
	v_lshrrev_b32_e32 v216, 16, v171
	v_and_b32_e32 v171, 0xffff, v171
	v_mul_u32_u24_e32 v170, 0x10001, v170
	v_pk_fma_f16 v5, v159, v169, v5
	v_pk_fma_f16 v4, v158, v169, v4
	v_mul_u32_u24_e32 v215, 0x10001, v215
	v_pk_fma_f16 v1, v159, v214, v1
	v_pk_fma_f16 v9, v160, v169, v9
	v_pk_fma_f16 v2, v160, v214, v2
	v_pk_fma_f16 v8, v161, v169, v8
	v_pk_fma_f16 v3, v161, v214, v3
	v_pk_fma_f16 v0, v158, v214, v0
	;; [unrolled: 12-line block ×3, first 2 shown]
	v_lshrrev_b32_e32 v218, 16, v173
	v_and_b32_e32 v173, 0xffff, v173
	v_mul_u32_u24_e32 v172, 0x10001, v172
	s_wait_dscnt 0x2
	v_pk_fma_f16 v5, v175, v171, v5
	v_pk_fma_f16 v4, v174, v171, v4
	v_mul_u32_u24_e32 v217, 0x10001, v217
	v_pk_fma_f16 v1, v175, v216, v1
	v_pk_fma_f16 v9, v176, v171, v9
	;; [unrolled: 1-line block ×6, first 2 shown]
	v_mul_u32_u24_e32 v173, 0x10001, v173
	s_wait_dscnt 0x1
	v_pk_fma_f16 v5, v179, v172, v5
	v_pk_fma_f16 v4, v178, v172, v4
	v_mul_u32_u24_e32 v218, 0x10001, v218
	v_pk_fma_f16 v1, v179, v217, v1
	v_pk_fma_f16 v9, v180, v172, v9
	;; [unrolled: 1-line block ×6, first 2 shown]
	s_wait_dscnt 0x0
	v_pk_fma_f16 v54, v183, v173, v5
	v_pk_fma_f16 v47, v182, v173, v4
	v_mov_b32_e32 v4, v6
	v_pk_fma_f16 v50, v183, v218, v1
	v_pk_fma_f16 v52, v184, v173, v9
	;; [unrolled: 1-line block ×6, first 2 shown]
	v_mov_b32_e32 v5, v7
	s_wait_loadcnt 0x0
	s_barrier_signal -1
	s_barrier_wait -1
	global_inv scope:SCOPE_SE
.LBB72_48:
	v_cmp_lt_i32_e32 vcc_lo, v16, v18
	s_cmp_eq_u64 s[12:13], 0
	s_cselect_b32 s2, -1, 0
	s_cmp_lg_u32 s14, 0
	s_wait_alu 0xfffd
	v_cndmask_b32_e32 v0, v44, v16, vcc_lo
	v_cmp_lt_i32_e32 vcc_lo, v15, v18
	s_cselect_b32 s3, -1, 0
	s_wait_alu 0xfffe
	s_or_b32 s2, s3, s2
	v_lshlrev_b32_e32 v0, 2, v0
	s_wait_alu 0xfffd
	v_cndmask_b32_e32 v2, v44, v15, vcc_lo
	v_cmp_lt_i32_e32 vcc_lo, v17, v18
	ds_bpermute_b32 v1, v0, v61
	v_lshlrev_b32_e32 v2, 2, v2
	s_wait_alu 0xfffd
	v_cndmask_b32_e32 v6, v44, v17, vcc_lo
	v_cmp_lt_i32_e32 vcc_lo, v19, v18
	s_wait_dscnt 0x0
	s_delay_alu instid0(VALU_DEP_2)
	v_dual_add_f32 v1, v61, v1 :: v_dual_lshlrev_b32 v6, 2, v6
	ds_bpermute_b32 v3, v2, v1
	s_wait_dscnt 0x0
	v_add_f32_e32 v1, v1, v3
	ds_bpermute_b32 v0, v0, v60
	s_wait_dscnt 0x0
	v_add_f32_e32 v0, v60, v0
	;; [unrolled: 3-line block ×3, first 2 shown]
	ds_bpermute_b32 v2, v6, v1
	ds_bpermute_b32 v3, v6, v0
	s_wait_alu 0xfffd
	v_cndmask_b32_e32 v6, v44, v19, vcc_lo
	v_cmp_lt_i32_e32 vcc_lo, v20, v18
	s_delay_alu instid0(VALU_DEP_2)
	v_lshlrev_b32_e32 v6, 2, v6
	s_wait_dscnt 0x0
	v_dual_add_f32 v1, v1, v2 :: v_dual_add_f32 v0, v0, v3
	ds_bpermute_b32 v2, v6, v1
	ds_bpermute_b32 v3, v6, v0
	s_wait_alu 0xfffd
	v_cndmask_b32_e32 v6, v44, v20, vcc_lo
	s_wait_alu 0xfffe
	s_and_b32 vcc_lo, exec_lo, s2
	s_delay_alu instid0(VALU_DEP_1)
	v_lshlrev_b32_e32 v6, 2, v6
	s_wait_dscnt 0x0
	v_dual_add_f32 v1, v1, v2 :: v_dual_add_f32 v2, v0, v3
	ds_bpermute_b32 v0, v6, v1
	ds_bpermute_b32 v3, v6, v2
	s_wait_dscnt 0x0
	v_dual_add_f32 v0, v1, v0 :: v_dual_add_f32 v1, v2, v3
	s_wait_alu 0xfffe
	s_cbranch_vccnz .LBB72_51
; %bb.49:
	v_dual_mov_b32 v2, 0 :: v_dual_max_num_f32 v3, v4, v4
	s_lshl_b64 s[2:3], s[34:35], 2
	v_max_num_f32_e32 v8, v5, v5
	s_wait_alu 0xfffe
	s_add_nc_u64 s[2:3], s[12:13], s[2:3]
	global_load_b32 v2, v2, s[2:3]
	s_wait_loadcnt 0x0
	v_max_num_f32_e32 v7, v2, v2
	s_delay_alu instid0(VALU_DEP_1) | instskip(SKIP_1) | instid1(VALU_DEP_2)
	v_max_num_f32_e32 v6, v3, v7
	v_max_num_f32_e32 v7, v8, v7
	v_sub_f32_e32 v3, v4, v6
	v_sub_f32_e32 v4, v2, v6
	s_delay_alu instid0(VALU_DEP_3) | instskip(NEXT) | instid1(VALU_DEP_2)
	v_sub_f32_e32 v8, v2, v7
	v_dual_mul_f32 v2, 0x3fb8aa3b, v3 :: v_dual_mul_f32 v9, 0x3fb8aa3b, v4
	s_delay_alu instid0(VALU_DEP_2) | instskip(SKIP_1) | instid1(VALU_DEP_3)
	v_mul_f32_e32 v11, 0x3fb8aa3b, v8
	v_cmp_ngt_f32_e32 vcc_lo, 0xc2ce8ed0, v3
	v_fma_f32 v12, 0x3fb8aa3b, v3, -v2
	v_rndne_f32_e32 v13, v2
	v_sub_f32_e32 v5, v5, v7
	v_fma_f32 v14, 0x3fb8aa3b, v4, -v9
	v_rndne_f32_e32 v15, v9
	v_rndne_f32_e32 v19, v11
	v_fma_f32 v18, 0x3fb8aa3b, v8, -v11
	v_sub_f32_e32 v2, v2, v13
	s_delay_alu instid0(VALU_DEP_4) | instskip(NEXT) | instid1(VALU_DEP_4)
	v_dual_mul_f32 v10, 0x3fb8aa3b, v5 :: v_dual_sub_f32 v9, v9, v15
	v_dual_fmac_f32 v14, 0x32a5705f, v4 :: v_dual_sub_f32 v11, v11, v19
	v_fmac_f32_e32 v12, 0x32a5705f, v3
	s_delay_alu instid0(VALU_DEP_3) | instskip(SKIP_1) | instid1(VALU_DEP_3)
	v_fma_f32 v16, 0x3fb8aa3b, v5, -v10
	v_rndne_f32_e32 v17, v10
	v_dual_add_f32 v9, v9, v14 :: v_dual_add_f32 v2, v2, v12
	v_cvt_i32_f32_e32 v12, v13
	v_cvt_i32_f32_e32 v13, v15
	s_delay_alu instid0(VALU_DEP_3) | instskip(SKIP_3) | instid1(TRANS32_DEP_2)
	v_exp_f32_e32 v9, v9
	v_cvt_i32_f32_e32 v15, v19
	v_exp_f32_e32 v2, v2
	v_cvt_i32_f32_e32 v14, v17
	v_ldexp_f32 v9, v9, v13
	s_delay_alu instid0(TRANS32_DEP_1) | instskip(SKIP_1) | instid1(VALU_DEP_1)
	v_ldexp_f32 v2, v2, v12
	s_wait_alu 0xfffd
	v_cndmask_b32_e32 v2, 0, v2, vcc_lo
	v_cmp_ngt_f32_e32 vcc_lo, 0xc2ce8ed0, v4
	s_wait_alu 0xfffd
	v_dual_fmac_f32 v18, 0x32a5705f, v8 :: v_dual_cndmask_b32 v9, 0, v9
	s_delay_alu instid0(VALU_DEP_1) | instskip(SKIP_1) | instid1(VALU_DEP_2)
	v_dual_fmac_f32 v16, 0x32a5705f, v5 :: v_dual_add_f32 v11, v11, v18
	v_cmp_ngt_f32_e32 vcc_lo, 0xc2ce8ed0, v5
	v_exp_f32_e32 v11, v11
	s_delay_alu instid0(TRANS32_DEP_1) | instskip(SKIP_1) | instid1(VALU_DEP_1)
	v_ldexp_f32 v11, v11, v15
	v_sub_f32_e32 v10, v10, v17
	v_add_f32_e32 v10, v10, v16
	s_delay_alu instid0(VALU_DEP_1) | instskip(NEXT) | instid1(TRANS32_DEP_1)
	v_exp_f32_e32 v10, v10
	v_ldexp_f32 v10, v10, v14
	s_wait_alu 0xfffd
	s_delay_alu instid0(VALU_DEP_1)
	v_cndmask_b32_e32 v10, 0, v10, vcc_lo
	v_cmp_nlt_f32_e32 vcc_lo, 0x42b17218, v3
	s_wait_alu 0xfffd
	v_cndmask_b32_e32 v12, 0x7f800000, v2, vcc_lo
	v_cmp_ngt_f32_e32 vcc_lo, 0xc2ce8ed0, v8
	s_wait_alu 0xfffd
	v_cndmask_b32_e32 v3, 0, v11, vcc_lo
	v_cmp_nlt_f32_e32 vcc_lo, 0x42b17218, v5
	s_wait_alu 0xfffd
	v_cndmask_b32_e32 v5, 0x7f800000, v10, vcc_lo
	v_cmp_nlt_f32_e32 vcc_lo, 0x42b17218, v4
	v_cvt_f16_f32_e32 v10, v12
	s_delay_alu instid0(VALU_DEP_3)
	v_cvt_f16_f32_e32 v4, v5
	s_wait_alu 0xfffd
	v_cndmask_b32_e32 v2, 0x7f800000, v9, vcc_lo
	v_cmp_nlt_f32_e32 vcc_lo, 0x42b17218, v8
	v_and_b32_e32 v8, 0xffff, v10
	v_and_b32_e32 v4, 0xffff, v4
	s_wait_alu 0xfffd
	v_cndmask_b32_e32 v3, 0x7f800000, v3, vcc_lo
	s_delay_alu instid0(VALU_DEP_2) | instskip(NEXT) | instid1(VALU_DEP_2)
	v_mul_u32_u24_e32 v4, 0x10001, v4
	v_fmac_f32_e32 v3, v1, v5
	v_mul_u32_u24_e32 v5, 0x10001, v8
	s_delay_alu instid0(VALU_DEP_3) | instskip(SKIP_2) | instid1(VALU_DEP_4)
	v_pk_mul_f16 v46, v46, v4
	v_pk_mul_f16 v50, v50, v4
	;; [unrolled: 1-line block ×8, first 2 shown]
	v_dual_mov_b32 v4, v6 :: v_dual_mov_b32 v5, v7
	v_fmac_f32_e32 v2, v0, v12
	s_delay_alu instid0(VALU_DEP_1)
	v_dual_mov_b32 v0, v2 :: v_dual_mov_b32 v1, v3
	s_mov_b32 s2, exec_lo
	v_cmpx_gt_i32_e64 s22, v42
	s_cbranch_execnz .LBB72_52
.LBB72_50:
	s_nop 0
	s_sendmsg sendmsg(MSG_DEALLOC_VGPRS)
	s_endpgm
.LBB72_51:
	s_delay_alu instid0(VALU_DEP_1)
	v_dual_mov_b32 v2, v0 :: v_dual_mov_b32 v3, v1
	s_mov_b32 s2, exec_lo
	v_cmpx_gt_i32_e64 s22, v42
	s_cbranch_execz .LBB72_50
.LBB72_52:
	s_load_b32 s1, s[0:1], 0xd4
	v_mov_b32_e32 v8, 1.0
	s_wait_kmcnt 0x0
	s_cmp_lg_u32 s1, 1
	s_cselect_b32 s4, -1, 0
	s_cmp_eq_u32 s1, 1
	s_cselect_b32 s2, -1, 0
	s_wait_alu 0xfffe
	s_and_b32 vcc_lo, exec_lo, s4
	s_wait_alu 0xfffe
	s_cbranch_vccnz .LBB72_54
; %bb.53:
	v_div_scale_f32 v6, null, v2, v2, 1.0
	s_delay_alu instid0(VALU_DEP_1) | instskip(NEXT) | instid1(TRANS32_DEP_1)
	v_rcp_f32_e32 v7, v6
	v_fma_f32 v8, -v6, v7, 1.0
	s_delay_alu instid0(VALU_DEP_1) | instskip(SKIP_1) | instid1(VALU_DEP_1)
	v_fmac_f32_e32 v7, v8, v7
	v_div_scale_f32 v8, vcc_lo, 1.0, v2, 1.0
	v_mul_f32_e32 v9, v8, v7
	s_delay_alu instid0(VALU_DEP_1) | instskip(NEXT) | instid1(VALU_DEP_1)
	v_fma_f32 v10, -v6, v9, v8
	v_fmac_f32_e32 v9, v10, v7
	s_delay_alu instid0(VALU_DEP_1) | instskip(SKIP_1) | instid1(VALU_DEP_1)
	v_fma_f32 v6, -v6, v9, v8
	s_wait_alu 0xfffd
	v_div_fmas_f32 v6, v6, v7, v9
	s_delay_alu instid0(VALU_DEP_1)
	v_div_fixup_f32 v8, v6, v2, 1.0
.LBB72_54:
	s_mul_i32 s3, s36, s22
	v_cvt_f32_f16_e32 v9, v54
	s_wait_alu 0xfffe
	s_add_co_i32 s3, s3, s33
	v_lshrrev_b32_e32 v10, 16, v47
	s_wait_alu 0xfffe
	v_add_nc_u32_e32 v2, s3, v40
	v_cvt_f32_f16_e32 v12, v47
	v_dual_mul_f32 v11, v8, v9 :: v_dual_mov_b32 v18, 0
	v_lshrrev_b32_e32 v13, 16, v53
	s_delay_alu instid0(VALU_DEP_4)
	v_mad_co_u64_u32 v[6:7], null, v2, s23, s[34:35]
	v_lshrrev_b32_e32 v2, 16, v54
	v_lshrrev_b32_e32 v14, 16, v52
	v_cvt_f32_f16_e32 v16, v52
	v_cvt_f32_f16_e32 v10, v10
	v_mul_f32_e32 v9, v8, v12
	v_cvt_f32_f16_e32 v2, v2
	v_mad_co_u64_u32 v[6:7], null, s1, v6, s[14:15]
	v_cvt_f32_f16_e32 v7, v53
	v_cvt_f32_f16_e32 v21, v13
	v_mul_f32_e32 v13, v8, v16
	v_mul_f32_e32 v10, v8, v10
	v_cmp_eq_u32_e32 vcc_lo, 0, v43
	v_mul_f32_e32 v15, v8, v7
	v_lshl_add_u32 v17, v6, 8, v41
	v_cvt_f32_f16_e32 v7, v14
	v_mul_f32_e32 v16, v8, v21
	v_mul_f32_e32 v12, v8, v2
	s_delay_alu instid0(VALU_DEP_4) | instskip(NEXT) | instid1(VALU_DEP_4)
	v_lshlrev_b64_e32 v[19:20], 2, v[17:18]
	v_dual_mul_f32 v14, v8, v7 :: v_dual_add_nc_u32 v17, 0x80, v17
	s_delay_alu instid0(VALU_DEP_1) | instskip(NEXT) | instid1(VALU_DEP_3)
	v_lshlrev_b64_e32 v[7:8], 2, v[17:18]
	v_add_co_u32 v17, s0, s16, v19
	s_wait_alu 0xf1ff
	s_delay_alu instid0(VALU_DEP_4) | instskip(NEXT) | instid1(VALU_DEP_3)
	v_add_co_ci_u32_e64 v18, null, s17, v20, s0
	v_add_co_u32 v7, s0, s16, v7
	s_wait_alu 0xf1ff
	v_add_co_ci_u32_e64 v8, null, s17, v8, s0
	s_and_b32 s0, vcc_lo, s4
	s_clause 0x1
	global_store_b128 v[17:18], v[9:12], off
	global_store_b128 v[7:8], v[13:16], off
	s_wait_alu 0xfffe
	s_and_saveexec_b32 s4, s0
	s_cbranch_execz .LBB72_56
; %bb.55:
	v_ashrrev_i32_e32 v7, 31, v6
	v_dual_mov_b32 v8, v4 :: v_dual_mov_b32 v9, v0
	s_delay_alu instid0(VALU_DEP_2) | instskip(NEXT) | instid1(VALU_DEP_1)
	v_lshlrev_b64_e32 v[6:7], 3, v[6:7]
	v_add_co_u32 v6, vcc_lo, s18, v6
	s_wait_alu 0xfffd
	s_delay_alu instid0(VALU_DEP_2)
	v_add_co_ci_u32_e64 v7, null, s19, v7, vcc_lo
	global_store_b64 v[6:7], v[8:9], off
.LBB72_56:
	s_wait_alu 0xfffe
	s_or_b32 exec_lo, exec_lo, s4
	v_cmp_gt_i32_e32 vcc_lo, s22, v39
	s_and_b32 exec_lo, exec_lo, vcc_lo
	s_cbranch_execz .LBB72_50
; %bb.57:
	v_mov_b32_e32 v0, 1.0
	s_and_not1_b32 vcc_lo, exec_lo, s2
	s_wait_alu 0xfffe
	s_cbranch_vccnz .LBB72_59
; %bb.58:
	v_div_scale_f32 v0, null, v3, v3, 1.0
	s_delay_alu instid0(VALU_DEP_1) | instskip(NEXT) | instid1(TRANS32_DEP_1)
	v_rcp_f32_e32 v2, v0
	v_fma_f32 v4, -v0, v2, 1.0
	s_delay_alu instid0(VALU_DEP_1) | instskip(SKIP_1) | instid1(VALU_DEP_1)
	v_fmac_f32_e32 v2, v4, v2
	v_div_scale_f32 v4, vcc_lo, 1.0, v3, 1.0
	v_mul_f32_e32 v6, v4, v2
	s_delay_alu instid0(VALU_DEP_1) | instskip(NEXT) | instid1(VALU_DEP_1)
	v_fma_f32 v7, -v0, v6, v4
	v_fmac_f32_e32 v6, v7, v2
	s_delay_alu instid0(VALU_DEP_1) | instskip(SKIP_1) | instid1(VALU_DEP_1)
	v_fma_f32 v0, -v0, v6, v4
	s_wait_alu 0xfffd
	v_div_fmas_f32 v0, v0, v2, v6
	s_delay_alu instid0(VALU_DEP_1)
	v_div_fixup_f32 v0, v0, v3, 1.0
.LBB72_59:
	v_lshrrev_b32_e32 v6, 16, v50
	v_cvt_f32_f16_e32 v7, v50
	v_lshrrev_b32_e32 v9, 16, v46
	v_cvt_f32_f16_e32 v10, v46
	v_cvt_f32_f16_e32 v14, v49
	;; [unrolled: 1-line block ×3, first 2 shown]
	v_add_nc_u32_e32 v2, s3, v38
	v_mul_f32_e32 v8, v0, v7
	v_cvt_f32_f16_e32 v7, v9
	v_mul_f32_e32 v6, v0, v10
	v_mul_f32_e32 v9, v0, v16
	v_mad_co_u64_u32 v[2:3], null, v2, s23, s[34:35]
	v_mul_f32_e32 v10, v0, v14
	v_lshrrev_b32_e32 v11, 16, v48
	v_lshrrev_b32_e32 v13, 16, v49
	v_cvt_f32_f16_e32 v12, v48
	v_mul_f32_e32 v7, v0, v7
	v_mad_co_u64_u32 v[2:3], null, s1, v2, s[14:15]
	v_cvt_f32_f16_e32 v11, v11
	v_cvt_f32_f16_e32 v17, v13
	v_mul_f32_e32 v12, v0, v12
	s_delay_alu instid0(VALU_DEP_3) | instskip(SKIP_1) | instid1(VALU_DEP_4)
	v_mul_f32_e32 v13, v0, v11
	v_lshl_add_u32 v3, v2, 8, v41
	v_dual_mov_b32 v4, 0 :: v_dual_mul_f32 v11, v0, v17
	s_delay_alu instid0(VALU_DEP_1) | instskip(SKIP_1) | instid1(VALU_DEP_1)
	v_lshlrev_b64_e32 v[14:15], 2, v[3:4]
	v_add_nc_u32_e32 v3, 0x80, v3
	v_lshlrev_b64_e32 v[3:4], 2, v[3:4]
	s_delay_alu instid0(VALU_DEP_3) | instskip(SKIP_1) | instid1(VALU_DEP_4)
	v_add_co_u32 v14, vcc_lo, s16, v14
	s_wait_alu 0xfffd
	v_add_co_ci_u32_e64 v15, null, s17, v15, vcc_lo
	s_delay_alu instid0(VALU_DEP_3)
	v_add_co_u32 v3, vcc_lo, s16, v3
	s_wait_alu 0xfffd
	v_add_co_ci_u32_e64 v4, null, s17, v4, vcc_lo
	s_clause 0x1
	global_store_b128 v[14:15], v[6:9], off
	global_store_b128 v[3:4], v[10:13], off
	s_and_b32 exec_lo, exec_lo, s0
	s_cbranch_execz .LBB72_50
; %bb.60:
	v_ashrrev_i32_e32 v3, 31, v2
	v_mov_b32_e32 v0, v5
	s_delay_alu instid0(VALU_DEP_2) | instskip(NEXT) | instid1(VALU_DEP_1)
	v_lshlrev_b64_e32 v[2:3], 3, v[2:3]
	v_add_co_u32 v2, vcc_lo, s18, v2
	s_wait_alu 0xfffd
	s_delay_alu instid0(VALU_DEP_2)
	v_add_co_ci_u32_e64 v3, null, s19, v3, vcc_lo
	global_store_b64 v[2:3], v[0:1], off
	s_nop 0
	s_sendmsg sendmsg(MSG_DEALLOC_VGPRS)
	s_endpgm
	.section	.rodata,"a",@progbits
	.p2align	6, 0x0
	.amdhsa_kernel _ZL15flash_attn_tileILi256ELi256ELi8ELi1ELb1EEvPKcS1_S1_S1_S1_PKiPfP15HIP_vector_typeIfLj2EEffffjfiS5_IjLj3EEiiiiiiiiiiiliiliiiiil
		.amdhsa_group_segment_fixed_size 21504
		.amdhsa_private_segment_fixed_size 32
		.amdhsa_kernarg_size 464
		.amdhsa_user_sgpr_count 2
		.amdhsa_user_sgpr_dispatch_ptr 0
		.amdhsa_user_sgpr_queue_ptr 0
		.amdhsa_user_sgpr_kernarg_segment_ptr 1
		.amdhsa_user_sgpr_dispatch_id 0
		.amdhsa_user_sgpr_private_segment_size 0
		.amdhsa_wavefront_size32 1
		.amdhsa_uses_dynamic_stack 0
		.amdhsa_enable_private_segment 1
		.amdhsa_system_sgpr_workgroup_id_x 1
		.amdhsa_system_sgpr_workgroup_id_y 1
		.amdhsa_system_sgpr_workgroup_id_z 1
		.amdhsa_system_sgpr_workgroup_info 0
		.amdhsa_system_vgpr_workitem_id 1
		.amdhsa_next_free_vgpr 221
		.amdhsa_next_free_sgpr 48
		.amdhsa_reserve_vcc 1
		.amdhsa_float_round_mode_32 0
		.amdhsa_float_round_mode_16_64 0
		.amdhsa_float_denorm_mode_32 3
		.amdhsa_float_denorm_mode_16_64 3
		.amdhsa_fp16_overflow 0
		.amdhsa_workgroup_processor_mode 1
		.amdhsa_memory_ordered 1
		.amdhsa_forward_progress 1
		.amdhsa_inst_pref_size 171
		.amdhsa_round_robin_scheduling 0
		.amdhsa_exception_fp_ieee_invalid_op 0
		.amdhsa_exception_fp_denorm_src 0
		.amdhsa_exception_fp_ieee_div_zero 0
		.amdhsa_exception_fp_ieee_overflow 0
		.amdhsa_exception_fp_ieee_underflow 0
		.amdhsa_exception_fp_ieee_inexact 0
		.amdhsa_exception_int_div_zero 0
	.end_amdhsa_kernel
	.section	.text._ZL15flash_attn_tileILi256ELi256ELi8ELi1ELb1EEvPKcS1_S1_S1_S1_PKiPfP15HIP_vector_typeIfLj2EEffffjfiS5_IjLj3EEiiiiiiiiiiiliiliiiiil,"axG",@progbits,_ZL15flash_attn_tileILi256ELi256ELi8ELi1ELb1EEvPKcS1_S1_S1_S1_PKiPfP15HIP_vector_typeIfLj2EEffffjfiS5_IjLj3EEiiiiiiiiiiiliiliiiiil,comdat
.Lfunc_end72:
	.size	_ZL15flash_attn_tileILi256ELi256ELi8ELi1ELb1EEvPKcS1_S1_S1_S1_PKiPfP15HIP_vector_typeIfLj2EEffffjfiS5_IjLj3EEiiiiiiiiiiiliiliiiiil, .Lfunc_end72-_ZL15flash_attn_tileILi256ELi256ELi8ELi1ELb1EEvPKcS1_S1_S1_S1_PKiPfP15HIP_vector_typeIfLj2EEffffjfiS5_IjLj3EEiiiiiiiiiiiliiliiiiil
                                        ; -- End function
	.set _ZL15flash_attn_tileILi256ELi256ELi8ELi1ELb1EEvPKcS1_S1_S1_S1_PKiPfP15HIP_vector_typeIfLj2EEffffjfiS5_IjLj3EEiiiiiiiiiiiliiliiiiil.num_vgpr, 221
	.set _ZL15flash_attn_tileILi256ELi256ELi8ELi1ELb1EEvPKcS1_S1_S1_S1_PKiPfP15HIP_vector_typeIfLj2EEffffjfiS5_IjLj3EEiiiiiiiiiiiliiliiiiil.num_agpr, 0
	.set _ZL15flash_attn_tileILi256ELi256ELi8ELi1ELb1EEvPKcS1_S1_S1_S1_PKiPfP15HIP_vector_typeIfLj2EEffffjfiS5_IjLj3EEiiiiiiiiiiiliiliiiiil.numbered_sgpr, 48
	.set _ZL15flash_attn_tileILi256ELi256ELi8ELi1ELb1EEvPKcS1_S1_S1_S1_PKiPfP15HIP_vector_typeIfLj2EEffffjfiS5_IjLj3EEiiiiiiiiiiiliiliiiiil.num_named_barrier, 0
	.set _ZL15flash_attn_tileILi256ELi256ELi8ELi1ELb1EEvPKcS1_S1_S1_S1_PKiPfP15HIP_vector_typeIfLj2EEffffjfiS5_IjLj3EEiiiiiiiiiiiliiliiiiil.private_seg_size, 32
	.set _ZL15flash_attn_tileILi256ELi256ELi8ELi1ELb1EEvPKcS1_S1_S1_S1_PKiPfP15HIP_vector_typeIfLj2EEffffjfiS5_IjLj3EEiiiiiiiiiiiliiliiiiil.uses_vcc, 1
	.set _ZL15flash_attn_tileILi256ELi256ELi8ELi1ELb1EEvPKcS1_S1_S1_S1_PKiPfP15HIP_vector_typeIfLj2EEffffjfiS5_IjLj3EEiiiiiiiiiiiliiliiiiil.uses_flat_scratch, 1
	.set _ZL15flash_attn_tileILi256ELi256ELi8ELi1ELb1EEvPKcS1_S1_S1_S1_PKiPfP15HIP_vector_typeIfLj2EEffffjfiS5_IjLj3EEiiiiiiiiiiiliiliiiiil.has_dyn_sized_stack, 0
	.set _ZL15flash_attn_tileILi256ELi256ELi8ELi1ELb1EEvPKcS1_S1_S1_S1_PKiPfP15HIP_vector_typeIfLj2EEffffjfiS5_IjLj3EEiiiiiiiiiiiliiliiiiil.has_recursion, 0
	.set _ZL15flash_attn_tileILi256ELi256ELi8ELi1ELb1EEvPKcS1_S1_S1_S1_PKiPfP15HIP_vector_typeIfLj2EEffffjfiS5_IjLj3EEiiiiiiiiiiiliiliiiiil.has_indirect_call, 0
	.section	.AMDGPU.csdata,"",@progbits
; Kernel info:
; codeLenInByte = 21844
; TotalNumSgprs: 50
; NumVgprs: 221
; ScratchSize: 32
; MemoryBound: 0
; FloatMode: 240
; IeeeMode: 1
; LDSByteSize: 21504 bytes/workgroup (compile time only)
; SGPRBlocks: 0
; VGPRBlocks: 27
; NumSGPRsForWavesPerEU: 50
; NumVGPRsForWavesPerEU: 221
; Occupancy: 6
; WaveLimiterHint : 1
; COMPUTE_PGM_RSRC2:SCRATCH_EN: 1
; COMPUTE_PGM_RSRC2:USER_SGPR: 2
; COMPUTE_PGM_RSRC2:TRAP_HANDLER: 0
; COMPUTE_PGM_RSRC2:TGID_X_EN: 1
; COMPUTE_PGM_RSRC2:TGID_Y_EN: 1
; COMPUTE_PGM_RSRC2:TGID_Z_EN: 1
; COMPUTE_PGM_RSRC2:TIDIG_COMP_CNT: 1
	.section	.text._ZL15flash_attn_tileILi256ELi256ELi4ELi1ELb1EEvPKcS1_S1_S1_S1_PKiPfP15HIP_vector_typeIfLj2EEffffjfiS5_IjLj3EEiiiiiiiiiiiliiliiiiil,"axG",@progbits,_ZL15flash_attn_tileILi256ELi256ELi4ELi1ELb1EEvPKcS1_S1_S1_S1_PKiPfP15HIP_vector_typeIfLj2EEffffjfiS5_IjLj3EEiiiiiiiiiiiliiliiiiil,comdat
	.globl	_ZL15flash_attn_tileILi256ELi256ELi4ELi1ELb1EEvPKcS1_S1_S1_S1_PKiPfP15HIP_vector_typeIfLj2EEffffjfiS5_IjLj3EEiiiiiiiiiiiliiliiiiil ; -- Begin function _ZL15flash_attn_tileILi256ELi256ELi4ELi1ELb1EEvPKcS1_S1_S1_S1_PKiPfP15HIP_vector_typeIfLj2EEffffjfiS5_IjLj3EEiiiiiiiiiiiliiliiiiil
	.p2align	8
	.type	_ZL15flash_attn_tileILi256ELi256ELi4ELi1ELb1EEvPKcS1_S1_S1_S1_PKiPfP15HIP_vector_typeIfLj2EEffffjfiS5_IjLj3EEiiiiiiiiiiiliiliiiiil,@function
_ZL15flash_attn_tileILi256ELi256ELi4ELi1ELb1EEvPKcS1_S1_S1_S1_PKiPfP15HIP_vector_typeIfLj2EEffffjfiS5_IjLj3EEiiiiiiiiiiiliiliiiiil: ; @_ZL15flash_attn_tileILi256ELi256ELi4ELi1ELb1EEvPKcS1_S1_S1_S1_PKiPfP15HIP_vector_typeIfLj2EEffffjfiS5_IjLj3EEiiiiiiiiiiiliiliiiiil
; %bb.0:
	s_clause 0x1
	s_load_b128 s[20:23], s[0:1], 0x5c
	s_load_b64 s[2:3], s[0:1], 0x80
	s_lshr_b32 s6, ttmp7, 16
	s_load_b64 s[38:39], s[0:1], 0xb8
	s_mov_b32 s37, 0
	s_mov_b64 s[34:35], 0
	s_wait_kmcnt 0x0
	s_cvt_f32_u32 s4, s23
	s_sub_co_i32 s5, 0, s23
	s_delay_alu instid0(SALU_CYCLE_2) | instskip(NEXT) | instid1(TRANS32_DEP_1)
	v_rcp_iflag_f32_e32 v1, s4
	v_readfirstlane_b32 s4, v1
	s_mul_f32 s4, s4, 0x4f7ffffe
	s_wait_alu 0xfffe
	s_delay_alu instid0(SALU_CYCLE_2) | instskip(SKIP_1) | instid1(SALU_CYCLE_2)
	s_cvt_u32_f32 s4, s4
	s_wait_alu 0xfffe
	s_mul_i32 s5, s5, s4
	s_wait_alu 0xfffe
	s_mul_hi_u32 s5, s4, s5
	s_wait_alu 0xfffe
	s_add_co_i32 s4, s4, s5
	s_wait_alu 0xfffe
	s_mul_hi_u32 s4, s6, s4
	s_wait_alu 0xfffe
	s_mul_i32 s5, s4, s23
	s_add_co_i32 s7, s4, 1
	s_wait_alu 0xfffe
	s_sub_co_i32 s5, s6, s5
	s_wait_alu 0xfffe
	s_sub_co_i32 s8, s5, s23
	s_cmp_ge_u32 s5, s23
	s_cselect_b32 s4, s7, s4
	s_cselect_b32 s5, s8, s5
	s_wait_alu 0xfffe
	s_add_co_i32 s7, s4, 1
	s_cmp_ge_u32 s5, s23
	s_cselect_b32 s28, s7, s4
	s_abs_i32 s4, s3
	s_abs_i32 s9, s23
	s_wait_alu 0xfffe
	s_cvt_f32_u32 s5, s4
	s_sub_co_i32 s7, 0, s4
	s_mul_i32 s8, s28, s23
	s_xor_b32 s3, s23, s3
	s_wait_alu 0xfffe
	v_rcp_iflag_f32_e32 v1, s5
	s_sub_co_i32 s30, s6, s8
	s_ashr_i32 s3, s3, 31
	s_delay_alu instid0(TRANS32_DEP_1) | instskip(SKIP_2) | instid1(SALU_CYCLE_2)
	v_readfirstlane_b32 s5, v1
	s_mul_f32 s5, s5, 0x4f7ffffe
	s_wait_alu 0xfffe
	s_cvt_u32_f32 s5, s5
	s_wait_alu 0xfffe
	s_delay_alu instid0(SALU_CYCLE_2) | instskip(NEXT) | instid1(SALU_CYCLE_1)
	s_mul_i32 s7, s7, s5
	s_mul_hi_u32 s7, s5, s7
	s_delay_alu instid0(SALU_CYCLE_1)
	s_add_co_i32 s5, s5, s7
	s_wait_alu 0xfffe
	s_mul_hi_u32 s5, s9, s5
	s_wait_alu 0xfffe
	s_mul_i32 s6, s5, s4
	s_add_co_i32 s7, s5, 1
	s_sub_co_i32 s6, s9, s6
	s_delay_alu instid0(SALU_CYCLE_1)
	s_sub_co_i32 s8, s6, s4
	s_cmp_ge_u32 s6, s4
	s_cselect_b32 s5, s7, s5
	s_cselect_b32 s6, s8, s6
	s_wait_alu 0xfffe
	s_add_co_i32 s7, s5, 1
	s_cmp_ge_u32 s6, s4
	s_cselect_b32 s4, s7, s5
	s_abs_i32 s36, s30
	s_wait_alu 0xfffe
	s_xor_b32 s4, s4, s3
	s_wait_alu 0xfffe
	s_sub_co_i32 s29, s4, s3
	s_delay_alu instid0(SALU_CYCLE_1) | instskip(NEXT) | instid1(SALU_CYCLE_1)
	s_abs_i32 s3, s29
	s_cvt_f32_u32 s4, s3
	s_sub_co_i32 s25, 0, s3
	s_wait_alu 0xfffe
	s_delay_alu instid0(SALU_CYCLE_1) | instskip(SKIP_1) | instid1(TRANS32_DEP_1)
	v_rcp_iflag_f32_e32 v1, s4
	s_load_b512 s[4:19], s[0:1], 0x0
	v_readfirstlane_b32 s24, v1
	s_mul_f32 s24, s24, 0x4f7ffffe
	s_delay_alu instid0(SALU_CYCLE_3) | instskip(NEXT) | instid1(SALU_CYCLE_3)
	s_cvt_u32_f32 s24, s24
	s_mul_i32 s25, s25, s24
	s_delay_alu instid0(SALU_CYCLE_1) | instskip(NEXT) | instid1(SALU_CYCLE_1)
	s_mul_hi_u32 s25, s24, s25
	s_add_co_i32 s40, s24, s25
	s_wait_kmcnt 0x0
	s_cmp_eq_u64 s[10:11], 0
	s_cbranch_scc1 .LBB73_2
; %bb.1:
	s_abs_i32 s26, s38
	s_delay_alu instid0(SALU_CYCLE_1) | instskip(NEXT) | instid1(SALU_CYCLE_3)
	s_cvt_f32_u32 s24, s26
	v_rcp_iflag_f32_e32 v1, s24
	s_delay_alu instid0(TRANS32_DEP_1) | instskip(SKIP_2) | instid1(SALU_CYCLE_2)
	v_readfirstlane_b32 s24, v1
	s_mul_f32 s24, s24, 0x4f7ffffe
	s_wait_alu 0xfffe
	s_cvt_u32_f32 s27, s24
	s_sub_co_i32 s24, 0, s26
	s_wait_alu 0xfffe
	s_delay_alu instid0(SALU_CYCLE_1) | instskip(SKIP_4) | instid1(SALU_CYCLE_1)
	s_mul_i32 s24, s24, s27
	s_wait_alu 0xfffe
	s_mul_hi_u32 s31, s27, s24
	s_load_b64 s[24:25], s[0:1], 0xc8
	s_add_co_i32 s27, s27, s31
	s_mul_hi_u32 s27, s28, s27
	s_delay_alu instid0(SALU_CYCLE_1) | instskip(NEXT) | instid1(SALU_CYCLE_1)
	s_mul_i32 s27, s27, s26
	s_sub_co_i32 s27, s28, s27
	s_delay_alu instid0(SALU_CYCLE_1) | instskip(SKIP_2) | instid1(SALU_CYCLE_1)
	s_sub_co_i32 s31, s27, s26
	s_cmp_ge_u32 s27, s26
	s_cselect_b32 s27, s31, s27
	s_sub_co_i32 s31, s27, s26
	s_cmp_ge_u32 s27, s26
	s_cselect_b32 s26, s31, s27
	s_delay_alu instid0(SALU_CYCLE_1)
	s_ashr_i32 s27, s26, 31
	s_wait_kmcnt 0x0
	s_mul_u64 s[24:25], s[24:25], s[26:27]
	s_wait_alu 0xfffe
	s_add_nc_u64 s[34:35], s[10:11], s[24:25]
.LBB73_2:
	s_clause 0x1
	s_load_b128 s[24:27], s[0:1], 0x40
	s_load_b64 s[10:11], s[0:1], 0x50
	v_mov_b32_e32 v50, 1.0
	s_mov_b32 s41, s37
	s_wait_kmcnt 0x0
	s_cmp_le_f32 s25, 0
	s_cbranch_scc1 .LBB73_4
; %bb.3:
	v_sub_co_u32 v1, s10, s30, s10
	s_and_b32 s31, s10, exec_lo
	s_cselect_b32 s26, s26, s27
	s_add_co_i32 s27, s30, 1
	v_readfirstlane_b32 s25, v1
	s_lshl_b32 s25, s25, 1
	s_wait_alu 0xfffe
	s_or_b32 s25, s25, 1
	s_and_b32 s10, s10, exec_lo
	s_wait_alu 0xfffe
	s_cselect_b32 s10, s27, s25
	s_cmp_neq_f32 s26, 1.0
	s_wait_alu 0xfffe
	s_cvt_f32_i32 s10, s10
	s_wait_alu 0xfffe
	s_delay_alu instid0(SALU_CYCLE_2)
	s_cselect_b32 s25, s10, 1.0
	s_wait_alu 0xfffe
	s_cmp_neq_f32 s25, 0
	s_cselect_b32 s10, s26, 1.0
	s_wait_alu 0xfffe
	v_frexp_mant_f32_e64 v1, |s10|
	s_delay_alu instid0(VALU_DEP_1) | instskip(SKIP_3) | instid1(SALU_CYCLE_1)
	v_readfirstlane_b32 s26, v1
	v_cvt_f64_f32_e64 v[1:2], |s10|
	s_cmp_lt_f32 s26, 0x3f2aaaab
	s_cselect_b32 s27, -1, 0
	s_and_b32 s31, s27, exec_lo
	s_cselect_b32 s31, 2.0, 1.0
	s_wait_alu 0xfffe
	s_mul_f32 s26, s26, s31
	s_delay_alu instid0(SALU_CYCLE_3) | instskip(SKIP_2) | instid1(SALU_CYCLE_1)
	s_add_f32 s31, s26, 1.0
	s_add_f32 s38, s26, -1.0
	s_wait_alu 0xfffe
	v_s_rcp_f32 s33, s31
	s_add_f32 s44, s31, -1.0
	s_delay_alu instid0(SALU_CYCLE_3) | instskip(NEXT) | instid1(TRANS32_DEP_1)
	s_sub_f32 s26, s26, s44
	s_mul_f32 s42, s38, s33
	s_delay_alu instid0(SALU_CYCLE_3) | instskip(NEXT) | instid1(SALU_CYCLE_3)
	s_mul_f32 s43, s31, s42
	s_xor_b32 s45, s43, 0x80000000
	s_delay_alu instid0(VALU_DEP_1) | instskip(SKIP_1) | instid1(SALU_CYCLE_3)
	v_frexp_exp_i32_f64_e32 v1, v[1:2]
	s_fmac_f32 s45, s42, s31
	s_fmac_f32 s45, s42, s26
	s_delay_alu instid0(SALU_CYCLE_3) | instskip(NEXT) | instid1(SALU_CYCLE_3)
	s_add_f32 s26, s43, s45
	s_sub_f32 s31, s38, s26
	s_sub_f32 s43, s26, s43
	s_wait_alu 0xfffe
	s_delay_alu instid0(SALU_CYCLE_1) | instskip(NEXT) | instid1(SALU_CYCLE_1)
	s_sub_f32 s38, s38, s31
	s_sub_f32 s43, s43, s45
	s_delay_alu instid0(SALU_CYCLE_2) | instskip(NEXT) | instid1(SALU_CYCLE_3)
	s_sub_f32 s26, s38, s26
	s_add_f32 s26, s43, s26
	s_mov_b32 s43, 0x3e76c4e1
	s_delay_alu instid0(SALU_CYCLE_2) | instskip(NEXT) | instid1(SALU_CYCLE_3)
	s_add_f32 s26, s31, s26
	s_mul_f32 s26, s33, s26
	s_delay_alu instid0(SALU_CYCLE_3) | instskip(SKIP_1) | instid1(SALU_CYCLE_2)
	s_add_f32 s31, s42, s26
	s_wait_alu 0xfffe
	s_sub_f32 s33, s31, s42
	s_mul_f32 s38, s31, s31
	s_delay_alu instid0(SALU_CYCLE_2) | instskip(NEXT) | instid1(SALU_CYCLE_2)
	s_sub_f32 s26, s26, s33
	s_xor_b32 s33, s38, 0x80000000
	s_delay_alu instid0(SALU_CYCLE_1) | instskip(NEXT) | instid1(SALU_CYCLE_1)
	s_fmac_f32 s33, s31, s31
	s_add_f32 s42, s26, s26
	s_delay_alu instid0(SALU_CYCLE_3) | instskip(NEXT) | instid1(SALU_CYCLE_3)
	s_fmac_f32 s33, s31, s42
	s_add_f32 s42, s38, s33
	s_delay_alu instid0(SALU_CYCLE_3) | instskip(SKIP_1) | instid1(SALU_CYCLE_2)
	s_fmaak_f32 s43, s42, s43, 0x3e91f4c4
	s_sub_f32 s38, s42, s38
	s_fmaak_f32 s43, s42, s43, 0x3ecccdef
	s_delay_alu instid0(SALU_CYCLE_2) | instskip(SKIP_1) | instid1(SALU_CYCLE_1)
	s_sub_f32 s33, s33, s38
	s_mul_f32 s38, s31, s42
	s_mul_f32 s44, s42, s43
	s_delay_alu instid0(SALU_CYCLE_2) | instskip(NEXT) | instid1(SALU_CYCLE_2)
	s_xor_b32 s46, s38, 0x80000000
	s_xor_b32 s45, s44, 0x80000000
	s_fmac_f32 s46, s42, s31
	s_fmac_f32 s45, s42, s43
	s_delay_alu instid0(SALU_CYCLE_2) | instskip(NEXT) | instid1(SALU_CYCLE_2)
	s_fmac_f32 s46, s42, s26
	s_fmac_f32 s45, s33, s43
	s_delay_alu instid0(SALU_CYCLE_2) | instskip(NEXT) | instid1(SALU_CYCLE_2)
	s_fmac_f32 s46, s33, s31
	s_add_f32 s43, s44, s45
	s_delay_alu instid0(SALU_CYCLE_3) | instskip(SKIP_1) | instid1(SALU_CYCLE_2)
	s_sub_f32 s44, s43, s44
	s_add_f32 s47, s43, 0x3f2aaaaa
	s_sub_f32 s44, s45, s44
	s_delay_alu instid0(SALU_CYCLE_2) | instskip(NEXT) | instid1(SALU_CYCLE_2)
	s_add_f32 s45, s47, 0xbf2aaaaa
	s_add_f32 s42, s44, 0x31739010
	s_delay_alu instid0(SALU_CYCLE_2) | instskip(NEXT) | instid1(SALU_CYCLE_3)
	s_sub_f32 s43, s43, s45
	s_add_f32 s33, s42, s43
	s_add_f32 s42, s38, s46
	s_delay_alu instid0(SALU_CYCLE_2) | instskip(NEXT) | instid1(SALU_CYCLE_2)
	s_add_f32 s43, s47, s33
	s_sub_f32 s38, s42, s38
	s_delay_alu instid0(SALU_CYCLE_2) | instskip(SKIP_1) | instid1(SALU_CYCLE_1)
	s_mul_f32 s44, s42, s43
	s_sub_f32 s45, s47, s43
	s_sub_f32 s38, s46, s38
	s_delay_alu instid0(SALU_CYCLE_1) | instskip(NEXT) | instid1(SALU_CYCLE_1)
	s_xor_b32 s47, s44, 0x80000000
	s_add_f32 s33, s33, s45
	s_fmac_f32 s47, s42, s43
	v_readfirstlane_b32 s45, v1
	v_ldexp_f32 v1, s31, 1
	s_cmp_lg_u32 s27, 0
	s_fmac_f32 s47, s42, s33
	s_sub_co_ci_u32 s27, s45, 0
	s_delay_alu instid0(VALU_DEP_1) | instskip(NEXT) | instid1(SALU_CYCLE_1)
	v_readfirstlane_b32 s31, v1
	s_fmac_f32 s47, s38, s43
	s_cvt_f32_i32 s27, s27
	v_ldexp_f32 v1, s26, 1
	s_delay_alu instid0(SALU_CYCLE_1) | instskip(NEXT) | instid1(SALU_CYCLE_1)
	s_add_f32 s33, s44, s47
	s_mul_f32 s26, s27, 0x3f317218
	s_delay_alu instid0(VALU_DEP_1) | instskip(NEXT) | instid1(SALU_CYCLE_1)
	v_readfirstlane_b32 s43, v1
	s_add_f32 s38, s31, s33
	s_sub_f32 s42, s33, s44
	s_wait_alu 0xfffe
	s_xor_b32 s44, s26, 0x80000000
	s_sub_f32 s31, s38, s31
	s_sub_f32 s42, s47, s42
	s_fmamk_f32 s44, s27, 0x3f317218, s44
	s_wait_alu 0xfffe
	s_sub_f32 s31, s33, s31
	s_add_f32 s33, s43, s42
	s_fmamk_f32 s27, s27, 0xb102e308, s44
	s_wait_alu 0xfffe
	s_delay_alu instid0(SALU_CYCLE_1) | instskip(NEXT) | instid1(SALU_CYCLE_1)
	s_add_f32 s31, s33, s31
	s_add_f32 s33, s26, s27
	s_wait_alu 0xfffe
	s_delay_alu instid0(SALU_CYCLE_1) | instskip(NEXT) | instid1(SALU_CYCLE_1)
	s_add_f32 s42, s38, s31
	s_sub_f32 s26, s33, s26
	s_delay_alu instid0(SALU_CYCLE_2)
	s_add_f32 s43, s33, s42
	s_sub_f32 s38, s42, s38
	s_wait_alu 0xfffe
	s_sub_f32 s26, s27, s26
	s_sub_f32 s44, s43, s33
	;; [unrolled: 1-line block ×3, first 2 shown]
	s_delay_alu instid0(SALU_CYCLE_2) | instskip(SKIP_4) | instid1(SALU_CYCLE_3)
	s_sub_f32 s45, s43, s44
	s_sub_f32 s31, s42, s44
	s_wait_alu 0xfffe
	s_add_f32 s38, s26, s27
	s_sub_f32 s33, s33, s45
	s_add_f32 s31, s31, s33
	s_delay_alu instid0(SALU_CYCLE_1) | instskip(SKIP_1) | instid1(SALU_CYCLE_1)
	s_sub_f32 s33, s38, s26
	s_wait_alu 0xfffe
	s_add_f32 s31, s38, s31
	s_delay_alu instid0(SALU_CYCLE_1) | instskip(SKIP_4) | instid1(SALU_CYCLE_2)
	s_sub_f32 s38, s38, s33
	s_sub_f32 s27, s27, s33
	s_wait_alu 0xfffe
	s_add_f32 s42, s43, s31
	s_sub_f32 s26, s26, s38
	s_sub_f32 s33, s42, s43
	s_wait_alu 0xfffe
	s_delay_alu instid0(SALU_CYCLE_1) | instskip(NEXT) | instid1(SALU_CYCLE_1)
	s_add_f32 s26, s27, s26
	s_sub_f32 s27, s31, s33
	s_wait_alu 0xfffe
	s_delay_alu instid0(SALU_CYCLE_2) | instskip(SKIP_1) | instid1(SALU_CYCLE_2)
	s_add_f32 s26, s26, s27
	s_wait_alu 0xfffe
	s_add_f32 s27, s42, s26
	s_wait_alu 0xfffe
	s_delay_alu instid0(SALU_CYCLE_2) | instskip(SKIP_2) | instid1(SALU_CYCLE_1)
	s_mul_f32 s31, s25, s27
	s_sub_f32 s33, s27, s42
	s_wait_alu 0xfffe
	s_xor_b32 s38, s31, 0x80000000
	s_delay_alu instid0(SALU_CYCLE_1) | instskip(SKIP_2) | instid1(SALU_CYCLE_2)
	s_sub_f32 s26, s26, s33
	s_fmac_f32 s38, s25, s27
	s_wait_alu 0xfffe
	s_fmac_f32 s38, s25, s26
	v_cmp_class_f32_e64 s26, s31, 0x204
	s_delay_alu instid0(SALU_CYCLE_2) | instskip(SKIP_2) | instid1(SALU_CYCLE_1)
	s_add_f32 s27, s31, s38
	s_and_b32 s26, s26, exec_lo
	s_wait_alu 0xfffe
	s_sub_f32 s26, s27, s31
	s_cselect_b32 s27, s31, s27
	s_wait_alu 0xfffe
	s_and_b32 s31, s27, 0x7fffffff
	s_sub_f32 s26, s38, s26
	s_wait_alu 0xfffe
	s_cmp_neq_f32 s31, 0x7f800000
	s_delay_alu instid0(SALU_CYCLE_1)
	s_cselect_b32 s26, s26, 0
	s_cmp_eq_f32 s27, 0x42b17218
	s_cselect_b32 s31, 0x37000000, 0
	s_wait_alu 0xfffe
	s_sub_f32 s27, s27, s31
	s_add_f32 s26, s31, s26
	s_wait_alu 0xfffe
	s_delay_alu instid0(SALU_CYCLE_1) | instskip(NEXT) | instid1(SALU_CYCLE_3)
	s_mul_f32 s33, s27, 0x3fb8aa3b
	s_xor_b32 s38, s33, 0x80000000
	s_rndne_f32 s42, s33
	s_fmamk_f32 s38, s27, 0x3fb8aa3b, s38
	s_cmp_nlt_f32 s27, 0xc2ce8ed0
	s_delay_alu instid0(SALU_CYCLE_1) | instskip(NEXT) | instid1(SALU_CYCLE_1)
	s_sub_f32 s33, s33, s42
	s_fmamk_f32 s38, s27, 0x32a5705f, s38
	s_cselect_b32 vcc_lo, -1, 0
	s_cmp_ngt_f32 s27, 0x42b17218
	s_trunc_f32 s27, s25
	s_add_f32 s33, s33, s38
	s_cvt_i32_f32 s38, s42
	s_delay_alu instid0(SALU_CYCLE_2)
	v_s_exp_f32 s33, s33
	s_wait_alu 0xf1ff
	s_delay_alu instid0(TRANS32_DEP_1) | instid1(SALU_CYCLE_1)
	v_ldexp_f32 v1, s33, s38
	s_mul_f32 s33, s25, 0.5
	s_delay_alu instid0(VALU_DEP_1)
	v_cndmask_b32_e32 v1, 0, v1, vcc_lo
	s_cselect_b32 vcc_lo, -1, 0
	s_wait_alu 0xfffe
	s_cmp_eq_f32 s27, s25
	s_trunc_f32 s38, s33
	v_cndmask_b32_e32 v1, 0x7f800000, v1, vcc_lo
	s_cselect_b32 s42, -1, 0
	s_wait_alu 0xfffe
	s_cmp_neq_f32 s38, s33
	s_delay_alu instid0(VALU_DEP_1)
	v_fma_f32 v2, s26, v1, v1
	v_cmp_class_f32_e64 vcc_lo, v1, 0x204
	s_cselect_b32 s31, -1, 0
	s_wait_alu 0xfffe
	s_and_b32 s26, s42, s31
	s_wait_alu 0xfffd
	v_cndmask_b32_e32 v1, v2, v1, vcc_lo
	s_wait_alu 0xfffe
	s_and_b32 s31, s26, exec_lo
	s_cselect_b32 s31, s10, 1.0
	s_cmp_eq_f32 s27, s25
	v_cmp_class_f32_e64 s27, s10, 0x204
	s_wait_alu 0xfffe
	v_bfi_b32 v1, 0x7fffffff, v1, s31
	s_cselect_b32 vcc_lo, -1, 0
	s_cmp_lt_f32 s10, 0
	s_wait_alu 0xfffe
	s_delay_alu instid0(VALU_DEP_1) | instskip(SKIP_3) | instid1(VALU_DEP_1)
	v_cndmask_b32_e32 v2, 0x7fc00000, v1, vcc_lo
	s_cselect_b32 vcc_lo, -1, 0
	s_cmp_eq_f32 s10, 0
	s_wait_alu 0xfffe
	v_cndmask_b32_e32 v1, v1, v2, vcc_lo
	s_cselect_b32 s31, -1, 0
	s_wait_alu 0xfffe
	s_or_b32 vcc_lo, s31, s27
	s_cmp_lt_f32 s25, 0
	s_cselect_b32 s25, -1, 0
	s_wait_alu 0xfffe
	s_xor_b32 s25, s25, s31
	s_wait_alu 0xfffe
	s_and_b32 s25, s25, exec_lo
	s_cselect_b32 s25, 0, 0x7f800000
	s_and_b32 s26, s26, exec_lo
	s_cselect_b32 s26, s10, 0
	s_cmp_o_f32 s10, s10
	s_wait_alu 0xfffe
	v_mov_b32_e32 v2, s26
	s_delay_alu instid0(VALU_DEP_1) | instskip(NEXT) | instid1(VALU_DEP_1)
	v_bfi_b32 v2, 0x7fffffff, s25, v2
	v_cndmask_b32_e32 v1, v1, v2, vcc_lo
	s_cselect_b32 vcc_lo, -1, 0
	s_wait_alu 0xfffe
	s_delay_alu instid0(VALU_DEP_1)
	v_cndmask_b32_e32 v50, 0x7fc00000, v1, vcc_lo
.LBB73_4:
	v_bfe_u32 v49, v0, 10, 10
	s_load_b96 s[44:46], s[0:1], 0x70
	v_and_b32_e32 v0, 0x3ff, v0
	s_ashr_i32 s31, s30, 31
	v_mov_b32_e32 v54, 0
	v_lshl_add_u32 v1, ttmp9, 2, v49
	v_lshlrev_b32_e32 v48, 9, v49
	v_lshlrev_b32_e32 v42, 3, v0
	;; [unrolled: 1-line block ×3, first 2 shown]
	s_delay_alu instid0(VALU_DEP_4) | instskip(NEXT) | instid1(VALU_DEP_4)
	v_mul_hi_u32 v2, s20, v1
	v_add_nc_u32_e32 v52, 0x4200, v48
	s_delay_alu instid0(VALU_DEP_2) | instskip(SKIP_3) | instid1(VALU_DEP_1)
	v_add_nc_u32_e32 v2, v1, v2
	s_wait_kmcnt 0x0
	s_mul_i32 s20, s30, s45
	s_ashr_i32 s45, s44, 31
	v_lshrrev_b32_e32 v2, s21, v2
	s_lshr_b64 s[26:27], s[44:45], 2
	s_lshr_b32 s10, s45, 2
	s_wait_alu 0xfffe
	s_ashr_i32 s21, s20, 31
	v_mul_lo_u32 v2, v2, s22
	s_delay_alu instid0(VALU_DEP_1) | instskip(NEXT) | instid1(VALU_DEP_1)
	v_sub_nc_u32_e32 v51, v1, v2
	v_mad_co_u64_u32 v[2:3], null, s26, v51, 0
	s_mul_i32 s26, s28, s46
	s_wait_alu 0xfffe
	s_ashr_i32 s27, s26, 31
	s_wait_alu 0xfffe
	s_add_nc_u64 s[4:5], s[4:5], s[26:27]
	v_mad_co_u64_u32 v[3:4], null, s10, v51, v[3:4]
	s_wait_alu 0xfffe
	s_add_nc_u64 s[4:5], s[4:5], s[20:21]
	v_lshlrev_b32_e32 v4, 4, v0
	s_ashr_i32 s10, s29, 31
	s_mov_b32 s29, 0
	s_cmp_eq_u64 s[14:15], 0
	s_delay_alu instid0(VALU_DEP_2) | instskip(SKIP_1) | instid1(VALU_DEP_1)
	v_lshlrev_b64_e32 v[2:3], 2, v[2:3]
	s_wait_alu 0xfffe
	v_add_co_u32 v2, vcc_lo, s4, v2
	s_wait_alu 0xfffd
	s_delay_alu instid0(VALU_DEP_2)
	v_add_co_ci_u32_e64 v3, null, s5, v3, vcc_lo
	s_mul_u64 s[4:5], s[36:37], s[40:41]
	v_add_co_u32 v6, vcc_lo, v2, v4
	s_wait_alu 0xfffd
	v_add_co_ci_u32_e64 v7, null, 0, v3, vcc_lo
	s_clause 0x1
	global_load_b128 v[2:5], v[6:7], off
	global_load_b128 v[6:9], v[6:7], off offset:512
	s_wait_loadcnt 0x1
	v_fma_mixlo_f16 v2, s24, v2, 0
	v_fma_mixlo_f16 v3, s24, v3, 0
	s_wait_loadcnt 0x0
	v_fma_mixlo_f16 v6, s24, v6, 0
	v_fma_mixlo_f16 v7, s24, v7, 0
	;; [unrolled: 1-line block ×6, first 2 shown]
	v_lshlrev_b32_e32 v3, 16, v3
	v_and_b32_e32 v2, 0xffff, v2
	v_lshlrev_b32_e32 v7, 16, v7
	v_and_b32_e32 v6, 0xffff, v6
	;; [unrolled: 2-line block ×4, first 2 shown]
	v_or_b32_e32 v2, v3, v2
	v_or_b32_e32 v6, v7, v6
	v_add_nc_u32_e32 v7, v52, v42
	v_or3_b32 v3, v5, v4, 0
	v_or3_b32 v5, v9, v8, 0
	;; [unrolled: 1-line block ×4, first 2 shown]
	ds_store_2addr_b64 v7, v[2:3], v[4:5] offset1:32
	s_wait_dscnt 0x0
	s_barrier_signal -1
	s_barrier_wait -1
	global_inv scope:SCOPE_SE
	s_cbranch_scc1 .LBB73_6
; %bb.5:
	s_load_b32 s2, s[0:1], 0xd0
	s_mov_b32 s21, s29
	s_wait_kmcnt 0x0
	s_mul_i32 s2, s2, s28
	s_delay_alu instid0(SALU_CYCLE_1)
	s_add_co_i32 s20, s2, ttmp9
	s_wait_alu 0xfffe
	s_lshl_b64 s[20:21], s[20:21], 2
	s_wait_alu 0xfffe
	s_add_nc_u64 s[14:15], s[14:15], s[20:21]
	s_load_b32 s2, s[14:15], 0x0
.LBB73_6:
	s_clause 0x2
	s_load_b64 s[14:15], s[0:1], 0x8c
	s_load_b128 s[24:27], s[0:1], 0x98
	s_load_b64 s[20:21], s[0:1], 0xa8
	s_mul_i32 s4, s5, s3
	s_ashr_i32 s33, s39, 1
	s_wait_alu 0xfffe
	s_sub_co_i32 s36, s36, s4
	s_xor_b32 s37, s31, s10
	s_add_co_i32 s10, s5, 1
	s_sub_co_i32 s38, s36, s3
	v_lshlrev_b32_e32 v47, 2, v40
	v_mul_u32_u24_e32 v53, 0x210, v0
	v_mbcnt_lo_u32_b32 v41, -1, 0
	s_wait_kmcnt 0x0
	s_ashr_i32 s4, s14, 2
	s_ashr_i32 s14, s26, 2
	s_cmp_ge_u32 s36, s3
	s_mul_u64 s[20:21], s[20:21], s[28:29]
	s_wait_alu 0xfffe
	s_cselect_b32 s5, s10, s5
	s_cselect_b32 s10, s38, s36
	s_add_nc_u64 s[8:9], s[8:9], s[20:21]
	s_wait_alu 0xfffe
	s_add_co_i32 s20, s5, 1
	s_cmp_ge_u32 s10, s3
	v_mul_lo_u32 v5, s4, v49
	v_mul_lo_u32 v2, s14, v49
	s_wait_alu 0xfffe
	s_cselect_b32 s5, s20, s5
	s_mul_u64 s[24:25], s[24:25], s[28:29]
	s_wait_alu 0xfffe
	s_xor_b32 s5, s5, s37
	s_add_nc_u64 s[6:7], s[6:7], s[24:25]
	s_wait_alu 0xfffe
	s_sub_co_i32 s5, s5, s37
	s_and_b32 s10, ttmp7, 0xffff
	s_wait_alu 0xfffe
	s_mul_i32 s20, s5, s15
	s_mul_i32 s24, s5, s27
	v_ashrrev_i32_e32 v6, 31, v5
	v_ashrrev_i32_e32 v3, 31, v2
	s_sub_co_i32 s3, s2, 32
	s_lshl_b32 s26, s10, 5
	s_wait_alu 0xfffe
	s_ashr_i32 s21, s20, 31
	s_ashr_i32 s25, s24, 31
	s_cmp_ge_i32 s26, s3
	s_wait_alu 0xfffe
	s_add_nc_u64 s[6:7], s[6:7], s[20:21]
	s_add_nc_u64 s[20:21], s[8:9], s[24:25]
	s_cbranch_scc1 .LBB73_17
; %bb.7:
	s_lshl_b32 s8, s4, 2
	s_ashr_i32 s5, s4, 31
	s_cmp_lg_u64 s[34:35], 0
	v_dual_mov_b32 v75, 0xfeffffff :: v_dual_add_nc_u32 v10, s8, v5
	s_cselect_b32 s24, -1, 0
	s_lshl_b32 s9, s14, 2
	s_delay_alu instid0(VALU_DEP_1)
	v_dual_mov_b32 v45, 0 :: v_dual_add_nc_u32 v12, s8, v10
	s_wait_alu 0xfffe
	v_add_nc_u32_e32 v26, s9, v2
	v_ashrrev_i32_e32 v11, 31, v10
	v_mad_u32_u24 v55, 0x210, v49, v47
	v_dual_mov_b32 v43, 0 :: v_dual_add_nc_u32 v14, s8, v12
	s_delay_alu instid0(VALU_DEP_4)
	v_add_nc_u32_e32 v28, s9, v26
	v_ashrrev_i32_e32 v13, 31, v12
	v_ashrrev_i32_e32 v27, 31, v26
	v_lshl_add_u32 v56, v49, 6, 0x4a00
	v_add_nc_u32_e32 v16, s8, v14
	v_add_nc_u32_e32 v30, s9, v28
	v_ashrrev_i32_e32 v15, 31, v14
	v_ashrrev_i32_e32 v29, 31, v28
	v_lshl_add_u32 v4, v49, 9, v47
	v_add_nc_u32_e32 v18, s8, v16
	v_add_nc_u32_e32 v32, s9, v30
	v_ashrrev_i32_e32 v17, 31, v16
	v_ashrrev_i32_e32 v31, 31, v30
	v_mad_co_u64_u32 v[7:8], null, v51, s33, v[0:1]
	s_delay_alu instid0(VALU_DEP_4)
	v_add_nc_u32_e32 v34, s9, v32
	v_add_nc_u32_e32 v20, s8, v18
	v_ashrrev_i32_e32 v19, 31, v18
	v_ashrrev_i32_e32 v33, 31, v32
	v_lshlrev_b64_e32 v[8:9], 2, v[5:6]
	v_add_nc_u32_e32 v36, s9, v34
	v_add_nc_u32_e32 v22, s8, v20
	v_ashrrev_i32_e32 v21, 31, v20
	v_ashrrev_i32_e32 v35, 31, v34
	v_lshlrev_b64_e32 v[10:11], 2, v[10:11]
	v_add_nc_u32_e32 v38, s9, v36
	v_ashrrev_i32_e32 v23, 31, v22
	v_ashrrev_i32_e32 v37, 31, v36
	v_lshlrev_b64_e32 v[12:13], 2, v[12:13]
	v_lshlrev_b64_e32 v[14:15], 2, v[14:15]
	v_ashrrev_i32_e32 v39, 31, v38
	v_lshlrev_b64_e32 v[16:17], 2, v[16:17]
	v_lshlrev_b64_e32 v[18:19], 2, v[18:19]
	;; [unrolled: 1-line block ×12, first 2 shown]
	v_dual_mov_b32 v74, 0 :: v_dual_add_nc_u32 v57, v48, v47
	v_add_nc_u32_e32 v58, 0x840, v55
	v_dual_mov_b32 v46, 0 :: v_dual_add_nc_u32 v59, 0x1080, v55
	v_add_nc_u32_e32 v60, 0x18c0, v55
	;; [unrolled: 2-line block ×3, first 2 shown]
	v_add_nc_u32_e32 v63, 0x3180, v55
	v_add_nc_u32_e32 v64, 0x39c0, v55
	v_lshl_add_u32 v65, v0, 1, v56
	v_add_nc_u32_e32 v66, 0x800, v4
	v_add_nc_u32_e32 v67, 0x1000, v4
	;; [unrolled: 1-line block ×7, first 2 shown]
	v_mbcnt_lo_u32_b32 v73, -1, 0
	s_ashr_i32 s15, s14, 31
	s_add_nc_u64 s[8:9], s[0:1], 0xd0
	s_mov_b32 s25, 0xbbbac73d
.LBB73_8:                               ; =>This Inner Loop Header: Depth=1
	s_ashr_i32 s27, s26, 31
	s_wait_alu 0xfffe
	s_mul_u64 s[36:37], s[26:27], s[4:5]
	s_wait_alu 0xfffe
	s_lshl_b64 s[36:37], s[36:37], 2
	s_wait_alu 0xfffe
	s_add_nc_u64 s[36:37], s[6:7], s[36:37]
	s_wait_alu 0xfffe
	v_add_co_u32 v4, vcc_lo, s36, v8
	s_wait_alu 0xfffd
	v_add_co_ci_u32_e64 v54, null, s37, v9, vcc_lo
	v_add_co_u32 v78, vcc_lo, s36, v10
	s_wait_alu 0xfffd
	v_add_co_ci_u32_e64 v79, null, s37, v11, vcc_lo
	;; [unrolled: 3-line block ×16, first 2 shown]
	s_clause 0x7
	global_load_b128 v[76:79], v[76:77], off
	global_load_b128 v[80:83], v[80:81], off
	;; [unrolled: 1-line block ×8, first 2 shown]
	v_mov_b32_e32 v4, 0
	s_wait_loadcnt 0x7
	ds_store_b128 v55, v[76:79]
	s_wait_loadcnt 0x6
	ds_store_b128 v58, v[80:83]
	;; [unrolled: 2-line block ×8, first 2 shown]
	s_wait_dscnt 0x0
	s_barrier_signal -1
	s_barrier_wait -1
	global_inv scope:SCOPE_SE
	ds_load_b128 v[76:79], v53
	ds_load_b128 v[80:83], v52
	s_wait_dscnt 0x0
	;;#ASMSTART
	v_dot2_f32_f16 v4, v76, v80, v4
	;;#ASMEND
	;;#ASMSTART
	v_dot2_f32_f16 v4, v77, v81, v4
	;;#ASMEND
	;;#ASMSTART
	v_dot2_f32_f16 v4, v78, v82, v4
	;;#ASMEND
	;;#ASMSTART
	v_dot2_f32_f16 v4, v79, v83, v4
	;;#ASMEND
	ds_load_b128 v[76:79], v53 offset:16
	ds_load_b128 v[80:83], v52 offset:16
	s_wait_dscnt 0x0
	;;#ASMSTART
	v_dot2_f32_f16 v4, v76, v80, v4
	;;#ASMEND
	;;#ASMSTART
	v_dot2_f32_f16 v4, v77, v81, v4
	;;#ASMEND
	;;#ASMSTART
	v_dot2_f32_f16 v4, v78, v82, v4
	;;#ASMEND
	;;#ASMSTART
	v_dot2_f32_f16 v4, v79, v83, v4
	;;#ASMEND
	ds_load_b128 v[76:79], v53 offset:32
	ds_load_b128 v[80:83], v52 offset:32
	s_wait_dscnt 0x0
	;;#ASMSTART
	v_dot2_f32_f16 v4, v76, v80, v4
	;;#ASMEND
	;;#ASMSTART
	v_dot2_f32_f16 v4, v77, v81, v4
	;;#ASMEND
	;;#ASMSTART
	v_dot2_f32_f16 v4, v78, v82, v4
	;;#ASMEND
	;;#ASMSTART
	v_dot2_f32_f16 v4, v79, v83, v4
	;;#ASMEND
	ds_load_b128 v[76:79], v53 offset:48
	ds_load_b128 v[80:83], v52 offset:48
	s_wait_dscnt 0x0
	;;#ASMSTART
	v_dot2_f32_f16 v4, v76, v80, v4
	;;#ASMEND
	;;#ASMSTART
	v_dot2_f32_f16 v4, v77, v81, v4
	;;#ASMEND
	;;#ASMSTART
	v_dot2_f32_f16 v4, v78, v82, v4
	;;#ASMEND
	;;#ASMSTART
	v_dot2_f32_f16 v4, v79, v83, v4
	;;#ASMEND
	ds_load_b128 v[76:79], v53 offset:64
	ds_load_b128 v[80:83], v52 offset:64
	s_wait_dscnt 0x0
	;;#ASMSTART
	v_dot2_f32_f16 v4, v76, v80, v4
	;;#ASMEND
	;;#ASMSTART
	v_dot2_f32_f16 v4, v77, v81, v4
	;;#ASMEND
	;;#ASMSTART
	v_dot2_f32_f16 v4, v78, v82, v4
	;;#ASMEND
	;;#ASMSTART
	v_dot2_f32_f16 v4, v79, v83, v4
	;;#ASMEND
	ds_load_b128 v[76:79], v53 offset:80
	ds_load_b128 v[80:83], v52 offset:80
	s_wait_dscnt 0x0
	;;#ASMSTART
	v_dot2_f32_f16 v4, v76, v80, v4
	;;#ASMEND
	;;#ASMSTART
	v_dot2_f32_f16 v4, v77, v81, v4
	;;#ASMEND
	;;#ASMSTART
	v_dot2_f32_f16 v4, v78, v82, v4
	;;#ASMEND
	;;#ASMSTART
	v_dot2_f32_f16 v4, v79, v83, v4
	;;#ASMEND
	ds_load_b128 v[76:79], v53 offset:96
	ds_load_b128 v[80:83], v52 offset:96
	s_wait_dscnt 0x0
	;;#ASMSTART
	v_dot2_f32_f16 v4, v76, v80, v4
	;;#ASMEND
	;;#ASMSTART
	v_dot2_f32_f16 v4, v77, v81, v4
	;;#ASMEND
	;;#ASMSTART
	v_dot2_f32_f16 v4, v78, v82, v4
	;;#ASMEND
	;;#ASMSTART
	v_dot2_f32_f16 v4, v79, v83, v4
	;;#ASMEND
	ds_load_b128 v[76:79], v53 offset:112
	ds_load_b128 v[80:83], v52 offset:112
	s_wait_dscnt 0x0
	;;#ASMSTART
	v_dot2_f32_f16 v4, v76, v80, v4
	;;#ASMEND
	;;#ASMSTART
	v_dot2_f32_f16 v4, v77, v81, v4
	;;#ASMEND
	;;#ASMSTART
	v_dot2_f32_f16 v4, v78, v82, v4
	;;#ASMEND
	;;#ASMSTART
	v_dot2_f32_f16 v4, v79, v83, v4
	;;#ASMEND
	ds_load_b128 v[76:79], v53 offset:128
	ds_load_b128 v[80:83], v52 offset:128
	s_wait_dscnt 0x0
	;;#ASMSTART
	v_dot2_f32_f16 v4, v76, v80, v4
	;;#ASMEND
	;;#ASMSTART
	v_dot2_f32_f16 v4, v77, v81, v4
	;;#ASMEND
	;;#ASMSTART
	v_dot2_f32_f16 v4, v78, v82, v4
	;;#ASMEND
	;;#ASMSTART
	v_dot2_f32_f16 v4, v79, v83, v4
	;;#ASMEND
	ds_load_b128 v[76:79], v53 offset:144
	ds_load_b128 v[80:83], v52 offset:144
	s_wait_dscnt 0x0
	;;#ASMSTART
	v_dot2_f32_f16 v4, v76, v80, v4
	;;#ASMEND
	;;#ASMSTART
	v_dot2_f32_f16 v4, v77, v81, v4
	;;#ASMEND
	;;#ASMSTART
	v_dot2_f32_f16 v4, v78, v82, v4
	;;#ASMEND
	;;#ASMSTART
	v_dot2_f32_f16 v4, v79, v83, v4
	;;#ASMEND
	ds_load_b128 v[76:79], v53 offset:160
	ds_load_b128 v[80:83], v52 offset:160
	s_wait_dscnt 0x0
	;;#ASMSTART
	v_dot2_f32_f16 v4, v76, v80, v4
	;;#ASMEND
	;;#ASMSTART
	v_dot2_f32_f16 v4, v77, v81, v4
	;;#ASMEND
	;;#ASMSTART
	v_dot2_f32_f16 v4, v78, v82, v4
	;;#ASMEND
	;;#ASMSTART
	v_dot2_f32_f16 v4, v79, v83, v4
	;;#ASMEND
	ds_load_b128 v[76:79], v53 offset:176
	ds_load_b128 v[80:83], v52 offset:176
	s_wait_dscnt 0x0
	;;#ASMSTART
	v_dot2_f32_f16 v4, v76, v80, v4
	;;#ASMEND
	;;#ASMSTART
	v_dot2_f32_f16 v4, v77, v81, v4
	;;#ASMEND
	;;#ASMSTART
	v_dot2_f32_f16 v4, v78, v82, v4
	;;#ASMEND
	;;#ASMSTART
	v_dot2_f32_f16 v4, v79, v83, v4
	;;#ASMEND
	ds_load_b128 v[76:79], v53 offset:192
	ds_load_b128 v[80:83], v52 offset:192
	s_wait_dscnt 0x0
	;;#ASMSTART
	v_dot2_f32_f16 v4, v76, v80, v4
	;;#ASMEND
	;;#ASMSTART
	v_dot2_f32_f16 v4, v77, v81, v4
	;;#ASMEND
	;;#ASMSTART
	v_dot2_f32_f16 v4, v78, v82, v4
	;;#ASMEND
	;;#ASMSTART
	v_dot2_f32_f16 v4, v79, v83, v4
	;;#ASMEND
	ds_load_b128 v[76:79], v53 offset:208
	ds_load_b128 v[80:83], v52 offset:208
	s_wait_dscnt 0x0
	;;#ASMSTART
	v_dot2_f32_f16 v4, v76, v80, v4
	;;#ASMEND
	;;#ASMSTART
	v_dot2_f32_f16 v4, v77, v81, v4
	;;#ASMEND
	;;#ASMSTART
	v_dot2_f32_f16 v4, v78, v82, v4
	;;#ASMEND
	;;#ASMSTART
	v_dot2_f32_f16 v4, v79, v83, v4
	;;#ASMEND
	ds_load_b128 v[76:79], v53 offset:224
	ds_load_b128 v[80:83], v52 offset:224
	s_wait_dscnt 0x0
	;;#ASMSTART
	v_dot2_f32_f16 v4, v76, v80, v4
	;;#ASMEND
	;;#ASMSTART
	v_dot2_f32_f16 v4, v77, v81, v4
	;;#ASMEND
	;;#ASMSTART
	v_dot2_f32_f16 v4, v78, v82, v4
	;;#ASMEND
	;;#ASMSTART
	v_dot2_f32_f16 v4, v79, v83, v4
	;;#ASMEND
	ds_load_b128 v[76:79], v53 offset:240
	ds_load_b128 v[80:83], v52 offset:240
	s_wait_dscnt 0x0
	;;#ASMSTART
	v_dot2_f32_f16 v4, v76, v80, v4
	;;#ASMEND
	;;#ASMSTART
	v_dot2_f32_f16 v4, v77, v81, v4
	;;#ASMEND
	;;#ASMSTART
	v_dot2_f32_f16 v4, v78, v82, v4
	;;#ASMEND
	;;#ASMSTART
	v_dot2_f32_f16 v4, v79, v83, v4
	;;#ASMEND
	ds_load_b128 v[76:79], v53 offset:256
	ds_load_b128 v[80:83], v52 offset:256
	s_wait_dscnt 0x0
	;;#ASMSTART
	v_dot2_f32_f16 v4, v76, v80, v4
	;;#ASMEND
	;;#ASMSTART
	v_dot2_f32_f16 v4, v77, v81, v4
	;;#ASMEND
	;;#ASMSTART
	v_dot2_f32_f16 v4, v78, v82, v4
	;;#ASMEND
	;;#ASMSTART
	v_dot2_f32_f16 v4, v79, v83, v4
	;;#ASMEND
	ds_load_b128 v[76:79], v53 offset:272
	ds_load_b128 v[80:83], v52 offset:272
	s_wait_dscnt 0x0
	;;#ASMSTART
	v_dot2_f32_f16 v4, v76, v80, v4
	;;#ASMEND
	;;#ASMSTART
	v_dot2_f32_f16 v4, v77, v81, v4
	;;#ASMEND
	;;#ASMSTART
	v_dot2_f32_f16 v4, v78, v82, v4
	;;#ASMEND
	;;#ASMSTART
	v_dot2_f32_f16 v4, v79, v83, v4
	;;#ASMEND
	ds_load_b128 v[76:79], v53 offset:288
	ds_load_b128 v[80:83], v52 offset:288
	s_wait_dscnt 0x0
	;;#ASMSTART
	v_dot2_f32_f16 v4, v76, v80, v4
	;;#ASMEND
	;;#ASMSTART
	v_dot2_f32_f16 v4, v77, v81, v4
	;;#ASMEND
	;;#ASMSTART
	v_dot2_f32_f16 v4, v78, v82, v4
	;;#ASMEND
	;;#ASMSTART
	v_dot2_f32_f16 v4, v79, v83, v4
	;;#ASMEND
	ds_load_b128 v[76:79], v53 offset:304
	ds_load_b128 v[80:83], v52 offset:304
	s_wait_dscnt 0x0
	;;#ASMSTART
	v_dot2_f32_f16 v4, v76, v80, v4
	;;#ASMEND
	;;#ASMSTART
	v_dot2_f32_f16 v4, v77, v81, v4
	;;#ASMEND
	;;#ASMSTART
	v_dot2_f32_f16 v4, v78, v82, v4
	;;#ASMEND
	;;#ASMSTART
	v_dot2_f32_f16 v4, v79, v83, v4
	;;#ASMEND
	ds_load_b128 v[76:79], v53 offset:320
	ds_load_b128 v[80:83], v52 offset:320
	s_wait_dscnt 0x0
	;;#ASMSTART
	v_dot2_f32_f16 v4, v76, v80, v4
	;;#ASMEND
	;;#ASMSTART
	v_dot2_f32_f16 v4, v77, v81, v4
	;;#ASMEND
	;;#ASMSTART
	v_dot2_f32_f16 v4, v78, v82, v4
	;;#ASMEND
	;;#ASMSTART
	v_dot2_f32_f16 v4, v79, v83, v4
	;;#ASMEND
	ds_load_b128 v[76:79], v53 offset:336
	ds_load_b128 v[80:83], v52 offset:336
	s_wait_dscnt 0x0
	;;#ASMSTART
	v_dot2_f32_f16 v4, v76, v80, v4
	;;#ASMEND
	;;#ASMSTART
	v_dot2_f32_f16 v4, v77, v81, v4
	;;#ASMEND
	;;#ASMSTART
	v_dot2_f32_f16 v4, v78, v82, v4
	;;#ASMEND
	;;#ASMSTART
	v_dot2_f32_f16 v4, v79, v83, v4
	;;#ASMEND
	ds_load_b128 v[76:79], v53 offset:352
	ds_load_b128 v[80:83], v52 offset:352
	s_wait_dscnt 0x0
	;;#ASMSTART
	v_dot2_f32_f16 v4, v76, v80, v4
	;;#ASMEND
	;;#ASMSTART
	v_dot2_f32_f16 v4, v77, v81, v4
	;;#ASMEND
	;;#ASMSTART
	v_dot2_f32_f16 v4, v78, v82, v4
	;;#ASMEND
	;;#ASMSTART
	v_dot2_f32_f16 v4, v79, v83, v4
	;;#ASMEND
	ds_load_b128 v[76:79], v53 offset:368
	ds_load_b128 v[80:83], v52 offset:368
	s_wait_dscnt 0x0
	;;#ASMSTART
	v_dot2_f32_f16 v4, v76, v80, v4
	;;#ASMEND
	;;#ASMSTART
	v_dot2_f32_f16 v4, v77, v81, v4
	;;#ASMEND
	;;#ASMSTART
	v_dot2_f32_f16 v4, v78, v82, v4
	;;#ASMEND
	;;#ASMSTART
	v_dot2_f32_f16 v4, v79, v83, v4
	;;#ASMEND
	ds_load_b128 v[76:79], v53 offset:384
	ds_load_b128 v[80:83], v52 offset:384
	s_wait_dscnt 0x0
	;;#ASMSTART
	v_dot2_f32_f16 v4, v76, v80, v4
	;;#ASMEND
	;;#ASMSTART
	v_dot2_f32_f16 v4, v77, v81, v4
	;;#ASMEND
	;;#ASMSTART
	v_dot2_f32_f16 v4, v78, v82, v4
	;;#ASMEND
	;;#ASMSTART
	v_dot2_f32_f16 v4, v79, v83, v4
	;;#ASMEND
	ds_load_b128 v[76:79], v53 offset:400
	ds_load_b128 v[80:83], v52 offset:400
	s_wait_dscnt 0x0
	;;#ASMSTART
	v_dot2_f32_f16 v4, v76, v80, v4
	;;#ASMEND
	;;#ASMSTART
	v_dot2_f32_f16 v4, v77, v81, v4
	;;#ASMEND
	;;#ASMSTART
	v_dot2_f32_f16 v4, v78, v82, v4
	;;#ASMEND
	;;#ASMSTART
	v_dot2_f32_f16 v4, v79, v83, v4
	;;#ASMEND
	ds_load_b128 v[76:79], v53 offset:416
	ds_load_b128 v[80:83], v52 offset:416
	s_wait_dscnt 0x0
	;;#ASMSTART
	v_dot2_f32_f16 v4, v76, v80, v4
	;;#ASMEND
	;;#ASMSTART
	v_dot2_f32_f16 v4, v77, v81, v4
	;;#ASMEND
	;;#ASMSTART
	v_dot2_f32_f16 v4, v78, v82, v4
	;;#ASMEND
	;;#ASMSTART
	v_dot2_f32_f16 v4, v79, v83, v4
	;;#ASMEND
	ds_load_b128 v[76:79], v53 offset:432
	ds_load_b128 v[80:83], v52 offset:432
	s_wait_dscnt 0x0
	;;#ASMSTART
	v_dot2_f32_f16 v4, v76, v80, v4
	;;#ASMEND
	;;#ASMSTART
	v_dot2_f32_f16 v4, v77, v81, v4
	;;#ASMEND
	;;#ASMSTART
	v_dot2_f32_f16 v4, v78, v82, v4
	;;#ASMEND
	;;#ASMSTART
	v_dot2_f32_f16 v4, v79, v83, v4
	;;#ASMEND
	ds_load_b128 v[76:79], v53 offset:448
	ds_load_b128 v[80:83], v52 offset:448
	s_wait_dscnt 0x0
	;;#ASMSTART
	v_dot2_f32_f16 v4, v76, v80, v4
	;;#ASMEND
	;;#ASMSTART
	v_dot2_f32_f16 v4, v77, v81, v4
	;;#ASMEND
	;;#ASMSTART
	v_dot2_f32_f16 v4, v78, v82, v4
	;;#ASMEND
	;;#ASMSTART
	v_dot2_f32_f16 v4, v79, v83, v4
	;;#ASMEND
	ds_load_b128 v[76:79], v53 offset:464
	ds_load_b128 v[80:83], v52 offset:464
	s_wait_dscnt 0x0
	;;#ASMSTART
	v_dot2_f32_f16 v4, v76, v80, v4
	;;#ASMEND
	;;#ASMSTART
	v_dot2_f32_f16 v4, v77, v81, v4
	;;#ASMEND
	;;#ASMSTART
	v_dot2_f32_f16 v4, v78, v82, v4
	;;#ASMEND
	;;#ASMSTART
	v_dot2_f32_f16 v4, v79, v83, v4
	;;#ASMEND
	ds_load_b128 v[76:79], v53 offset:480
	ds_load_b128 v[80:83], v52 offset:480
	s_wait_dscnt 0x0
	;;#ASMSTART
	v_dot2_f32_f16 v4, v76, v80, v4
	;;#ASMEND
	;;#ASMSTART
	v_dot2_f32_f16 v4, v77, v81, v4
	;;#ASMEND
	;;#ASMSTART
	v_dot2_f32_f16 v4, v78, v82, v4
	;;#ASMEND
	;;#ASMSTART
	v_dot2_f32_f16 v4, v79, v83, v4
	;;#ASMEND
	ds_load_b128 v[76:79], v53 offset:496
	ds_load_b128 v[80:83], v52 offset:496
	s_wait_dscnt 0x0
	;;#ASMSTART
	v_dot2_f32_f16 v4, v76, v80, v4
	;;#ASMEND
	;;#ASMSTART
	v_dot2_f32_f16 v4, v77, v81, v4
	;;#ASMEND
	;; [unrolled: 3-line block ×4, first 2 shown]
	v_cmp_ngt_f32_e64 s29, 0x3f200000, |v4|
                                        ; implicit-def: $vgpr76
	s_and_saveexec_b32 s36, s29
	s_wait_alu 0xfffe
	s_xor_b32 s29, exec_lo, s36
	s_cbranch_execnz .LBB73_12
; %bb.9:                                ;   in Loop: Header=BB73_8 Depth=1
	s_and_not1_saveexec_b32 s29, s29
	s_cbranch_execnz .LBB73_13
.LBB73_10:                              ;   in Loop: Header=BB73_8 Depth=1
	s_or_b32 exec_lo, exec_lo, s29
	s_delay_alu instid0(SALU_CYCLE_1)
	s_and_not1_b32 vcc_lo, exec_lo, s24
	s_wait_alu 0xfffe
	s_cbranch_vccnz .LBB73_14
.LBB73_11:                              ;   in Loop: Header=BB73_8 Depth=1
	v_add_nc_u32_e32 v77, s26, v7
	s_delay_alu instid0(VALU_DEP_1) | instskip(NEXT) | instid1(VALU_DEP_1)
	v_ashrrev_i32_e32 v78, 31, v77
	v_lshlrev_b64_e32 v[77:78], 1, v[77:78]
	s_delay_alu instid0(VALU_DEP_1) | instskip(SKIP_1) | instid1(VALU_DEP_2)
	v_add_co_u32 v77, vcc_lo, s34, v77
	s_wait_alu 0xfffd
	v_add_co_ci_u32_e64 v78, null, s35, v78, vcc_lo
	global_load_u16 v54, v[77:78], off
	s_wait_loadcnt 0x0
	v_cvt_f32_f16_e32 v54, v54
	s_delay_alu instid0(VALU_DEP_1)
	v_mul_f32_e32 v54, v50, v54
	s_branch .LBB73_15
.LBB73_12:                              ;   in Loop: Header=BB73_8 Depth=1
	v_add_f32_e64 v54, |v4|, |v4|
	s_delay_alu instid0(VALU_DEP_1) | instskip(SKIP_1) | instid1(VALU_DEP_2)
	v_mul_f32_e32 v76, 0x3fb8aa3b, v54
	v_cmp_ngt_f32_e32 vcc_lo, 0xc2ce8ed0, v54
	v_rndne_f32_e32 v77, v76
	v_fma_f32 v78, 0x3fb8aa3b, v54, -v76
	s_delay_alu instid0(VALU_DEP_2) | instskip(NEXT) | instid1(VALU_DEP_2)
	v_sub_f32_e32 v76, v76, v77
	v_fmac_f32_e32 v78, 0x32a5705f, v54
	v_cvt_i32_f32_e32 v77, v77
	s_delay_alu instid0(VALU_DEP_2) | instskip(NEXT) | instid1(VALU_DEP_1)
	v_add_f32_e32 v76, v76, v78
	v_exp_f32_e32 v76, v76
	s_delay_alu instid0(TRANS32_DEP_1) | instskip(SKIP_1) | instid1(VALU_DEP_1)
	v_ldexp_f32 v76, v76, v77
	s_wait_alu 0xfffd
	v_cndmask_b32_e32 v76, 0, v76, vcc_lo
	v_cmp_nlt_f32_e32 vcc_lo, 0x42b17218, v54
	s_wait_alu 0xfffd
	s_delay_alu instid0(VALU_DEP_2) | instskip(NEXT) | instid1(VALU_DEP_1)
	v_cndmask_b32_e32 v54, 0x7f800000, v76, vcc_lo
	v_add_f32_e32 v54, 1.0, v54
	s_delay_alu instid0(VALU_DEP_1) | instskip(NEXT) | instid1(TRANS32_DEP_1)
	v_rcp_f32_e32 v54, v54
	v_fma_f32 v76, v54, -2.0, 1.0
	s_and_not1_saveexec_b32 s29, s29
	s_cbranch_execz .LBB73_10
.LBB73_13:                              ;   in Loop: Header=BB73_8 Depth=1
	v_mul_f32_e32 v54, v4, v4
	s_delay_alu instid0(VALU_DEP_1) | instskip(NEXT) | instid1(VALU_DEP_1)
	v_fmaak_f32 v76, s25, v54, 0x3ca908c9
	v_fmaak_f32 v76, v54, v76, 0xbd5c1c4e
	s_delay_alu instid0(VALU_DEP_1) | instskip(NEXT) | instid1(VALU_DEP_1)
	v_fmaak_f32 v76, v54, v76, 0x3e088382
	v_fmaak_f32 v76, v54, v76, 0xbeaaaa99
	s_delay_alu instid0(VALU_DEP_1) | instskip(NEXT) | instid1(VALU_DEP_1)
	v_mul_f32_e64 v76, |v4|, v76
	v_fma_f32 v76, v54, v76, |v4|
	s_or_b32 exec_lo, exec_lo, s29
	s_delay_alu instid0(SALU_CYCLE_1)
	s_and_not1_b32 vcc_lo, exec_lo, s24
	s_wait_alu 0xfffe
	s_cbranch_vccz .LBB73_11
.LBB73_14:                              ;   in Loop: Header=BB73_8 Depth=1
	v_mov_b32_e32 v54, 0
.LBB73_15:                              ;   in Loop: Header=BB73_8 Depth=1
	s_mul_u64 s[36:37], s[26:27], s[14:15]
	s_wait_loadcnt 0x0
	s_wait_alu 0xfffe
	s_lshl_b64 s[36:37], s[36:37], 2
	s_barrier_signal -1
	s_wait_alu 0xfffe
	s_add_nc_u64 s[36:37], s[20:21], s[36:37]
	s_barrier_wait -1
	s_wait_alu 0xfffe
	v_add_co_u32 v77, vcc_lo, s36, v24
	s_wait_alu 0xfffd
	v_add_co_ci_u32_e64 v78, null, s37, v25, vcc_lo
	v_add_co_u32 v79, vcc_lo, s36, v26
	s_wait_alu 0xfffd
	v_add_co_ci_u32_e64 v80, null, s37, v27, vcc_lo
	;; [unrolled: 3-line block ×16, first 2 shown]
	global_inv scope:SCOPE_SE
	s_clause 0x7
	global_load_b128 v[77:80], v[77:78], off
	global_load_b128 v[81:84], v[81:82], off
	;; [unrolled: 1-line block ×8, first 2 shown]
	v_bfi_b32 v4, 0x7fffffff, v76, v4
	v_xor_b32_e32 v76, 16, v73
	v_add_nc_u32_e32 v118, 0x800, v42
	v_add_nc_u32_e32 v134, 0x1000, v42
	;; [unrolled: 1-line block ×3, first 2 shown]
	v_fmac_f32_e32 v54, s11, v4
	v_max_num_f32_e32 v4, v75, v75
	v_cmp_gt_i32_e32 vcc_lo, 32, v76
	v_add_nc_u32_e32 v166, 0x2000, v42
	v_add_nc_u32_e32 v182, 0x2800, v42
	v_add_f32_e32 v109, 0x40051340, v54
	v_add_nc_u32_e32 v198, 0x3000, v42
	s_wait_alu 0xfffd
	v_cndmask_b32_e32 v76, v73, v76, vcc_lo
	v_add_nc_u32_e32 v214, 0x3800, v42
	v_max_num_f32_e32 v4, v4, v109
	v_xor_b32_e32 v109, 8, v73
	s_delay_alu instid0(VALU_DEP_1) | instskip(SKIP_2) | instid1(VALU_DEP_1)
	v_cmp_gt_i32_e32 vcc_lo, 32, v109
	s_wait_alu 0xfffd
	v_cndmask_b32_e32 v109, v73, v109, vcc_lo
	v_lshlrev_b32_e32 v109, 2, v109
	v_lshlrev_b32_e32 v76, 2, v76
	ds_bpermute_b32 v76, v76, v4
	s_wait_dscnt 0x0
	v_max_num_f32_e32 v76, v76, v76
	s_delay_alu instid0(VALU_DEP_1) | instskip(SKIP_2) | instid1(VALU_DEP_1)
	v_max_num_f32_e32 v4, v4, v76
	ds_bpermute_b32 v76, v109, v4
	v_xor_b32_e32 v109, 4, v73
	v_cmp_gt_i32_e32 vcc_lo, 32, v109
	s_wait_alu 0xfffd
	v_cndmask_b32_e32 v109, v73, v109, vcc_lo
	s_wait_dscnt 0x0
	s_delay_alu instid0(VALU_DEP_1) | instskip(NEXT) | instid1(VALU_DEP_1)
	v_dual_max_num_f32 v76, v76, v76 :: v_dual_lshlrev_b32 v109, 2, v109
	v_max_num_f32_e32 v4, v4, v76
	ds_bpermute_b32 v76, v109, v4
	v_xor_b32_e32 v109, 2, v73
	s_delay_alu instid0(VALU_DEP_1) | instskip(SKIP_3) | instid1(VALU_DEP_1)
	v_cmp_gt_i32_e32 vcc_lo, 32, v109
	s_wait_alu 0xfffd
	v_cndmask_b32_e32 v109, v73, v109, vcc_lo
	s_wait_dscnt 0x0
	v_dual_max_num_f32 v76, v76, v76 :: v_dual_lshlrev_b32 v109, 2, v109
	s_delay_alu instid0(VALU_DEP_1) | instskip(SKIP_2) | instid1(VALU_DEP_1)
	v_max_num_f32_e32 v4, v4, v76
	ds_bpermute_b32 v76, v109, v4
	v_xor_b32_e32 v109, 1, v73
	v_cmp_gt_i32_e32 vcc_lo, 32, v109
	s_wait_alu 0xfffd
	v_cndmask_b32_e32 v109, v73, v109, vcc_lo
	s_wait_dscnt 0x0
	s_delay_alu instid0(VALU_DEP_1) | instskip(NEXT) | instid1(VALU_DEP_1)
	v_dual_max_num_f32 v76, v76, v76 :: v_dual_lshlrev_b32 v109, 2, v109
	v_max_num_f32_e32 v4, v4, v76
	ds_bpermute_b32 v76, v109, v4
	s_wait_dscnt 0x0
	v_max_num_f32_e32 v76, v76, v76
	s_delay_alu instid0(VALU_DEP_1) | instskip(NEXT) | instid1(VALU_DEP_1)
	v_max_num_f32_e32 v4, v4, v76
	v_sub_f32_e32 v54, v54, v4
	v_sub_f32_e32 v75, v75, v4
	s_delay_alu instid0(VALU_DEP_2) | instskip(NEXT) | instid1(VALU_DEP_1)
	v_mul_f32_e32 v111, 0x3fb8aa3b, v54
	v_fma_f32 v112, 0x3fb8aa3b, v54, -v111
	v_rndne_f32_e32 v113, v111
	s_delay_alu instid0(VALU_DEP_2) | instskip(SKIP_1) | instid1(VALU_DEP_1)
	v_fmac_f32_e32 v112, 0x32a5705f, v54
	v_mul_f32_e32 v76, 0x3fb8aa3b, v75
	v_fma_f32 v109, 0x3fb8aa3b, v75, -v76
	v_rndne_f32_e32 v110, v76
	s_delay_alu instid0(VALU_DEP_1) | instskip(SKIP_2) | instid1(VALU_DEP_3)
	v_dual_sub_f32 v76, v76, v110 :: v_dual_fmac_f32 v109, 0x32a5705f, v75
	v_cvt_i32_f32_e32 v110, v110
	v_cmp_ngt_f32_e32 vcc_lo, 0xc2ce8ed0, v75
	v_add_f32_e32 v76, v76, v109
	v_sub_f32_e32 v109, v111, v113
	s_delay_alu instid0(VALU_DEP_2) | instskip(NEXT) | instid1(VALU_DEP_1)
	v_exp_f32_e32 v76, v76
	v_add_f32_e32 v109, v109, v112
	s_delay_alu instid0(VALU_DEP_1) | instskip(NEXT) | instid1(TRANS32_DEP_2)
	v_exp_f32_e32 v109, v109
	v_ldexp_f32 v76, v76, v110
	v_cvt_i32_f32_e32 v110, v113
	s_wait_alu 0xfffd
	s_delay_alu instid0(VALU_DEP_2)
	v_cndmask_b32_e32 v76, 0, v76, vcc_lo
	v_cmp_nlt_f32_e32 vcc_lo, 0x42b17218, v75
	s_delay_alu instid0(TRANS32_DEP_1) | instid1(VALU_DEP_3)
	v_ldexp_f32 v109, v109, v110
	s_wait_alu 0xfffd
	s_delay_alu instid0(VALU_DEP_3)
	v_cndmask_b32_e32 v75, 0x7f800000, v76, vcc_lo
	v_cmp_ngt_f32_e32 vcc_lo, 0xc2ce8ed0, v54
	s_wait_alu 0xfffd
	v_cndmask_b32_e32 v76, 0, v109, vcc_lo
	v_cmp_nlt_f32_e32 vcc_lo, 0x42b17218, v54
	v_cvt_f16_f32_e32 v109, v75
	s_wait_alu 0xfffd
	s_delay_alu instid0(VALU_DEP_3) | instskip(NEXT) | instid1(VALU_DEP_2)
	v_cndmask_b32_e32 v54, 0x7f800000, v76, vcc_lo
	v_and_b32_e32 v76, 0xffff, v109
	s_delay_alu instid0(VALU_DEP_2) | instskip(NEXT) | instid1(VALU_DEP_2)
	v_cvt_f16_f32_e32 v109, v54
	v_mul_u32_u24_e32 v218, 0x10001, v76
	v_fmac_f32_e32 v54, v74, v75
	ds_store_b16 v65, v109
	v_pk_mul_f16 v46, v46, v218
	v_pk_mul_f16 v45, v45, v218
	s_wait_loadcnt 0x7
	ds_store_b128 v57, v[77:80]
	s_wait_loadcnt 0x6
	ds_store_b128 v66, v[81:84]
	;; [unrolled: 2-line block ×8, first 2 shown]
	s_wait_dscnt 0x0
	s_barrier_signal -1
	s_barrier_wait -1
	global_inv scope:SCOPE_SE
	ds_load_2addr_b64 v[74:77], v42 offset1:32
	ds_load_b128 v[78:81], v56
	ds_load_b128 v[82:85], v56 offset:16
	ds_load_b128 v[86:89], v56 offset:32
	;; [unrolled: 1-line block ×3, first 2 shown]
	ds_load_2addr_b64 v[94:97], v42 offset0:64 offset1:96
	ds_load_2addr_b64 v[98:101], v42 offset0:128 offset1:160
	ds_load_2addr_b64 v[102:105], v42 offset0:192 offset1:224
	ds_load_2addr_b64 v[106:109], v118 offset1:32
	ds_load_2addr_b64 v[110:113], v118 offset0:64 offset1:96
	ds_load_2addr_b64 v[114:117], v118 offset0:128 offset1:160
	ds_load_2addr_b64 v[118:121], v118 offset0:192 offset1:224
	ds_load_2addr_b64 v[122:125], v134 offset1:32
	;; [unrolled: 4-line block ×7, first 2 shown]
	ds_load_2addr_b64 v[206:209], v214 offset0:64 offset1:96
	ds_load_2addr_b64 v[210:213], v214 offset0:128 offset1:160
	;; [unrolled: 1-line block ×3, first 2 shown]
	s_wait_dscnt 0x22
	v_lshrrev_b32_e32 v219, 16, v78
	v_and_b32_e32 v78, 0xffff, v78
	v_lshrrev_b32_e32 v220, 16, v79
	v_and_b32_e32 v79, 0xffff, v79
	v_lshrrev_b32_e32 v221, 16, v80
	v_mul_u32_u24_e32 v219, 0x10001, v219
	v_mul_u32_u24_e32 v78, 0x10001, v78
	v_and_b32_e32 v80, 0xffff, v80
	v_lshrrev_b32_e32 v222, 16, v81
	v_and_b32_e32 v81, 0xffff, v81
	s_wait_dscnt 0x21
	v_lshrrev_b32_e32 v223, 16, v82
	v_pk_mul_f16 v74, v74, v78
	v_pk_mul_f16 v75, v75, v78
	v_pk_fma_f16 v46, v76, v78, v46
	v_pk_fma_f16 v45, v77, v78, v45
	v_and_b32_e32 v82, 0xffff, v82
	v_pk_fma_f16 v43, v43, v218, v74
	v_pk_fma_f16 v44, v44, v218, v75
	v_mul_u32_u24_e32 v74, 0x10001, v79
	s_wait_dscnt 0x1e
	v_pk_fma_f16 v46, v96, v219, v46
	v_pk_fma_f16 v45, v97, v219, v45
	v_pk_fma_f16 v43, v94, v219, v43
	v_pk_fma_f16 v44, v95, v219, v44
	v_mul_u32_u24_e32 v75, 0x10001, v220
	s_wait_dscnt 0x1d
	v_pk_fma_f16 v46, v100, v74, v46
	v_pk_fma_f16 v45, v101, v74, v45
	;; [unrolled: 6-line block ×7, first 2 shown]
	v_pk_fma_f16 v43, v118, v75, v43
	v_pk_fma_f16 v44, v119, v75, v44
	v_lshrrev_b32_e32 v224, 16, v83
	v_and_b32_e32 v83, 0xffff, v83
	v_mul_u32_u24_e32 v75, 0x10001, v223
	s_wait_dscnt 0x17
	v_pk_fma_f16 v46, v124, v74, v46
	v_pk_fma_f16 v45, v125, v74, v45
	v_pk_fma_f16 v43, v122, v74, v43
	v_pk_fma_f16 v44, v123, v74, v44
	v_mul_u32_u24_e32 v74, 0x10001, v83
	s_wait_dscnt 0x16
	v_pk_fma_f16 v46, v128, v75, v46
	v_pk_fma_f16 v45, v129, v75, v45
	v_pk_fma_f16 v43, v126, v75, v43
	v_pk_fma_f16 v44, v127, v75, v44
	v_lshrrev_b32_e32 v225, 16, v84
	v_and_b32_e32 v84, 0xffff, v84
	v_mul_u32_u24_e32 v75, 0x10001, v224
	s_wait_dscnt 0x15
	v_pk_fma_f16 v46, v132, v74, v46
	v_pk_fma_f16 v45, v133, v74, v45
	v_pk_fma_f16 v43, v130, v74, v43
	v_pk_fma_f16 v44, v131, v74, v44
	v_mul_u32_u24_e32 v74, 0x10001, v84
	s_wait_dscnt 0x14
	v_pk_fma_f16 v46, v136, v75, v46
	v_pk_fma_f16 v45, v137, v75, v45
	;; [unrolled: 14-line block ×9, first 2 shown]
	v_pk_fma_f16 v43, v190, v75, v43
	v_pk_fma_f16 v44, v191, v75, v44
	v_lshrrev_b32_e32 v233, 16, v92
	v_and_b32_e32 v92, 0xffff, v92
	v_mul_u32_u24_e32 v75, 0x10001, v232
	s_wait_dscnt 0x5
	v_pk_fma_f16 v46, v196, v74, v46
	v_pk_fma_f16 v45, v197, v74, v45
	;; [unrolled: 1-line block ×4, first 2 shown]
	s_wait_loadcnt_dscnt 0x0
	s_barrier_signal -1
	s_barrier_wait -1
	global_inv scope:SCOPE_SE
	s_load_b32 s27, s[8:9], 0x4
	v_mul_u32_u24_e32 v74, 0x10001, v92
	v_pk_fma_f16 v46, v200, v75, v46
	v_pk_fma_f16 v45, v201, v75, v45
	;; [unrolled: 1-line block ×4, first 2 shown]
	v_lshrrev_b32_e32 v234, 16, v93
	v_and_b32_e32 v93, 0xffff, v93
	v_mul_u32_u24_e32 v75, 0x10001, v233
	v_pk_fma_f16 v46, v204, v74, v46
	v_pk_fma_f16 v45, v205, v74, v45
	v_pk_fma_f16 v43, v202, v74, v43
	v_pk_fma_f16 v44, v203, v74, v44
	v_mul_u32_u24_e32 v74, 0x10001, v93
	v_pk_fma_f16 v46, v208, v75, v46
	v_pk_fma_f16 v45, v209, v75, v45
	v_pk_fma_f16 v43, v206, v75, v43
	v_pk_fma_f16 v44, v207, v75, v44
	;; [unrolled: 5-line block ×3, first 2 shown]
	s_wait_kmcnt 0x0
	s_lshl_b32 s27, s27, 5
	v_pk_fma_f16 v46, v216, v75, v46
	v_pk_fma_f16 v45, v217, v75, v45
	;; [unrolled: 1-line block ×4, first 2 shown]
	s_wait_alu 0xfffe
	s_add_co_i32 s26, s27, s26
	s_wait_alu 0xfffe
	s_cmp_lt_i32 s26, s3
	s_cbranch_scc0 .LBB73_18
; %bb.16:                               ;   in Loop: Header=BB73_8 Depth=1
	v_dual_mov_b32 v75, v4 :: v_dual_mov_b32 v74, v54
	s_branch .LBB73_8
.LBB73_17:
	v_dual_mov_b32 v43, 0 :: v_dual_mov_b32 v4, 0xfeffffff
	v_dual_mov_b32 v44, 0 :: v_dual_mov_b32 v45, 0
	v_mov_b32_e32 v46, 0
.LBB73_18:
	s_cmp_gt_i32 s2, s26
	s_cbranch_scc1 .LBB73_21
; %bb.19:
	v_mbcnt_lo_u32_b32 v8, -1, 0
	v_mov_b32_e32 v7, 32
	s_delay_alu instid0(VALU_DEP_2)
	v_xor_b32_e32 v14, 16, v8
	v_xor_b32_e32 v12, 8, v8
	;; [unrolled: 1-line block ×5, first 2 shown]
	s_cbranch_execz .LBB73_22
; %bb.20:
	v_mov_b32_e32 v41, v8
	s_branch .LBB73_32
.LBB73_21:
                                        ; implicit-def: $vgpr8
                                        ; implicit-def: $vgpr7
                                        ; implicit-def: $vgpr14
                                        ; implicit-def: $vgpr12
                                        ; implicit-def: $vgpr13
                                        ; implicit-def: $vgpr15
                                        ; implicit-def: $vgpr16
.LBB73_22:
	s_ashr_i32 s27, s26, 31
	s_ashr_i32 s5, s4, 31
	v_lshlrev_b64_e32 v[6:7], 2, v[5:6]
	s_wait_alu 0xfffe
	s_mul_u64 s[24:25], s[26:27], s[4:5]
	s_sub_co_i32 s29, s2, s26
	s_wait_alu 0xfffe
	s_lshl_b64 s[24:25], s[24:25], 2
	s_mov_b32 s36, 0
	s_wait_alu 0xfffe
	s_add_nc_u64 s[24:25], s[6:7], s[24:25]
	s_mov_b64 s[8:9], src_private_base
	s_wait_alu 0xfffe
	v_add_co_u32 v6, vcc_lo, s24, v6
	s_wait_alu 0xfffd
	v_add_co_ci_u32_e64 v7, null, s25, v7, vcc_lo
	s_mov_b32 s37, s36
	v_add_co_u32 v6, vcc_lo, v6, v47
	s_wait_alu 0xfffd
	v_add_co_ci_u32_e64 v7, null, 0, v7, vcc_lo
	v_cmp_gt_i32_e32 vcc_lo, s29, v49
	s_mov_b32 s38, s36
	v_dual_mov_b32 v12, 0 :: v_dual_mov_b32 v17, s36
	s_wait_alu 0xfffe
	v_dual_mov_b32 v18, s37 :: v_dual_mov_b32 v19, s38
	s_wait_alu 0xfffd
	v_cndmask_b32_e32 v7, s9, v7, vcc_lo
	s_lshl_b32 s8, s4, 2
	s_wait_alu 0xfffe
	v_dual_cndmask_b32 v6, 0, v6 :: v_dual_add_nc_u32 v5, s8, v5
	s_clause 0x1
	scratch_store_b32 off, v12, off
	scratch_store_b96 off, v[17:19], off offset:4
	v_mad_u32_u24 v23, 0x210, v49, v47
	s_mov_b32 s15, exec_lo
	flat_load_b128 v[7:10], v[6:7]
	v_ashrrev_i32_e32 v6, 31, v5
	s_clause 0x1
	scratch_store_b32 off, v12, off
	scratch_store_b96 off, v[17:19], off offset:4
	v_add_nc_u32_e32 v20, s8, v5
	v_lshlrev_b64_e32 v[13:14], 2, v[5:6]
	v_add_nc_u32_e32 v6, 4, v49
	s_delay_alu instid0(VALU_DEP_3) | instskip(NEXT) | instid1(VALU_DEP_3)
	v_ashrrev_i32_e32 v21, 31, v20
	v_add_co_u32 v11, s2, s24, v13
	s_delay_alu instid0(VALU_DEP_1) | instskip(NEXT) | instid1(VALU_DEP_2)
	v_add_co_ci_u32_e64 v13, null, s25, v14, s2
	v_add_co_u32 v11, s2, v11, v47
	s_wait_alu 0xf1ff
	s_delay_alu instid0(VALU_DEP_2) | instskip(SKIP_2) | instid1(VALU_DEP_1)
	v_add_co_ci_u32_e64 v13, null, 0, v13, s2
	v_cmp_gt_i32_e64 s2, s29, v6
	s_wait_alu 0xf1ff
	v_cndmask_b32_e64 v14, s9, v13, s2
	v_cndmask_b32_e64 v13, 0, v11, s2
	s_wait_loadcnt_dscnt 0x0
	ds_store_b128 v23, v[7:10]
	flat_load_b128 v[8:11], v[13:14]
	v_lshlrev_b64_e32 v[13:14], 2, v[20:21]
	v_add_nc_u32_e32 v7, 8, v49
	s_clause 0x1
	scratch_store_b32 off, v12, off
	scratch_store_b96 off, v[17:19], off offset:4
	v_add_co_u32 v5, s3, s24, v13
	s_wait_alu 0xf1ff
	v_add_co_ci_u32_e64 v13, null, s25, v14, s3
	s_delay_alu instid0(VALU_DEP_2) | instskip(SKIP_1) | instid1(VALU_DEP_2)
	v_add_co_u32 v5, s3, v5, v47
	s_wait_alu 0xf1ff
	v_add_co_ci_u32_e64 v13, null, 0, v13, s3
	v_cmp_gt_i32_e64 s3, s29, v7
	s_wait_alu 0xf1ff
	s_delay_alu instid0(VALU_DEP_1)
	v_cndmask_b32_e64 v14, s9, v13, s3
	v_cndmask_b32_e64 v13, 0, v5, s3
	s_wait_loadcnt_dscnt 0x0
	ds_store_b128 v23, v[8:11] offset:2112
	flat_load_b128 v[13:16], v[13:14]
	v_add_nc_u32_e32 v9, s8, v20
	v_add_nc_u32_e32 v8, 12, v49
	s_clause 0x1
	scratch_store_b32 off, v12, off
	scratch_store_b96 off, v[17:19], off offset:4
	v_ashrrev_i32_e32 v10, 31, v9
	s_delay_alu instid0(VALU_DEP_1) | instskip(NEXT) | instid1(VALU_DEP_1)
	v_lshlrev_b64_e32 v[10:11], 2, v[9:10]
	v_add_co_u32 v5, s4, s24, v10
	s_wait_alu 0xf1ff
	s_delay_alu instid0(VALU_DEP_2) | instskip(NEXT) | instid1(VALU_DEP_2)
	v_add_co_ci_u32_e64 v10, null, s25, v11, s4
	v_add_co_u32 v5, s4, v5, v47
	s_wait_alu 0xf1ff
	s_delay_alu instid0(VALU_DEP_2) | instskip(SKIP_2) | instid1(VALU_DEP_1)
	v_add_co_ci_u32_e64 v10, null, 0, v10, s4
	v_cmp_gt_i32_e64 s4, s29, v8
	s_wait_alu 0xf1ff
	v_cndmask_b32_e64 v11, s9, v10, s4
	v_cndmask_b32_e64 v10, 0, v5, s4
	s_wait_loadcnt_dscnt 0x0
	ds_store_b128 v23, v[13:16] offset:4224
	flat_load_b128 v[13:16], v[10:11]
	v_add_nc_u32_e32 v10, s8, v9
	v_add_nc_u32_e32 v9, 16, v49
	s_clause 0x1
	scratch_store_b32 off, v12, off
	scratch_store_b96 off, v[17:19], off offset:4
	v_ashrrev_i32_e32 v11, 31, v10
	s_delay_alu instid0(VALU_DEP_1) | instskip(NEXT) | instid1(VALU_DEP_1)
	v_lshlrev_b64_e32 v[20:21], 2, v[10:11]
	v_add_co_u32 v5, s5, s24, v20
	s_wait_alu 0xf1ff
	s_delay_alu instid0(VALU_DEP_2) | instskip(NEXT) | instid1(VALU_DEP_2)
	v_add_co_ci_u32_e64 v11, null, s25, v21, s5
	v_add_co_u32 v5, s5, v5, v47
	s_wait_alu 0xf1ff
	s_delay_alu instid0(VALU_DEP_2) | instskip(SKIP_2) | instid1(VALU_DEP_1)
	v_add_co_ci_u32_e64 v11, null, 0, v11, s5
	v_cmp_gt_i32_e64 s5, s29, v9
	s_wait_alu 0xf1ff
	v_cndmask_b32_e64 v21, s9, v11, s5
	v_cndmask_b32_e64 v20, 0, v5, s5
	s_wait_loadcnt_dscnt 0x0
	ds_store_b128 v23, v[13:16] offset:6336
	flat_load_b128 v[13:16], v[20:21]
	v_add_nc_u32_e32 v20, s8, v10
	s_clause 0x1
	scratch_store_b32 off, v12, off
	scratch_store_b96 off, v[17:19], off offset:4
	v_ashrrev_i32_e32 v21, 31, v20
	s_delay_alu instid0(VALU_DEP_1) | instskip(SKIP_1) | instid1(VALU_DEP_2)
	v_lshlrev_b64_e32 v[10:11], 2, v[20:21]
	v_add_nc_u32_e32 v20, s8, v20
	v_add_co_u32 v5, s6, s24, v10
	s_delay_alu instid0(VALU_DEP_1) | instskip(SKIP_1) | instid1(VALU_DEP_3)
	v_add_co_ci_u32_e64 v11, null, s25, v11, s6
	v_add_nc_u32_e32 v10, 20, v49
	v_add_co_u32 v5, s6, v5, v47
	s_wait_alu 0xf1ff
	s_delay_alu instid0(VALU_DEP_3) | instskip(NEXT) | instid1(VALU_DEP_3)
	v_add_co_ci_u32_e64 v11, null, 0, v11, s6
	v_cmp_gt_i32_e64 s6, s29, v10
	s_wait_alu 0xf1ff
	s_delay_alu instid0(VALU_DEP_1)
	v_cndmask_b32_e64 v22, s9, v11, s6
	v_cndmask_b32_e64 v21, 0, v5, s6
	v_add_nc_u32_e32 v11, 24, v49
	s_wait_loadcnt_dscnt 0x0
	ds_store_b128 v23, v[13:16] offset:8448
	flat_load_b128 v[13:16], v[21:22]
	v_ashrrev_i32_e32 v21, 31, v20
	s_clause 0x1
	scratch_store_b32 off, v12, off
	scratch_store_b96 off, v[17:19], off offset:4
	v_lshlrev_b64_e32 v[21:22], 2, v[20:21]
	v_add_nc_u32_e32 v20, s8, v20
	s_delay_alu instid0(VALU_DEP_2) | instskip(SKIP_1) | instid1(VALU_DEP_3)
	v_add_co_u32 v5, s7, s24, v21
	s_wait_alu 0xf1ff
	v_add_co_ci_u32_e64 v21, null, s25, v22, s7
	s_delay_alu instid0(VALU_DEP_2) | instskip(SKIP_1) | instid1(VALU_DEP_2)
	v_add_co_u32 v5, s7, v5, v47
	s_wait_alu 0xf1ff
	v_add_co_ci_u32_e64 v21, null, 0, v21, s7
	v_cmp_gt_i32_e64 s7, s29, v11
	s_wait_alu 0xf1ff
	s_delay_alu instid0(VALU_DEP_1)
	v_cndmask_b32_e64 v22, s9, v21, s7
	v_cndmask_b32_e64 v21, 0, v5, s7
	v_add_nc_u32_e32 v5, 28, v49
	s_wait_loadcnt_dscnt 0x0
	ds_store_b128 v23, v[13:16] offset:10560
	flat_load_b128 v[13:16], v[21:22]
	v_ashrrev_i32_e32 v21, 31, v20
	s_clause 0x1
	scratch_store_b32 off, v12, off
	scratch_store_b96 off, v[17:19], off offset:4
	v_lshlrev_b64_e32 v[20:21], 2, v[20:21]
	s_delay_alu instid0(VALU_DEP_1) | instskip(SKIP_1) | instid1(VALU_DEP_2)
	v_add_co_u32 v20, s8, s24, v20
	s_wait_alu 0xf1ff
	v_add_co_ci_u32_e64 v21, null, s25, v21, s8
	s_delay_alu instid0(VALU_DEP_2) | instskip(SKIP_1) | instid1(VALU_DEP_2)
	v_add_co_u32 v20, s8, v20, v47
	s_wait_alu 0xf1ff
	v_add_co_ci_u32_e64 v21, null, 0, v21, s8
	v_cmp_gt_i32_e64 s8, s29, v5
	s_wait_alu 0xf1ff
	s_delay_alu instid0(VALU_DEP_1)
	v_cndmask_b32_e64 v21, s9, v21, s8
	v_cndmask_b32_e64 v20, 0, v20, s8
	s_wait_loadcnt_dscnt 0x0
	ds_store_b128 v23, v[13:16] offset:12672
	flat_load_b128 v[13:16], v[20:21]
	s_wait_loadcnt_dscnt 0x0
	ds_store_b128 v23, v[13:16] offset:14784
	s_wait_storecnt_dscnt 0x0
	s_barrier_signal -1
	s_barrier_wait -1
	global_inv scope:SCOPE_SE
	ds_load_b128 v[13:16], v53
	ds_load_b128 v[17:20], v52
	s_wait_dscnt 0x0
	;;#ASMSTART
	v_dot2_f32_f16 v12, v13, v17, v12
	;;#ASMEND
	;;#ASMSTART
	v_dot2_f32_f16 v12, v14, v18, v12
	;;#ASMEND
	;;#ASMSTART
	v_dot2_f32_f16 v12, v15, v19, v12
	;;#ASMEND
	;;#ASMSTART
	v_dot2_f32_f16 v12, v16, v20, v12
	;;#ASMEND
	ds_load_b128 v[13:16], v53 offset:16
	ds_load_b128 v[17:20], v52 offset:16
	s_wait_dscnt 0x0
	;;#ASMSTART
	v_dot2_f32_f16 v12, v13, v17, v12
	;;#ASMEND
	;;#ASMSTART
	v_dot2_f32_f16 v12, v14, v18, v12
	;;#ASMEND
	;;#ASMSTART
	v_dot2_f32_f16 v12, v15, v19, v12
	;;#ASMEND
	;;#ASMSTART
	v_dot2_f32_f16 v12, v16, v20, v12
	;;#ASMEND
	ds_load_b128 v[13:16], v53 offset:32
	ds_load_b128 v[17:20], v52 offset:32
	;; [unrolled: 15-line block ×31, first 2 shown]
	s_wait_dscnt 0x0
	;;#ASMSTART
	v_dot2_f32_f16 v12, v13, v17, v12
	;;#ASMEND
	;;#ASMSTART
	v_dot2_f32_f16 v12, v14, v18, v12
	;;#ASMEND
	;; [unrolled: 3-line block ×4, first 2 shown]
                                        ; implicit-def: $vgpr13
	v_cmpx_ngt_f32_e64 0x3f200000, |v12|
	s_wait_alu 0xfffe
	s_xor_b32 s15, exec_lo, s15
	s_cbranch_execz .LBB73_24
; %bb.23:
	v_add_f32_e64 v13, |v12|, |v12|
	s_delay_alu instid0(VALU_DEP_1) | instskip(SKIP_1) | instid1(VALU_DEP_2)
	v_mul_f32_e32 v14, 0x3fb8aa3b, v13
	v_cmp_ngt_f32_e64 s9, 0xc2ce8ed0, v13
	v_rndne_f32_e32 v15, v14
	v_fma_f32 v16, 0x3fb8aa3b, v13, -v14
	s_delay_alu instid0(VALU_DEP_2) | instskip(NEXT) | instid1(VALU_DEP_2)
	v_sub_f32_e32 v14, v14, v15
	v_fmamk_f32 v16, v13, 0x32a5705f, v16
	v_cvt_i32_f32_e32 v15, v15
	s_delay_alu instid0(VALU_DEP_2) | instskip(NEXT) | instid1(VALU_DEP_1)
	v_add_f32_e32 v14, v14, v16
	v_exp_f32_e32 v14, v14
	s_delay_alu instid0(TRANS32_DEP_1) | instskip(SKIP_1) | instid1(VALU_DEP_1)
	v_ldexp_f32 v14, v14, v15
	s_wait_alu 0xf1ff
	v_cndmask_b32_e64 v14, 0, v14, s9
	v_cmp_nlt_f32_e64 s9, 0x42b17218, v13
	s_wait_alu 0xf1ff
	s_delay_alu instid0(VALU_DEP_1) | instskip(NEXT) | instid1(VALU_DEP_1)
	v_cndmask_b32_e64 v13, 0x7f800000, v14, s9
	v_add_f32_e32 v13, 1.0, v13
	s_delay_alu instid0(VALU_DEP_1) | instskip(NEXT) | instid1(TRANS32_DEP_1)
	v_rcp_f32_e32 v13, v13
	v_fma_f32 v13, v13, -2.0, 1.0
.LBB73_24:
	s_wait_alu 0xfffe
	s_and_not1_saveexec_b32 s9, s15
	s_cbranch_execz .LBB73_26
; %bb.25:
	v_mul_f32_e32 v13, v12, v12
	s_mov_b32 s15, 0xbbbac73d
	s_wait_alu 0xfffe
	s_delay_alu instid0(VALU_DEP_1) | instskip(NEXT) | instid1(VALU_DEP_1)
	v_fmaak_f32 v14, s15, v13, 0x3ca908c9
	v_fmaak_f32 v14, v13, v14, 0xbd5c1c4e
	s_delay_alu instid0(VALU_DEP_1) | instskip(NEXT) | instid1(VALU_DEP_1)
	v_fmaak_f32 v14, v13, v14, 0x3e088382
	v_fmaak_f32 v14, v13, v14, 0xbeaaaa99
	s_delay_alu instid0(VALU_DEP_1) | instskip(NEXT) | instid1(VALU_DEP_1)
	v_mul_f32_e64 v14, |v12|, v14
	v_fma_f32 v13, v13, v14, |v12|
.LBB73_26:
	s_wait_alu 0xfffe
	s_or_b32 exec_lo, exec_lo, s9
	s_delay_alu instid0(VALU_DEP_1) | instskip(NEXT) | instid1(VALU_DEP_1)
	v_bfi_b32 v12, 0x7fffffff, v13, v12
	v_dual_mov_b32 v13, v4 :: v_dual_mul_f32 v18, s11, v12
	s_mov_b32 s11, exec_lo
	v_cmpx_gt_i32_e64 s29, v0
	s_cbranch_execz .LBB73_31
; %bb.27:
	s_cmp_eq_u64 s[34:35], 0
	s_cbranch_scc1 .LBB73_29
; %bb.28:
	v_mul_lo_u32 v12, v51, s33
	s_delay_alu instid0(VALU_DEP_1) | instskip(NEXT) | instid1(VALU_DEP_1)
	v_add3_u32 v12, v12, v0, s26
	v_ashrrev_i32_e32 v13, 31, v12
	s_delay_alu instid0(VALU_DEP_1) | instskip(NEXT) | instid1(VALU_DEP_1)
	v_lshlrev_b64_e32 v[12:13], 1, v[12:13]
	v_add_co_u32 v12, s9, s34, v12
	s_wait_alu 0xf1ff
	s_delay_alu instid0(VALU_DEP_2) | instskip(SKIP_3) | instid1(VALU_DEP_1)
	v_add_co_ci_u32_e64 v13, null, s35, v13, s9
	global_load_u16 v12, v[12:13], off
	s_wait_loadcnt 0x0
	v_cvt_f32_f16_e32 v12, v12
	v_mul_f32_e32 v12, v50, v12
	s_branch .LBB73_30
.LBB73_29:
	v_mov_b32_e32 v12, 0
.LBB73_30:
	s_delay_alu instid0(VALU_DEP_1) | instskip(NEXT) | instid1(VALU_DEP_1)
	v_add_f32_e32 v18, v18, v12
	v_dual_max_num_f32 v13, v4, v4 :: v_dual_add_f32 v12, 0x40051340, v18
	s_delay_alu instid0(VALU_DEP_1)
	v_max_num_f32_e32 v13, v13, v12
.LBB73_31:
	s_wait_alu 0xfffe
	s_or_b32 exec_lo, exec_lo, s11
	v_xor_b32_e32 v14, 16, v41
	s_ashr_i32 s15, s14, 31
	s_mov_b32 s24, 0
	s_wait_alu 0xfffe
	s_mul_u64 s[26:27], s[26:27], s[14:15]
	s_mov_b32 s25, s24
	v_cmp_gt_i32_e64 s9, 32, v14
	s_wait_alu 0xfffe
	s_lshl_b64 s[36:37], s[26:27], 2
	s_mov_b32 s26, s24
	s_mov_b64 s[34:35], src_private_base
	s_wait_alu 0xfffe
	s_add_nc_u64 s[20:21], s[20:21], s[36:37]
	v_cndmask_b32_e64 v12, v41, v14, s9
	s_wait_loadcnt 0x0
	s_barrier_signal -1
	s_barrier_wait -1
	global_inv scope:SCOPE_SE
	v_lshlrev_b32_e32 v12, 2, v12
	v_lshl_add_u32 v6, v6, 9, v47
	v_lshl_add_u32 v10, v10, 9, v47
	;; [unrolled: 1-line block ×3, first 2 shown]
	v_add_nc_u32_e32 v147, 0x3000, v42
	ds_bpermute_b32 v15, v12, v13
	v_xor_b32_e32 v12, 8, v41
	v_max_num_f32_e32 v13, v13, v13
	v_add_nc_u32_e32 v163, 0x3800, v42
	v_lshlrev_b32_e32 v26, 1, v0
	v_add_nc_u32_e32 v30, v48, v47
	v_cmp_gt_i32_e64 s9, 32, v12
	v_mov_b32_e32 v29, 0
	v_add_nc_u32_e32 v39, 0x1000, v42
	v_add_nc_u32_e32 v53, 0x1800, v42
	s_wait_alu 0xf1ff
	v_cndmask_b32_e64 v16, v41, v12, s9
	s_wait_dscnt 0x0
	s_delay_alu instid0(VALU_DEP_1) | instskip(NEXT) | instid1(VALU_DEP_1)
	v_dual_max_num_f32 v15, v15, v15 :: v_dual_lshlrev_b32 v16, 2, v16
	v_max_num_f32_e32 v15, v13, v15
	v_xor_b32_e32 v13, 4, v41
	ds_bpermute_b32 v16, v16, v15
	v_cmp_gt_i32_e64 s9, 32, v13
	s_wait_alu 0xf1ff
	s_delay_alu instid0(VALU_DEP_1) | instskip(SKIP_1) | instid1(VALU_DEP_1)
	v_cndmask_b32_e64 v17, v41, v13, s9
	s_wait_dscnt 0x0
	v_dual_max_num_f32 v16, v16, v16 :: v_dual_lshlrev_b32 v17, 2, v17
	s_delay_alu instid0(VALU_DEP_1) | instskip(SKIP_4) | instid1(VALU_DEP_1)
	v_max_num_f32_e32 v16, v15, v16
	v_xor_b32_e32 v15, 2, v41
	ds_bpermute_b32 v17, v17, v16
	v_cmp_gt_i32_e64 s9, 32, v15
	s_wait_alu 0xf1ff
	v_cndmask_b32_e64 v19, v41, v15, s9
	s_delay_alu instid0(VALU_DEP_1) | instskip(SKIP_2) | instid1(VALU_DEP_1)
	v_lshlrev_b32_e32 v19, 2, v19
	s_wait_dscnt 0x0
	v_max_num_f32_e32 v17, v17, v17
	v_max_num_f32_e32 v17, v16, v17
	v_xor_b32_e32 v16, 1, v41
	ds_bpermute_b32 v19, v19, v17
	v_cmp_gt_i32_e64 s9, 32, v16
	s_wait_alu 0xf1ff
	s_delay_alu instid0(VALU_DEP_1) | instskip(SKIP_1) | instid1(VALU_DEP_1)
	v_cndmask_b32_e64 v20, v41, v16, s9
	s_wait_dscnt 0x0
	v_dual_max_num_f32 v19, v19, v19 :: v_dual_lshlrev_b32 v20, 2, v20
	s_delay_alu instid0(VALU_DEP_1) | instskip(SKIP_3) | instid1(VALU_DEP_1)
	v_max_num_f32_e32 v17, v17, v19
	ds_bpermute_b32 v19, v20, v17
	s_wait_dscnt 0x0
	v_max_num_f32_e32 v19, v19, v19
	v_max_num_f32_e32 v17, v17, v19
	s_delay_alu instid0(VALU_DEP_1) | instskip(NEXT) | instid1(VALU_DEP_1)
	v_sub_f32_e32 v21, v18, v17
	v_mul_f32_e32 v18, 0x3fb8aa3b, v21
	v_cmp_ngt_f32_e64 s9, 0xc2ce8ed0, v21
	s_delay_alu instid0(VALU_DEP_2) | instskip(SKIP_1) | instid1(VALU_DEP_1)
	v_fma_f32 v19, 0x3fb8aa3b, v21, -v18
	v_rndne_f32_e32 v20, v18
	v_dual_fmac_f32 v19, 0x32a5705f, v21 :: v_dual_sub_f32 v18, v18, v20
	v_cvt_i32_f32_e32 v23, v20
	s_delay_alu instid0(VALU_DEP_2) | instskip(SKIP_1) | instid1(VALU_DEP_2)
	v_add_f32_e32 v18, v18, v19
	v_lshlrev_b64_e32 v[19:20], 2, v[2:3]
	v_exp_f32_e32 v22, v18
	v_lshlrev_b32_e32 v18, 6, v49
	s_delay_alu instid0(TRANS32_DEP_1) | instskip(SKIP_1) | instid1(VALU_DEP_1)
	v_ldexp_f32 v3, v22, v23
	s_wait_alu 0xf1ff
	v_cndmask_b32_e64 v3, 0, v3, s9
	s_wait_alu 0xfffe
	v_add_co_u32 v19, s9, s20, v19
	s_wait_alu 0xf1ff
	v_add_co_ci_u32_e64 v20, null, s21, v20, s9
	v_cmp_nlt_f32_e64 s9, 0x42b17218, v21
	v_add3_u32 v21, 0x4a00, v18, v26
	s_wait_alu 0xf1ff
	s_delay_alu instid0(VALU_DEP_2) | instskip(SKIP_4) | instid1(VALU_DEP_2)
	v_cndmask_b32_e64 v3, 0x7f800000, v3, s9
	v_add_co_u32 v19, s9, v19, v47
	s_wait_alu 0xf1ff
	v_add_co_ci_u32_e64 v20, null, 0, v20, s9
	v_cmp_gt_u32_e64 s9, s29, v0
	v_cndmask_b32_e32 v20, s35, v20, vcc_lo
	v_add_nc_u32_e32 v115, 0x2000, v42
	s_wait_alu 0xf1ff
	s_delay_alu instid0(VALU_DEP_3)
	v_cndmask_b32_e64 v3, 0, v3, s9
	s_lshl_b32 s9, s14, 2
	s_wait_alu 0xfffe
	v_dual_cndmask_b32 v19, 0, v19 :: v_dual_add_nc_u32 v26, s9, v2
	v_mov_b32_e32 v23, s24
	v_cvt_f16_f32_e32 v22, v3
	v_mov_b32_e32 v24, s25
	s_delay_alu instid0(VALU_DEP_4) | instskip(NEXT) | instid1(VALU_DEP_1)
	v_ashrrev_i32_e32 v27, 31, v26
	v_lshlrev_b64_e32 v[27:28], 2, v[26:27]
	v_dual_mov_b32 v25, s26 :: v_dual_add_nc_u32 v26, s9, v26
	s_clause 0x1
	scratch_store_b32 off, v29, off
	scratch_store_b96 off, v[23:25], off offset:4
	ds_store_b16 v21, v22
	flat_load_b128 v[19:22], v[19:20]
	v_add_co_u32 v2, vcc_lo, s20, v27
	s_wait_alu 0xfffd
	v_add_co_ci_u32_e64 v27, null, s21, v28, vcc_lo
	s_clause 0x1
	scratch_store_b32 off, v29, off
	scratch_store_b96 off, v[23:25], off offset:4
	v_add_co_u32 v2, vcc_lo, v2, v47
	s_wait_alu 0xfffd
	v_add_co_ci_u32_e64 v27, null, 0, v27, vcc_lo
	s_delay_alu instid0(VALU_DEP_1) | instskip(NEXT) | instid1(VALU_DEP_3)
	v_cndmask_b32_e64 v28, s35, v27, s2
	v_cndmask_b32_e64 v27, 0, v2, s2
	s_wait_loadcnt_dscnt 0x0
	ds_store_b128 v30, v[19:22]
	flat_load_b128 v[19:22], v[27:28]
	v_ashrrev_i32_e32 v27, 31, v26
	s_delay_alu instid0(VALU_DEP_1)
	v_lshlrev_b64_e32 v[27:28], 2, v[26:27]
	v_add_nc_u32_e32 v26, s9, v26
	s_clause 0x1
	scratch_store_b32 off, v29, off
	scratch_store_b96 off, v[23:25], off offset:4
	v_add_co_u32 v2, vcc_lo, s20, v27
	s_wait_alu 0xfffd
	v_add_co_ci_u32_e64 v27, null, s21, v28, vcc_lo
	s_delay_alu instid0(VALU_DEP_2) | instskip(SKIP_1) | instid1(VALU_DEP_2)
	v_add_co_u32 v2, vcc_lo, v2, v47
	s_wait_alu 0xfffd
	v_add_co_ci_u32_e64 v27, null, 0, v27, vcc_lo
	s_delay_alu instid0(VALU_DEP_1) | instskip(NEXT) | instid1(VALU_DEP_3)
	v_cndmask_b32_e64 v28, s35, v27, s3
	v_cndmask_b32_e64 v27, 0, v2, s3
	s_wait_loadcnt_dscnt 0x0
	ds_store_b128 v6, v[19:22]
	flat_load_b128 v[19:22], v[27:28]
	v_ashrrev_i32_e32 v27, 31, v26
	s_clause 0x1
	scratch_store_b32 off, v29, off
	scratch_store_b96 off, v[23:25], off offset:4
	v_lshlrev_b64_e32 v[27:28], 2, v[26:27]
	s_delay_alu instid0(VALU_DEP_1) | instskip(SKIP_1) | instid1(VALU_DEP_2)
	v_add_co_u32 v2, vcc_lo, s20, v27
	s_wait_alu 0xfffd
	v_add_co_ci_u32_e64 v6, null, s21, v28, vcc_lo
	v_lshl_add_u32 v27, v7, 9, v47
	s_delay_alu instid0(VALU_DEP_3) | instskip(SKIP_1) | instid1(VALU_DEP_3)
	v_add_co_u32 v2, vcc_lo, v2, v47
	s_wait_alu 0xfffd
	v_add_co_ci_u32_e64 v6, null, 0, v6, vcc_lo
	s_delay_alu instid0(VALU_DEP_1) | instskip(NEXT) | instid1(VALU_DEP_3)
	v_cndmask_b32_e64 v7, s35, v6, s4
	v_cndmask_b32_e64 v6, 0, v2, s4
	s_wait_loadcnt_dscnt 0x0
	ds_store_b128 v27, v[19:22]
	flat_load_b128 v[19:22], v[6:7]
	v_add_nc_u32_e32 v6, s9, v26
	s_clause 0x1
	scratch_store_b32 off, v29, off
	scratch_store_b96 off, v[23:25], off offset:4
	v_ashrrev_i32_e32 v7, 31, v6
	s_delay_alu instid0(VALU_DEP_1) | instskip(NEXT) | instid1(VALU_DEP_1)
	v_lshlrev_b64_e32 v[26:27], 2, v[6:7]
	v_add_co_u32 v2, vcc_lo, s20, v26
	s_wait_alu 0xfffd
	s_delay_alu instid0(VALU_DEP_2) | instskip(SKIP_1) | instid1(VALU_DEP_3)
	v_add_co_ci_u32_e64 v7, null, s21, v27, vcc_lo
	v_lshl_add_u32 v26, v8, 9, v47
	v_add_co_u32 v2, vcc_lo, v2, v47
	s_wait_alu 0xfffd
	s_delay_alu instid0(VALU_DEP_3) | instskip(NEXT) | instid1(VALU_DEP_1)
	v_add_co_ci_u32_e64 v7, null, 0, v7, vcc_lo
	v_cndmask_b32_e64 v8, s35, v7, s5
	s_delay_alu instid0(VALU_DEP_3)
	v_cndmask_b32_e64 v7, 0, v2, s5
	s_wait_loadcnt_dscnt 0x0
	ds_store_b128 v26, v[19:22]
	flat_load_b128 v[19:22], v[7:8]
	v_add_nc_u32_e32 v26, s9, v6
	v_lshl_add_u32 v8, v9, 9, v47
	s_clause 0x1
	scratch_store_b32 off, v29, off
	scratch_store_b96 off, v[23:25], off offset:4
	v_ashrrev_i32_e32 v27, 31, v26
	s_delay_alu instid0(VALU_DEP_1) | instskip(NEXT) | instid1(VALU_DEP_1)
	v_lshlrev_b64_e32 v[6:7], 2, v[26:27]
	v_add_co_u32 v2, vcc_lo, s20, v6
	s_wait_alu 0xfffd
	s_delay_alu instid0(VALU_DEP_2) | instskip(NEXT) | instid1(VALU_DEP_2)
	v_add_co_ci_u32_e64 v6, null, s21, v7, vcc_lo
	v_add_co_u32 v2, vcc_lo, v2, v47
	s_wait_alu 0xfffd
	s_delay_alu instid0(VALU_DEP_2) | instskip(NEXT) | instid1(VALU_DEP_1)
	v_add_co_ci_u32_e64 v6, null, 0, v6, vcc_lo
	v_cndmask_b32_e64 v7, s35, v6, s6
	s_delay_alu instid0(VALU_DEP_3)
	v_cndmask_b32_e64 v6, 0, v2, s6
	s_wait_loadcnt_dscnt 0x0
	ds_store_b128 v8, v[19:22]
	flat_load_b128 v[6:9], v[6:7]
	v_add_nc_u32_e32 v19, s9, v26
	s_clause 0x1
	scratch_store_b32 off, v29, off
	scratch_store_b96 off, v[23:25], off offset:4
	v_ashrrev_i32_e32 v20, 31, v19
	s_delay_alu instid0(VALU_DEP_1) | instskip(SKIP_1) | instid1(VALU_DEP_2)
	v_lshlrev_b64_e32 v[20:21], 2, v[19:20]
	v_add_nc_u32_e32 v19, s9, v19
	v_add_co_u32 v2, vcc_lo, s20, v20
	s_wait_alu 0xfffd
	s_delay_alu instid0(VALU_DEP_3) | instskip(NEXT) | instid1(VALU_DEP_2)
	v_add_co_ci_u32_e64 v20, null, s21, v21, vcc_lo
	v_add_co_u32 v2, vcc_lo, v2, v47
	s_wait_alu 0xfffd
	s_delay_alu instid0(VALU_DEP_2) | instskip(NEXT) | instid1(VALU_DEP_1)
	v_add_co_ci_u32_e64 v20, null, 0, v20, vcc_lo
	v_cndmask_b32_e64 v21, s35, v20, s7
	s_delay_alu instid0(VALU_DEP_3)
	v_cndmask_b32_e64 v20, 0, v2, s7
	s_wait_loadcnt_dscnt 0x0
	ds_store_b128 v10, v[6:9]
	flat_load_b128 v[6:9], v[20:21]
	v_ashrrev_i32_e32 v20, 31, v19
	s_clause 0x1
	scratch_store_b32 off, v29, off
	scratch_store_b96 off, v[23:25], off offset:4
	v_lshlrev_b64_e32 v[19:20], 2, v[19:20]
	s_delay_alu instid0(VALU_DEP_1) | instskip(SKIP_1) | instid1(VALU_DEP_2)
	v_add_co_u32 v2, vcc_lo, s20, v19
	s_wait_alu 0xfffd
	v_add_co_ci_u32_e64 v10, null, s21, v20, vcc_lo
	v_lshl_add_u32 v19, v11, 9, v47
	s_delay_alu instid0(VALU_DEP_3) | instskip(SKIP_1) | instid1(VALU_DEP_3)
	v_add_co_u32 v2, vcc_lo, v2, v47
	s_wait_alu 0xfffd
	v_add_co_ci_u32_e64 v10, null, 0, v10, vcc_lo
	s_delay_alu instid0(VALU_DEP_1) | instskip(NEXT) | instid1(VALU_DEP_3)
	v_cndmask_b32_e64 v11, s35, v10, s8
	v_cndmask_b32_e64 v10, 0, v2, s8
	v_sub_f32_e32 v2, v4, v17
	s_delay_alu instid0(VALU_DEP_1)
	v_mul_f32_e32 v4, 0x3fb8aa3b, v2
	v_cmp_ngt_f32_e32 vcc_lo, 0xc2ce8ed0, v2
	s_wait_loadcnt_dscnt 0x0
	ds_store_b128 v19, v[6:9]
	flat_load_b128 v[8:11], v[10:11]
	v_fma_f32 v6, 0x3fb8aa3b, v2, -v4
	v_rndne_f32_e32 v7, v4
	s_delay_alu instid0(VALU_DEP_2) | instskip(NEXT) | instid1(VALU_DEP_2)
	v_fmac_f32_e32 v6, 0x32a5705f, v2
	v_sub_f32_e32 v4, v4, v7
	s_delay_alu instid0(VALU_DEP_1) | instskip(SKIP_2) | instid1(VALU_DEP_3)
	v_add_f32_e32 v4, v4, v6
	v_cvt_i32_f32_e32 v6, v7
	v_mov_b32_e32 v7, 32
	v_exp_f32_e32 v4, v4
	s_delay_alu instid0(TRANS32_DEP_1) | instskip(SKIP_2) | instid1(VALU_DEP_2)
	v_ldexp_f32 v4, v4, v6
	v_add_nc_u32_e32 v6, 0x800, v42
	s_wait_alu 0xfffd
	v_cndmask_b32_e32 v4, 0, v4, vcc_lo
	v_cmp_nlt_f32_e32 vcc_lo, 0x42b17218, v2
	s_wait_alu 0xfffd
	s_delay_alu instid0(VALU_DEP_2) | instskip(NEXT) | instid1(VALU_DEP_1)
	v_cndmask_b32_e32 v2, 0x7f800000, v4, vcc_lo
	v_cvt_f16_f32_e32 v4, v2
	v_fmac_f32_e32 v3, v54, v2
	v_add_nc_u32_e32 v131, 0x2800, v42
	s_delay_alu instid0(VALU_DEP_3) | instskip(NEXT) | instid1(VALU_DEP_3)
	v_and_b32_e32 v4, 0xffff, v4
	v_mov_b32_e32 v54, v3
	s_delay_alu instid0(VALU_DEP_2) | instskip(SKIP_1) | instid1(VALU_DEP_2)
	v_mul_u32_u24_e32 v167, 0x10001, v4
	v_mov_b32_e32 v4, v17
	v_pk_mul_f16 v17, v46, v167
	v_pk_mul_f16 v168, v45, v167
	s_wait_loadcnt_dscnt 0x0
	ds_store_b128 v5, v[8:11]
	s_wait_storecnt_dscnt 0x0
	s_barrier_signal -1
	s_barrier_wait -1
	global_inv scope:SCOPE_SE
	ds_load_2addr_b64 v[8:11], v42 offset1:32
	ds_load_b128 v[19:22], v18 offset:18944
	ds_load_b128 v[23:26], v18 offset:18960
	;; [unrolled: 1-line block ×4, first 2 shown]
	ds_load_2addr_b64 v[35:38], v42 offset0:64 offset1:96
	ds_load_2addr_b64 v[45:48], v42 offset0:128 offset1:160
	ds_load_2addr_b64 v[49:52], v42 offset0:192 offset1:224
	ds_load_2addr_b64 v[55:58], v6 offset1:32
	ds_load_2addr_b64 v[59:62], v6 offset0:64 offset1:96
	ds_load_2addr_b64 v[63:66], v6 offset0:128 offset1:160
	ds_load_2addr_b64 v[67:70], v6 offset0:192 offset1:224
	ds_load_2addr_b64 v[71:74], v39 offset1:32
	ds_load_2addr_b64 v[75:78], v39 offset0:64 offset1:96
	ds_load_2addr_b64 v[79:82], v39 offset0:128 offset1:160
	ds_load_2addr_b64 v[83:86], v39 offset0:192 offset1:224
	ds_load_2addr_b64 v[87:90], v53 offset1:32
	ds_load_2addr_b64 v[91:94], v53 offset0:64 offset1:96
	ds_load_2addr_b64 v[95:98], v53 offset0:128 offset1:160
	ds_load_2addr_b64 v[99:102], v53 offset0:192 offset1:224
	ds_load_2addr_b64 v[103:106], v115 offset1:32
	ds_load_2addr_b64 v[107:110], v115 offset0:64 offset1:96
	ds_load_2addr_b64 v[111:114], v115 offset0:128 offset1:160
	ds_load_2addr_b64 v[115:118], v115 offset0:192 offset1:224
	ds_load_2addr_b64 v[119:122], v131 offset1:32
	ds_load_2addr_b64 v[123:126], v131 offset0:64 offset1:96
	ds_load_2addr_b64 v[127:130], v131 offset0:128 offset1:160
	ds_load_2addr_b64 v[131:134], v131 offset0:192 offset1:224
	ds_load_2addr_b64 v[135:138], v147 offset1:32
	ds_load_2addr_b64 v[139:142], v147 offset0:64 offset1:96
	ds_load_2addr_b64 v[143:146], v147 offset0:128 offset1:160
	ds_load_2addr_b64 v[147:150], v147 offset0:192 offset1:224
	ds_load_2addr_b64 v[151:154], v163 offset1:32
	ds_load_2addr_b64 v[155:158], v163 offset0:64 offset1:96
	ds_load_2addr_b64 v[159:162], v163 offset0:128 offset1:160
	ds_load_2addr_b64 v[163:166], v163 offset0:192 offset1:224
	s_wait_dscnt 0x22
	v_lshrrev_b32_e32 v5, 16, v19
	v_and_b32_e32 v19, 0xffff, v19
	v_lshrrev_b32_e32 v6, 16, v20
	v_and_b32_e32 v20, 0xffff, v20
	v_lshrrev_b32_e32 v18, 16, v21
	v_mul_u32_u24_e32 v5, 0x10001, v5
	v_mul_u32_u24_e32 v19, 0x10001, v19
	v_and_b32_e32 v21, 0xffff, v21
	v_mul_u32_u24_e32 v6, 0x10001, v6
	v_lshrrev_b32_e32 v39, 16, v22
	v_and_b32_e32 v22, 0xffff, v22
	v_pk_mul_f16 v8, v8, v19
	v_pk_mul_f16 v9, v9, v19
	v_pk_fma_f16 v10, v10, v19, v17
	v_pk_fma_f16 v11, v11, v19, v168
	v_mul_u32_u24_e32 v17, 0x10001, v20
	v_pk_fma_f16 v8, v43, v167, v8
	v_pk_fma_f16 v9, v44, v167, v9
	s_wait_dscnt 0x1e
	v_pk_fma_f16 v10, v37, v5, v10
	v_pk_fma_f16 v11, v38, v5, v11
	v_lshrrev_b32_e32 v42, 16, v23
	v_pk_fma_f16 v8, v35, v5, v8
	v_pk_fma_f16 v5, v36, v5, v9
	s_wait_dscnt 0x1d
	v_pk_fma_f16 v9, v47, v17, v10
	v_pk_fma_f16 v10, v48, v17, v11
	v_mul_u32_u24_e32 v11, 0x10001, v21
	v_pk_fma_f16 v8, v45, v17, v8
	v_pk_fma_f16 v5, v46, v17, v5
	s_wait_dscnt 0x1c
	v_pk_fma_f16 v9, v51, v6, v9
	v_pk_fma_f16 v10, v52, v6, v10
	v_and_b32_e32 v23, 0xffff, v23
	v_pk_fma_f16 v8, v49, v6, v8
	v_pk_fma_f16 v5, v50, v6, v5
	v_mul_u32_u24_e32 v6, 0x10001, v18
	s_wait_dscnt 0x1b
	v_pk_fma_f16 v9, v57, v11, v9
	v_pk_fma_f16 v10, v58, v11, v10
	v_pk_fma_f16 v8, v55, v11, v8
	v_pk_fma_f16 v5, v56, v11, v5
	v_mul_u32_u24_e32 v11, 0x10001, v22
	s_wait_dscnt 0x1a
	v_pk_fma_f16 v9, v61, v6, v9
	v_pk_fma_f16 v10, v62, v6, v10
	v_pk_fma_f16 v8, v59, v6, v8
	v_pk_fma_f16 v5, v60, v6, v5
	v_mul_u32_u24_e32 v6, 0x10001, v39
	s_wait_dscnt 0x19
	v_pk_fma_f16 v9, v65, v11, v9
	v_pk_fma_f16 v10, v66, v11, v10
	v_pk_fma_f16 v8, v63, v11, v8
	v_pk_fma_f16 v5, v64, v11, v5
	v_mul_u32_u24_e32 v11, 0x10001, v23
	s_wait_dscnt 0x18
	v_pk_fma_f16 v9, v69, v6, v9
	v_pk_fma_f16 v10, v70, v6, v10
	v_pk_fma_f16 v8, v67, v6, v8
	v_pk_fma_f16 v5, v68, v6, v5
	v_lshrrev_b32_e32 v53, 16, v24
	v_and_b32_e32 v24, 0xffff, v24
	v_mul_u32_u24_e32 v6, 0x10001, v42
	s_wait_dscnt 0x17
	v_pk_fma_f16 v9, v73, v11, v9
	v_pk_fma_f16 v10, v74, v11, v10
	v_pk_fma_f16 v8, v71, v11, v8
	v_pk_fma_f16 v5, v72, v11, v5
	v_mul_u32_u24_e32 v11, 0x10001, v24
	s_wait_dscnt 0x16
	v_pk_fma_f16 v9, v77, v6, v9
	v_pk_fma_f16 v10, v78, v6, v10
	v_pk_fma_f16 v8, v75, v6, v8
	v_pk_fma_f16 v5, v76, v6, v5
	v_lshrrev_b32_e32 v169, 16, v25
	v_and_b32_e32 v25, 0xffff, v25
	v_mul_u32_u24_e32 v6, 0x10001, v53
	s_wait_dscnt 0x15
	v_pk_fma_f16 v9, v81, v11, v9
	v_pk_fma_f16 v10, v82, v11, v10
	v_pk_fma_f16 v8, v79, v11, v8
	v_pk_fma_f16 v5, v80, v11, v5
	v_mul_u32_u24_e32 v11, 0x10001, v25
	s_wait_dscnt 0x14
	v_pk_fma_f16 v9, v85, v6, v9
	v_pk_fma_f16 v10, v86, v6, v10
	;; [unrolled: 14-line block ×11, first 2 shown]
	v_pk_fma_f16 v8, v155, v6, v8
	v_pk_fma_f16 v5, v156, v6, v5
	v_mul_u32_u24_e32 v6, 0x10001, v178
	s_wait_dscnt 0x1
	v_pk_fma_f16 v9, v161, v11, v9
	v_pk_fma_f16 v10, v162, v11, v10
	;; [unrolled: 1-line block ×4, first 2 shown]
	s_wait_loadcnt_dscnt 0x0
	v_pk_fma_f16 v46, v165, v6, v9
	v_pk_fma_f16 v45, v166, v6, v10
	;; [unrolled: 1-line block ×4, first 2 shown]
	s_barrier_signal -1
	s_barrier_wait -1
	global_inv scope:SCOPE_SE
.LBB73_32:
	v_cmp_lt_i32_e32 vcc_lo, v14, v7
	s_cmp_eq_u64 s[12:13], 0
	s_cselect_b32 s2, -1, 0
	s_cmp_lg_u32 s10, 0
	s_wait_alu 0xfffd
	v_cndmask_b32_e32 v2, v41, v14, vcc_lo
	v_cmp_lt_i32_e32 vcc_lo, v12, v7
	s_cselect_b32 s3, -1, 0
	s_wait_alu 0xfffe
	s_or_b32 s2, s3, s2
	s_wait_alu 0xfffd
	v_cndmask_b32_e32 v3, v41, v12, vcc_lo
	v_cmp_lt_i32_e32 vcc_lo, v13, v7
	s_delay_alu instid0(VALU_DEP_2)
	v_lshlrev_b32_e32 v3, 2, v3
	s_wait_alu 0xfffd
	v_dual_cndmask_b32 v5, v41, v13 :: v_dual_lshlrev_b32 v2, 2, v2
	v_cmp_lt_i32_e32 vcc_lo, v15, v7
	ds_bpermute_b32 v2, v2, v54
	s_wait_dscnt 0x0
	v_add_f32_e32 v2, v54, v2
	ds_bpermute_b32 v3, v3, v2
	s_wait_dscnt 0x0
	v_dual_add_f32 v2, v2, v3 :: v_dual_lshlrev_b32 v5, 2, v5
	ds_bpermute_b32 v3, v5, v2
	s_wait_alu 0xfffd
	v_cndmask_b32_e32 v5, v41, v15, vcc_lo
	v_cmp_lt_i32_e32 vcc_lo, v16, v7
	s_wait_dscnt 0x0
	s_delay_alu instid0(VALU_DEP_2)
	v_dual_add_f32 v2, v2, v3 :: v_dual_lshlrev_b32 v5, 2, v5
	ds_bpermute_b32 v3, v5, v2
	s_wait_alu 0xfffd
	v_cndmask_b32_e32 v5, v41, v16, vcc_lo
	s_wait_alu 0xfffe
	s_and_b32 vcc_lo, exec_lo, s2
	s_wait_dscnt 0x0
	s_delay_alu instid0(VALU_DEP_1)
	v_dual_add_f32 v2, v2, v3 :: v_dual_lshlrev_b32 v5, 2, v5
	ds_bpermute_b32 v3, v5, v2
	s_wait_dscnt 0x0
	v_add_f32_e32 v5, v2, v3
	s_wait_alu 0xfffe
	s_cbranch_vccnz .LBB73_34
; %bb.33:
	v_dual_mov_b32 v2, 0 :: v_dual_max_num_f32 v3, v4, v4
	s_lshl_b64 s[2:3], s[30:31], 2
	s_wait_alu 0xfffe
	s_add_nc_u64 s[2:3], s[12:13], s[2:3]
	global_load_b32 v2, v2, s[2:3]
	s_wait_loadcnt 0x0
	v_max_num_f32_e32 v6, v2, v2
	s_delay_alu instid0(VALU_DEP_1) | instskip(NEXT) | instid1(VALU_DEP_1)
	v_max_num_f32_e32 v3, v3, v6
	v_sub_f32_e32 v4, v4, v3
	s_delay_alu instid0(VALU_DEP_1) | instskip(SKIP_1) | instid1(VALU_DEP_2)
	v_mul_f32_e32 v6, 0x3fb8aa3b, v4
	v_sub_f32_e32 v2, v2, v3
	v_rndne_f32_e32 v8, v6
	s_delay_alu instid0(VALU_DEP_2) | instskip(SKIP_2) | instid1(VALU_DEP_3)
	v_mul_f32_e32 v9, 0x3fb8aa3b, v2
	v_fma_f32 v7, 0x3fb8aa3b, v4, -v6
	v_cmp_ngt_f32_e32 vcc_lo, 0xc2ce8ed0, v4
	v_rndne_f32_e32 v11, v9
	s_delay_alu instid0(VALU_DEP_3) | instskip(SKIP_3) | instid1(VALU_DEP_3)
	v_fmac_f32_e32 v7, 0x32a5705f, v4
	v_sub_f32_e32 v6, v6, v8
	v_fma_f32 v10, 0x3fb8aa3b, v2, -v9
	v_cvt_i32_f32_e32 v8, v8
	v_add_f32_e32 v6, v6, v7
	s_delay_alu instid0(VALU_DEP_3) | instskip(NEXT) | instid1(VALU_DEP_2)
	v_dual_fmac_f32 v10, 0x32a5705f, v2 :: v_dual_sub_f32 v7, v9, v11
	v_exp_f32_e32 v6, v6
	s_delay_alu instid0(VALU_DEP_1) | instskip(NEXT) | instid1(VALU_DEP_1)
	v_add_f32_e32 v7, v7, v10
	v_exp_f32_e32 v7, v7
	s_delay_alu instid0(TRANS32_DEP_2) | instskip(SKIP_2) | instid1(VALU_DEP_2)
	v_ldexp_f32 v6, v6, v8
	v_cvt_i32_f32_e32 v8, v11
	s_wait_alu 0xfffd
	v_cndmask_b32_e32 v6, 0, v6, vcc_lo
	v_cmp_nlt_f32_e32 vcc_lo, 0x42b17218, v4
	s_delay_alu instid0(TRANS32_DEP_1) | instid1(VALU_DEP_3)
	v_ldexp_f32 v7, v7, v8
	s_wait_alu 0xfffd
	s_delay_alu instid0(VALU_DEP_3) | instskip(SKIP_3) | instid1(VALU_DEP_3)
	v_cndmask_b32_e32 v4, 0x7f800000, v6, vcc_lo
	v_cmp_ngt_f32_e32 vcc_lo, 0xc2ce8ed0, v2
	s_wait_alu 0xfffd
	v_cndmask_b32_e32 v6, 0, v7, vcc_lo
	v_cvt_f16_f32_e32 v7, v4
	v_cmp_nlt_f32_e32 vcc_lo, 0x42b17218, v2
	s_wait_alu 0xfffd
	s_delay_alu instid0(VALU_DEP_3) | instskip(NEXT) | instid1(VALU_DEP_3)
	v_cndmask_b32_e32 v2, 0x7f800000, v6, vcc_lo
	v_and_b32_e32 v6, 0xffff, v7
	s_delay_alu instid0(VALU_DEP_2) | instskip(NEXT) | instid1(VALU_DEP_2)
	v_fmac_f32_e32 v2, v5, v4
	v_mul_u32_u24_e32 v4, 0x10001, v6
	s_delay_alu instid0(VALU_DEP_2) | instskip(NEXT) | instid1(VALU_DEP_2)
	v_mov_b32_e32 v5, v2
	v_pk_mul_f16 v43, v43, v4
	v_pk_mul_f16 v44, v44, v4
	v_pk_mul_f16 v46, v46, v4
	v_pk_mul_f16 v45, v45, v4
	v_mov_b32_e32 v4, v3
.LBB73_34:
	s_mov_b32 s2, exec_lo
	v_cmpx_gt_i32_e64 s22, v1
	s_cbranch_execz .LBB73_37
; %bb.35:
	v_div_scale_f32 v3, null, v5, v5, 1.0
	s_load_b32 s1, s[0:1], 0xd4
	v_mad_co_u64_u32 v[1:2], null, s28, s22, v[1:2]
	v_rcp_f32_e32 v8, v3
	v_div_scale_f32 v7, vcc_lo, 1.0, v5, 1.0
	v_cmp_eq_u32_e64 s0, 0, v0
	v_cvt_f32_f16_e32 v10, v44
	v_lshrrev_b32_e32 v11, 16, v43
	v_mad_co_u64_u32 v[1:2], null, v1, s23, s[30:31]
	v_lshrrev_b32_e32 v13, 16, v45
	v_lshrrev_b32_e32 v14, 16, v46
	s_delay_alu instid0(TRANS32_DEP_1)
	v_fma_f32 v6, -v3, v8, 1.0
	v_cvt_f32_f16_e32 v12, v43
	v_cvt_f32_f16_e32 v11, v11
	;; [unrolled: 1-line block ×4, first 2 shown]
	v_fmac_f32_e32 v8, v6, v8
	v_lshrrev_b32_e32 v6, 16, v44
	s_wait_kmcnt 0x0
	v_mad_co_u64_u32 v[0:1], null, s1, v1, s[10:11]
	s_cmp_lg_u32 s1, 1
	v_dual_mul_f32 v9, v7, v8 :: v_dual_mov_b32 v2, 0
	v_cvt_f32_f16_e32 v18, v6
	s_cselect_b32 s1, -1, 0
	v_cvt_f32_f16_e32 v13, v13
	s_delay_alu instid0(VALU_DEP_3) | instskip(SKIP_3) | instid1(VALU_DEP_2)
	v_fma_f32 v1, -v3, v9, v7
	v_cvt_f32_f16_e32 v19, v14
	s_wait_alu 0xfffe
	s_and_b32 s0, s0, s1
	v_fmac_f32_e32 v9, v1, v8
	v_lshl_add_u32 v1, v0, 8, v40
	s_delay_alu instid0(VALU_DEP_2) | instskip(NEXT) | instid1(VALU_DEP_2)
	v_fma_f32 v3, -v3, v9, v7
	v_lshlrev_b64_e32 v[6:7], 2, v[1:2]
	v_add_nc_u32_e32 v1, 0x80, v1
	s_wait_alu 0xfffd
	s_delay_alu instid0(VALU_DEP_3) | instskip(NEXT) | instid1(VALU_DEP_2)
	v_div_fmas_f32 v3, v3, v8, v9
	v_lshlrev_b64_e32 v[1:2], 2, v[1:2]
	s_delay_alu instid0(VALU_DEP_4) | instskip(NEXT) | instid1(VALU_DEP_3)
	v_add_co_u32 v14, vcc_lo, s16, v6
	v_div_fixup_f32 v3, v3, v5, 1.0
	s_wait_alu 0xfffd
	v_add_co_ci_u32_e64 v15, null, s17, v7, vcc_lo
	s_delay_alu instid0(VALU_DEP_4) | instskip(NEXT) | instid1(VALU_DEP_3)
	v_add_co_u32 v1, vcc_lo, s16, v1
	v_cndmask_b32_e64 v3, v3, 1.0, s1
	s_wait_alu 0xfffd
	v_add_co_ci_u32_e64 v2, null, s17, v2, vcc_lo
	s_delay_alu instid0(VALU_DEP_2)
	v_mul_f32_e32 v9, v3, v18
	v_mul_f32_e32 v8, v3, v10
	;; [unrolled: 1-line block ×8, first 2 shown]
	s_clause 0x1
	global_store_b128 v[14:15], v[6:9], off
	global_store_b128 v[1:2], v[10:13], off
	s_wait_alu 0xfffe
	s_and_b32 exec_lo, exec_lo, s0
	s_cbranch_execz .LBB73_37
; %bb.36:
	v_ashrrev_i32_e32 v1, 31, v0
	s_delay_alu instid0(VALU_DEP_1) | instskip(NEXT) | instid1(VALU_DEP_1)
	v_lshlrev_b64_e32 v[0:1], 3, v[0:1]
	v_add_co_u32 v0, vcc_lo, s18, v0
	s_wait_alu 0xfffd
	s_delay_alu instid0(VALU_DEP_2)
	v_add_co_ci_u32_e64 v1, null, s19, v1, vcc_lo
	global_store_b64 v[0:1], v[4:5], off
.LBB73_37:
	s_nop 0
	s_sendmsg sendmsg(MSG_DEALLOC_VGPRS)
	s_endpgm
	.section	.rodata,"a",@progbits
	.p2align	6, 0x0
	.amdhsa_kernel _ZL15flash_attn_tileILi256ELi256ELi4ELi1ELb1EEvPKcS1_S1_S1_S1_PKiPfP15HIP_vector_typeIfLj2EEffffjfiS5_IjLj3EEiiiiiiiiiiiliiliiiiil
		.amdhsa_group_segment_fixed_size 19200
		.amdhsa_private_segment_fixed_size 32
		.amdhsa_kernarg_size 464
		.amdhsa_user_sgpr_count 2
		.amdhsa_user_sgpr_dispatch_ptr 0
		.amdhsa_user_sgpr_queue_ptr 0
		.amdhsa_user_sgpr_kernarg_segment_ptr 1
		.amdhsa_user_sgpr_dispatch_id 0
		.amdhsa_user_sgpr_private_segment_size 0
		.amdhsa_wavefront_size32 1
		.amdhsa_uses_dynamic_stack 0
		.amdhsa_enable_private_segment 1
		.amdhsa_system_sgpr_workgroup_id_x 1
		.amdhsa_system_sgpr_workgroup_id_y 1
		.amdhsa_system_sgpr_workgroup_id_z 1
		.amdhsa_system_sgpr_workgroup_info 0
		.amdhsa_system_vgpr_workitem_id 1
		.amdhsa_next_free_vgpr 235
		.amdhsa_next_free_sgpr 48
		.amdhsa_reserve_vcc 1
		.amdhsa_float_round_mode_32 0
		.amdhsa_float_round_mode_16_64 0
		.amdhsa_float_denorm_mode_32 3
		.amdhsa_float_denorm_mode_16_64 3
		.amdhsa_fp16_overflow 0
		.amdhsa_workgroup_processor_mode 1
		.amdhsa_memory_ordered 1
		.amdhsa_forward_progress 1
		.amdhsa_inst_pref_size 119
		.amdhsa_round_robin_scheduling 0
		.amdhsa_exception_fp_ieee_invalid_op 0
		.amdhsa_exception_fp_denorm_src 0
		.amdhsa_exception_fp_ieee_div_zero 0
		.amdhsa_exception_fp_ieee_overflow 0
		.amdhsa_exception_fp_ieee_underflow 0
		.amdhsa_exception_fp_ieee_inexact 0
		.amdhsa_exception_int_div_zero 0
	.end_amdhsa_kernel
	.section	.text._ZL15flash_attn_tileILi256ELi256ELi4ELi1ELb1EEvPKcS1_S1_S1_S1_PKiPfP15HIP_vector_typeIfLj2EEffffjfiS5_IjLj3EEiiiiiiiiiiiliiliiiiil,"axG",@progbits,_ZL15flash_attn_tileILi256ELi256ELi4ELi1ELb1EEvPKcS1_S1_S1_S1_PKiPfP15HIP_vector_typeIfLj2EEffffjfiS5_IjLj3EEiiiiiiiiiiiliiliiiiil,comdat
.Lfunc_end73:
	.size	_ZL15flash_attn_tileILi256ELi256ELi4ELi1ELb1EEvPKcS1_S1_S1_S1_PKiPfP15HIP_vector_typeIfLj2EEffffjfiS5_IjLj3EEiiiiiiiiiiiliiliiiiil, .Lfunc_end73-_ZL15flash_attn_tileILi256ELi256ELi4ELi1ELb1EEvPKcS1_S1_S1_S1_PKiPfP15HIP_vector_typeIfLj2EEffffjfiS5_IjLj3EEiiiiiiiiiiiliiliiiiil
                                        ; -- End function
	.set _ZL15flash_attn_tileILi256ELi256ELi4ELi1ELb1EEvPKcS1_S1_S1_S1_PKiPfP15HIP_vector_typeIfLj2EEffffjfiS5_IjLj3EEiiiiiiiiiiiliiliiiiil.num_vgpr, 235
	.set _ZL15flash_attn_tileILi256ELi256ELi4ELi1ELb1EEvPKcS1_S1_S1_S1_PKiPfP15HIP_vector_typeIfLj2EEffffjfiS5_IjLj3EEiiiiiiiiiiiliiliiiiil.num_agpr, 0
	.set _ZL15flash_attn_tileILi256ELi256ELi4ELi1ELb1EEvPKcS1_S1_S1_S1_PKiPfP15HIP_vector_typeIfLj2EEffffjfiS5_IjLj3EEiiiiiiiiiiiliiliiiiil.numbered_sgpr, 48
	.set _ZL15flash_attn_tileILi256ELi256ELi4ELi1ELb1EEvPKcS1_S1_S1_S1_PKiPfP15HIP_vector_typeIfLj2EEffffjfiS5_IjLj3EEiiiiiiiiiiiliiliiiiil.num_named_barrier, 0
	.set _ZL15flash_attn_tileILi256ELi256ELi4ELi1ELb1EEvPKcS1_S1_S1_S1_PKiPfP15HIP_vector_typeIfLj2EEffffjfiS5_IjLj3EEiiiiiiiiiiiliiliiiiil.private_seg_size, 32
	.set _ZL15flash_attn_tileILi256ELi256ELi4ELi1ELb1EEvPKcS1_S1_S1_S1_PKiPfP15HIP_vector_typeIfLj2EEffffjfiS5_IjLj3EEiiiiiiiiiiiliiliiiiil.uses_vcc, 1
	.set _ZL15flash_attn_tileILi256ELi256ELi4ELi1ELb1EEvPKcS1_S1_S1_S1_PKiPfP15HIP_vector_typeIfLj2EEffffjfiS5_IjLj3EEiiiiiiiiiiiliiliiiiil.uses_flat_scratch, 1
	.set _ZL15flash_attn_tileILi256ELi256ELi4ELi1ELb1EEvPKcS1_S1_S1_S1_PKiPfP15HIP_vector_typeIfLj2EEffffjfiS5_IjLj3EEiiiiiiiiiiiliiliiiiil.has_dyn_sized_stack, 0
	.set _ZL15flash_attn_tileILi256ELi256ELi4ELi1ELb1EEvPKcS1_S1_S1_S1_PKiPfP15HIP_vector_typeIfLj2EEffffjfiS5_IjLj3EEiiiiiiiiiiiliiliiiiil.has_recursion, 0
	.set _ZL15flash_attn_tileILi256ELi256ELi4ELi1ELb1EEvPKcS1_S1_S1_S1_PKiPfP15HIP_vector_typeIfLj2EEffffjfiS5_IjLj3EEiiiiiiiiiiiliiliiiiil.has_indirect_call, 0
	.section	.AMDGPU.csdata,"",@progbits
; Kernel info:
; codeLenInByte = 15160
; TotalNumSgprs: 50
; NumVgprs: 235
; ScratchSize: 32
; MemoryBound: 0
; FloatMode: 240
; IeeeMode: 1
; LDSByteSize: 19200 bytes/workgroup (compile time only)
; SGPRBlocks: 0
; VGPRBlocks: 29
; NumSGPRsForWavesPerEU: 50
; NumVGPRsForWavesPerEU: 235
; Occupancy: 6
; WaveLimiterHint : 1
; COMPUTE_PGM_RSRC2:SCRATCH_EN: 1
; COMPUTE_PGM_RSRC2:USER_SGPR: 2
; COMPUTE_PGM_RSRC2:TRAP_HANDLER: 0
; COMPUTE_PGM_RSRC2:TGID_X_EN: 1
; COMPUTE_PGM_RSRC2:TGID_Y_EN: 1
; COMPUTE_PGM_RSRC2:TGID_Z_EN: 1
; COMPUTE_PGM_RSRC2:TIDIG_COMP_CNT: 1
	.section	.text._ZL15flash_attn_tileILi256ELi256ELi2ELi1ELb1EEvPKcS1_S1_S1_S1_PKiPfP15HIP_vector_typeIfLj2EEffffjfiS5_IjLj3EEiiiiiiiiiiiliiliiiiil,"axG",@progbits,_ZL15flash_attn_tileILi256ELi256ELi2ELi1ELb1EEvPKcS1_S1_S1_S1_PKiPfP15HIP_vector_typeIfLj2EEffffjfiS5_IjLj3EEiiiiiiiiiiiliiliiiiil,comdat
	.globl	_ZL15flash_attn_tileILi256ELi256ELi2ELi1ELb1EEvPKcS1_S1_S1_S1_PKiPfP15HIP_vector_typeIfLj2EEffffjfiS5_IjLj3EEiiiiiiiiiiiliiliiiiil ; -- Begin function _ZL15flash_attn_tileILi256ELi256ELi2ELi1ELb1EEvPKcS1_S1_S1_S1_PKiPfP15HIP_vector_typeIfLj2EEffffjfiS5_IjLj3EEiiiiiiiiiiiliiliiiiil
	.p2align	8
	.type	_ZL15flash_attn_tileILi256ELi256ELi2ELi1ELb1EEvPKcS1_S1_S1_S1_PKiPfP15HIP_vector_typeIfLj2EEffffjfiS5_IjLj3EEiiiiiiiiiiiliiliiiiil,@function
_ZL15flash_attn_tileILi256ELi256ELi2ELi1ELb1EEvPKcS1_S1_S1_S1_PKiPfP15HIP_vector_typeIfLj2EEffffjfiS5_IjLj3EEiiiiiiiiiiiliiliiiiil: ; @_ZL15flash_attn_tileILi256ELi256ELi2ELi1ELb1EEvPKcS1_S1_S1_S1_PKiPfP15HIP_vector_typeIfLj2EEffffjfiS5_IjLj3EEiiiiiiiiiiiliiliiiiil
; %bb.0:
	s_clause 0x1
	s_load_b128 s[20:23], s[0:1], 0x5c
	s_load_b64 s[2:3], s[0:1], 0x80
	s_lshr_b32 s6, ttmp7, 16
	s_load_b64 s[40:41], s[0:1], 0xb8
	s_mov_b32 s39, 0
	s_mov_b64 s[34:35], 0
	s_wait_kmcnt 0x0
	s_cvt_f32_u32 s4, s23
	s_sub_co_i32 s5, 0, s23
	s_delay_alu instid0(SALU_CYCLE_2) | instskip(NEXT) | instid1(TRANS32_DEP_1)
	v_rcp_iflag_f32_e32 v1, s4
	v_readfirstlane_b32 s4, v1
	s_mul_f32 s4, s4, 0x4f7ffffe
	s_wait_alu 0xfffe
	s_delay_alu instid0(SALU_CYCLE_2) | instskip(SKIP_1) | instid1(SALU_CYCLE_2)
	s_cvt_u32_f32 s4, s4
	s_wait_alu 0xfffe
	s_mul_i32 s5, s5, s4
	s_wait_alu 0xfffe
	s_mul_hi_u32 s5, s4, s5
	s_wait_alu 0xfffe
	s_add_co_i32 s4, s4, s5
	s_wait_alu 0xfffe
	s_mul_hi_u32 s4, s6, s4
	s_wait_alu 0xfffe
	s_mul_i32 s5, s4, s23
	s_add_co_i32 s7, s4, 1
	s_wait_alu 0xfffe
	s_sub_co_i32 s5, s6, s5
	s_wait_alu 0xfffe
	s_sub_co_i32 s8, s5, s23
	s_cmp_ge_u32 s5, s23
	s_cselect_b32 s4, s7, s4
	s_cselect_b32 s5, s8, s5
	s_wait_alu 0xfffe
	s_add_co_i32 s7, s4, 1
	s_cmp_ge_u32 s5, s23
	s_cselect_b32 s28, s7, s4
	s_abs_i32 s4, s3
	s_abs_i32 s9, s23
	s_wait_alu 0xfffe
	s_cvt_f32_u32 s5, s4
	s_sub_co_i32 s7, 0, s4
	s_mul_i32 s8, s28, s23
	s_xor_b32 s3, s23, s3
	s_wait_alu 0xfffe
	v_rcp_iflag_f32_e32 v1, s5
	s_sub_co_i32 s30, s6, s8
	s_ashr_i32 s3, s3, 31
	s_delay_alu instid0(TRANS32_DEP_1) | instskip(SKIP_2) | instid1(SALU_CYCLE_2)
	v_readfirstlane_b32 s5, v1
	s_mul_f32 s5, s5, 0x4f7ffffe
	s_wait_alu 0xfffe
	s_cvt_u32_f32 s5, s5
	s_wait_alu 0xfffe
	s_delay_alu instid0(SALU_CYCLE_2) | instskip(NEXT) | instid1(SALU_CYCLE_1)
	s_mul_i32 s7, s7, s5
	s_mul_hi_u32 s7, s5, s7
	s_delay_alu instid0(SALU_CYCLE_1)
	s_add_co_i32 s5, s5, s7
	s_wait_alu 0xfffe
	s_mul_hi_u32 s5, s9, s5
	s_wait_alu 0xfffe
	s_mul_i32 s6, s5, s4
	s_add_co_i32 s7, s5, 1
	s_sub_co_i32 s6, s9, s6
	s_delay_alu instid0(SALU_CYCLE_1)
	s_sub_co_i32 s8, s6, s4
	s_cmp_ge_u32 s6, s4
	s_cselect_b32 s5, s7, s5
	s_cselect_b32 s6, s8, s6
	s_wait_alu 0xfffe
	s_add_co_i32 s7, s5, 1
	s_cmp_ge_u32 s6, s4
	s_cselect_b32 s4, s7, s5
	s_abs_i32 s38, s30
	s_wait_alu 0xfffe
	s_xor_b32 s4, s4, s3
	s_wait_alu 0xfffe
	s_sub_co_i32 s29, s4, s3
	s_delay_alu instid0(SALU_CYCLE_1) | instskip(NEXT) | instid1(SALU_CYCLE_1)
	s_abs_i32 s3, s29
	s_cvt_f32_u32 s4, s3
	s_sub_co_i32 s25, 0, s3
	s_wait_alu 0xfffe
	s_delay_alu instid0(SALU_CYCLE_1) | instskip(SKIP_1) | instid1(TRANS32_DEP_1)
	v_rcp_iflag_f32_e32 v1, s4
	s_load_b512 s[4:19], s[0:1], 0x0
	v_readfirstlane_b32 s24, v1
	s_mul_f32 s24, s24, 0x4f7ffffe
	s_delay_alu instid0(SALU_CYCLE_3) | instskip(NEXT) | instid1(SALU_CYCLE_3)
	s_cvt_u32_f32 s24, s24
	s_mul_i32 s25, s25, s24
	s_delay_alu instid0(SALU_CYCLE_1) | instskip(NEXT) | instid1(SALU_CYCLE_1)
	s_mul_hi_u32 s25, s24, s25
	s_add_co_i32 s42, s24, s25
	s_wait_kmcnt 0x0
	s_cmp_eq_u64 s[10:11], 0
	s_cbranch_scc1 .LBB74_2
; %bb.1:
	s_abs_i32 s26, s40
	s_delay_alu instid0(SALU_CYCLE_1) | instskip(NEXT) | instid1(SALU_CYCLE_3)
	s_cvt_f32_u32 s24, s26
	v_rcp_iflag_f32_e32 v1, s24
	s_delay_alu instid0(TRANS32_DEP_1) | instskip(SKIP_2) | instid1(SALU_CYCLE_2)
	v_readfirstlane_b32 s24, v1
	s_mul_f32 s24, s24, 0x4f7ffffe
	s_wait_alu 0xfffe
	s_cvt_u32_f32 s27, s24
	s_sub_co_i32 s24, 0, s26
	s_wait_alu 0xfffe
	s_delay_alu instid0(SALU_CYCLE_1) | instskip(SKIP_4) | instid1(SALU_CYCLE_1)
	s_mul_i32 s24, s24, s27
	s_wait_alu 0xfffe
	s_mul_hi_u32 s31, s27, s24
	s_load_b64 s[24:25], s[0:1], 0xc8
	s_add_co_i32 s27, s27, s31
	s_mul_hi_u32 s27, s28, s27
	s_delay_alu instid0(SALU_CYCLE_1) | instskip(NEXT) | instid1(SALU_CYCLE_1)
	s_mul_i32 s27, s27, s26
	s_sub_co_i32 s27, s28, s27
	s_delay_alu instid0(SALU_CYCLE_1) | instskip(SKIP_2) | instid1(SALU_CYCLE_1)
	s_sub_co_i32 s31, s27, s26
	s_cmp_ge_u32 s27, s26
	s_cselect_b32 s27, s31, s27
	s_sub_co_i32 s31, s27, s26
	s_cmp_ge_u32 s27, s26
	s_cselect_b32 s26, s31, s27
	s_delay_alu instid0(SALU_CYCLE_1)
	s_ashr_i32 s27, s26, 31
	s_wait_kmcnt 0x0
	s_mul_u64 s[24:25], s[24:25], s[26:27]
	s_wait_alu 0xfffe
	s_add_nc_u64 s[34:35], s[10:11], s[24:25]
.LBB74_2:
	s_clause 0x1
	s_load_b128 s[24:27], s[0:1], 0x40
	s_load_b64 s[36:37], s[0:1], 0x50
	v_mov_b32_e32 v56, 1.0
	s_mov_b32 s43, s39
	s_wait_kmcnt 0x0
	s_cmp_le_f32 s25, 0
	s_cbranch_scc1 .LBB74_4
; %bb.3:
	v_sub_co_u32 v1, s10, s30, s36
	s_and_b32 s25, s10, exec_lo
	s_cselect_b32 s25, s26, s27
	s_add_co_i32 s26, s30, 1
	v_readfirstlane_b32 s11, v1
	s_lshl_b32 s11, s11, 1
	s_delay_alu instid0(SALU_CYCLE_1)
	s_or_b32 s11, s11, 1
	s_and_b32 s10, s10, exec_lo
	s_cselect_b32 s10, s26, s11
	s_wait_alu 0xfffe
	s_cmp_neq_f32 s25, 1.0
	s_cvt_f32_i32 s10, s10
	s_delay_alu instid0(SALU_CYCLE_3) | instskip(NEXT) | instid1(SALU_CYCLE_1)
	s_cselect_b32 s11, s10, 1.0
	s_cmp_neq_f32 s11, 0
	s_cselect_b32 s10, s25, 1.0
	s_delay_alu instid0(SALU_CYCLE_1) | instskip(NEXT) | instid1(VALU_DEP_1)
	v_frexp_mant_f32_e64 v1, |s10|
	v_readfirstlane_b32 s25, v1
	v_cvt_f64_f32_e64 v[1:2], |s10|
	s_cmp_lt_f32 s25, 0x3f2aaaab
	s_cselect_b32 s26, -1, 0
	s_delay_alu instid0(SALU_CYCLE_1) | instskip(SKIP_1) | instid1(SALU_CYCLE_1)
	s_and_b32 s27, s26, exec_lo
	s_cselect_b32 s27, 2.0, 1.0
	s_mul_f32 s25, s25, s27
	s_wait_alu 0xfffe
	s_delay_alu instid0(SALU_CYCLE_2) | instskip(SKIP_1) | instid1(SALU_CYCLE_2)
	s_add_f32 s27, s25, 1.0
	s_add_f32 s33, s25, -1.0
	v_s_rcp_f32 s31, s27
	s_add_f32 s44, s27, -1.0
	s_delay_alu instid0(SALU_CYCLE_3) | instskip(NEXT) | instid1(TRANS32_DEP_1)
	s_sub_f32 s25, s25, s44
	s_mul_f32 s36, s33, s31
	s_wait_alu 0xfffe
	s_delay_alu instid0(SALU_CYCLE_2) | instskip(NEXT) | instid1(SALU_CYCLE_3)
	s_mul_f32 s40, s27, s36
	s_xor_b32 s45, s40, 0x80000000
	s_delay_alu instid0(VALU_DEP_1) | instskip(SKIP_1) | instid1(SALU_CYCLE_3)
	v_frexp_exp_i32_f64_e32 v1, v[1:2]
	s_fmac_f32 s45, s36, s27
	s_fmac_f32 s45, s36, s25
	s_delay_alu instid0(SALU_CYCLE_3) | instskip(SKIP_1) | instid1(SALU_CYCLE_2)
	s_add_f32 s25, s40, s45
	s_wait_alu 0xfffe
	s_sub_f32 s27, s33, s25
	s_sub_f32 s40, s25, s40
	s_wait_alu 0xfffe
	s_delay_alu instid0(SALU_CYCLE_1) | instskip(NEXT) | instid1(SALU_CYCLE_1)
	s_sub_f32 s33, s33, s27
	s_sub_f32 s40, s40, s45
	s_delay_alu instid0(SALU_CYCLE_2) | instskip(SKIP_1) | instid1(SALU_CYCLE_2)
	s_sub_f32 s25, s33, s25
	s_wait_alu 0xfffe
	s_add_f32 s25, s40, s25
	s_mov_b32 s40, 0x3e76c4e1
	s_wait_alu 0xfffe
	s_delay_alu instid0(SALU_CYCLE_1) | instskip(SKIP_1) | instid1(SALU_CYCLE_2)
	s_add_f32 s25, s27, s25
	s_wait_alu 0xfffe
	s_mul_f32 s25, s31, s25
	s_wait_alu 0xfffe
	s_delay_alu instid0(SALU_CYCLE_2) | instskip(SKIP_1) | instid1(SALU_CYCLE_2)
	s_add_f32 s27, s36, s25
	s_wait_alu 0xfffe
	s_sub_f32 s31, s27, s36
	s_mul_f32 s33, s27, s27
	s_wait_alu 0xfffe
	s_delay_alu instid0(SALU_CYCLE_1) | instskip(NEXT) | instid1(SALU_CYCLE_1)
	s_sub_f32 s25, s25, s31
	s_xor_b32 s31, s33, 0x80000000
	s_wait_alu 0xfffe
	s_fmac_f32 s31, s27, s27
	s_add_f32 s36, s25, s25
	s_wait_alu 0xfffe
	s_delay_alu instid0(SALU_CYCLE_2) | instskip(SKIP_1) | instid1(SALU_CYCLE_2)
	s_fmac_f32 s31, s27, s36
	s_wait_alu 0xfffe
	s_add_f32 s36, s33, s31
	s_wait_alu 0xfffe
	s_delay_alu instid0(SALU_CYCLE_2) | instskip(SKIP_1) | instid1(SALU_CYCLE_2)
	s_fmaak_f32 s40, s36, s40, 0x3e91f4c4
	s_sub_f32 s33, s36, s33
	s_fmaak_f32 s40, s36, s40, 0x3ecccdef
	s_delay_alu instid0(SALU_CYCLE_2) | instskip(SKIP_1) | instid1(SALU_CYCLE_1)
	s_sub_f32 s31, s31, s33
	s_mul_f32 s33, s27, s36
	s_mul_f32 s44, s36, s40
	s_delay_alu instid0(SALU_CYCLE_2) | instskip(NEXT) | instid1(SALU_CYCLE_2)
	s_xor_b32 s46, s33, 0x80000000
	s_xor_b32 s45, s44, 0x80000000
	s_fmac_f32 s46, s36, s27
	s_fmac_f32 s45, s36, s40
	s_delay_alu instid0(SALU_CYCLE_2) | instskip(SKIP_1) | instid1(SALU_CYCLE_1)
	s_fmac_f32 s46, s36, s25
	s_wait_alu 0xfffe
	s_fmac_f32 s45, s31, s40
	s_delay_alu instid0(SALU_CYCLE_1) | instskip(NEXT) | instid1(SALU_CYCLE_2)
	s_fmac_f32 s46, s31, s27
	s_add_f32 s40, s44, s45
	s_delay_alu instid0(SALU_CYCLE_3) | instskip(SKIP_1) | instid1(SALU_CYCLE_2)
	s_sub_f32 s44, s40, s44
	s_add_f32 s47, s40, 0x3f2aaaaa
	s_sub_f32 s44, s45, s44
	s_delay_alu instid0(SALU_CYCLE_2) | instskip(NEXT) | instid1(SALU_CYCLE_2)
	s_add_f32 s45, s47, 0xbf2aaaaa
	s_add_f32 s36, s44, 0x31739010
	s_delay_alu instid0(SALU_CYCLE_2) | instskip(SKIP_1) | instid1(SALU_CYCLE_2)
	s_sub_f32 s40, s40, s45
	s_wait_alu 0xfffe
	s_add_f32 s31, s36, s40
	s_add_f32 s36, s33, s46
	s_wait_alu 0xfffe
	s_delay_alu instid0(SALU_CYCLE_1) | instskip(NEXT) | instid1(SALU_CYCLE_1)
	s_add_f32 s40, s47, s31
	s_sub_f32 s33, s36, s33
	s_delay_alu instid0(SALU_CYCLE_2) | instskip(SKIP_1) | instid1(SALU_CYCLE_1)
	s_mul_f32 s44, s36, s40
	s_sub_f32 s45, s47, s40
	s_sub_f32 s33, s46, s33
	s_delay_alu instid0(SALU_CYCLE_1) | instskip(NEXT) | instid1(SALU_CYCLE_1)
	s_xor_b32 s47, s44, 0x80000000
	s_add_f32 s31, s31, s45
	s_fmac_f32 s47, s36, s40
	v_readfirstlane_b32 s45, v1
	v_ldexp_f32 v1, s27, 1
	s_cmp_lg_u32 s26, 0
	s_wait_alu 0xfffe
	s_fmac_f32 s47, s36, s31
	s_sub_co_ci_u32 s26, s45, 0
	v_readfirstlane_b32 s27, v1
	s_delay_alu instid0(SALU_CYCLE_1)
	s_fmac_f32 s47, s33, s40
	s_wait_alu 0xfffe
	s_cvt_f32_i32 s26, s26
	v_ldexp_f32 v1, s25, 1
	s_add_f32 s31, s44, s47
	s_wait_alu 0xfffe
	s_mul_f32 s25, s26, 0x3f317218
	s_delay_alu instid0(VALU_DEP_1)
	v_readfirstlane_b32 s40, v1
	s_add_f32 s33, s27, s31
	s_sub_f32 s36, s31, s44
	s_wait_alu 0xfffe
	s_xor_b32 s44, s25, 0x80000000
	s_sub_f32 s27, s33, s27
	s_sub_f32 s36, s47, s36
	s_fmamk_f32 s44, s26, 0x3f317218, s44
	s_wait_alu 0xfffe
	s_sub_f32 s27, s31, s27
	s_add_f32 s31, s40, s36
	s_fmamk_f32 s26, s26, 0xb102e308, s44
	s_wait_alu 0xfffe
	s_delay_alu instid0(SALU_CYCLE_1) | instskip(NEXT) | instid1(SALU_CYCLE_1)
	s_add_f32 s27, s31, s27
	s_add_f32 s31, s25, s26
	s_wait_alu 0xfffe
	s_delay_alu instid0(SALU_CYCLE_1) | instskip(NEXT) | instid1(SALU_CYCLE_1)
	s_add_f32 s36, s33, s27
	s_sub_f32 s25, s31, s25
	s_wait_alu 0xfffe
	s_delay_alu instid0(SALU_CYCLE_1) | instskip(SKIP_2) | instid1(SALU_CYCLE_1)
	s_add_f32 s40, s31, s36
	s_sub_f32 s33, s36, s33
	s_sub_f32 s25, s26, s25
	;; [unrolled: 1-line block ×3, first 2 shown]
	s_delay_alu instid0(SALU_CYCLE_1) | instskip(NEXT) | instid1(SALU_CYCLE_2)
	s_sub_f32 s26, s27, s33
	s_sub_f32 s45, s40, s44
	;; [unrolled: 1-line block ×3, first 2 shown]
	s_wait_alu 0xfffe
	s_add_f32 s33, s25, s26
	s_sub_f32 s31, s31, s45
	s_wait_alu 0xfffe
	s_delay_alu instid0(SALU_CYCLE_2) | instskip(SKIP_2) | instid1(SALU_CYCLE_1)
	s_add_f32 s27, s27, s31
	s_sub_f32 s31, s33, s25
	s_wait_alu 0xfffe
	s_add_f32 s27, s33, s27
	s_delay_alu instid0(SALU_CYCLE_1)
	s_sub_f32 s33, s33, s31
	s_sub_f32 s26, s26, s31
	s_wait_alu 0xfffe
	s_add_f32 s36, s40, s27
	s_sub_f32 s25, s25, s33
	s_wait_alu 0xfffe
	s_delay_alu instid0(SALU_CYCLE_1) | instskip(NEXT) | instid1(SALU_CYCLE_1)
	s_sub_f32 s31, s36, s40
	s_add_f32 s25, s26, s25
	s_wait_alu 0xfffe
	s_delay_alu instid0(SALU_CYCLE_1) | instskip(SKIP_1) | instid1(SALU_CYCLE_2)
	s_sub_f32 s26, s27, s31
	s_wait_alu 0xfffe
	s_add_f32 s25, s25, s26
	s_wait_alu 0xfffe
	s_delay_alu instid0(SALU_CYCLE_2) | instskip(SKIP_1) | instid1(SALU_CYCLE_2)
	s_add_f32 s26, s36, s25
	s_wait_alu 0xfffe
	s_mul_f32 s27, s11, s26
	s_sub_f32 s31, s26, s36
	s_wait_alu 0xfffe
	s_delay_alu instid0(SALU_CYCLE_1) | instskip(NEXT) | instid1(SALU_CYCLE_1)
	s_xor_b32 s33, s27, 0x80000000
	s_sub_f32 s25, s25, s31
	s_fmac_f32 s33, s11, s26
	s_wait_alu 0xfffe
	s_delay_alu instid0(SALU_CYCLE_2) | instskip(SKIP_1) | instid1(SALU_CYCLE_2)
	s_fmac_f32 s33, s11, s25
	v_cmp_class_f32_e64 s25, s27, 0x204
	s_add_f32 s26, s27, s33
	s_and_b32 s25, s25, exec_lo
	s_wait_alu 0xfffe
	s_delay_alu instid0(SALU_CYCLE_1)
	s_sub_f32 s25, s26, s27
	s_cselect_b32 s26, s27, s26
	s_wait_alu 0xfffe
	s_and_b32 s27, s26, 0x7fffffff
	s_sub_f32 s25, s33, s25
	s_wait_alu 0xfffe
	s_cmp_neq_f32 s27, 0x7f800000
	s_delay_alu instid0(SALU_CYCLE_1)
	s_cselect_b32 s25, s25, 0
	s_cmp_eq_f32 s26, 0x42b17218
	s_cselect_b32 s27, 0x37000000, 0
	s_wait_alu 0xfffe
	s_sub_f32 s26, s26, s27
	s_add_f32 s25, s27, s25
	s_wait_alu 0xfffe
	s_delay_alu instid0(SALU_CYCLE_1) | instskip(SKIP_1) | instid1(SALU_CYCLE_2)
	s_mul_f32 s31, s26, 0x3fb8aa3b
	s_wait_alu 0xfffe
	s_xor_b32 s33, s31, 0x80000000
	s_rndne_f32 s36, s31
	s_fmamk_f32 s33, s26, 0x3fb8aa3b, s33
	s_cmp_nlt_f32 s26, 0xc2ce8ed0
	s_wait_alu 0xfffe
	s_sub_f32 s31, s31, s36
	s_fmamk_f32 s33, s26, 0x32a5705f, s33
	s_cselect_b32 vcc_lo, -1, 0
	s_cmp_ngt_f32 s26, 0x42b17218
	s_trunc_f32 s26, s11
	s_wait_alu 0xfffe
	s_add_f32 s31, s31, s33
	s_cvt_i32_f32 s33, s36
	s_wait_alu 0xfffe
	s_delay_alu instid0(SALU_CYCLE_1) | instskip(SKIP_1) | instid1(TRANS32_DEP_1)
	v_s_exp_f32 s31, s31
	s_wait_alu 0xf1ff
	v_ldexp_f32 v1, s31, s33
	s_mul_f32 s31, s11, 0.5
	s_delay_alu instid0(VALU_DEP_1)
	v_cndmask_b32_e32 v1, 0, v1, vcc_lo
	s_cselect_b32 vcc_lo, -1, 0
	s_cmp_eq_f32 s26, s11
	s_wait_alu 0xfffe
	s_trunc_f32 s33, s31
	v_cndmask_b32_e32 v1, 0x7f800000, v1, vcc_lo
	s_cselect_b32 s36, -1, 0
	s_wait_alu 0xfffe
	s_cmp_neq_f32 s33, s31
	s_delay_alu instid0(VALU_DEP_1)
	v_fma_f32 v2, s25, v1, v1
	v_cmp_class_f32_e64 vcc_lo, v1, 0x204
	s_cselect_b32 s27, -1, 0
	s_wait_alu 0xfffe
	s_and_b32 s25, s36, s27
	s_wait_alu 0xfffd
	v_cndmask_b32_e32 v1, v2, v1, vcc_lo
	s_wait_alu 0xfffe
	s_and_b32 s27, s25, exec_lo
	s_cselect_b32 s27, s10, 1.0
	s_cmp_eq_f32 s26, s11
	v_cmp_class_f32_e64 s26, s10, 0x204
	s_wait_alu 0xfffe
	v_bfi_b32 v1, 0x7fffffff, v1, s27
	s_cselect_b32 vcc_lo, -1, 0
	s_cmp_lt_f32 s10, 0
	s_wait_alu 0xfffe
	s_delay_alu instid0(VALU_DEP_1) | instskip(SKIP_3) | instid1(VALU_DEP_1)
	v_cndmask_b32_e32 v2, 0x7fc00000, v1, vcc_lo
	s_cselect_b32 vcc_lo, -1, 0
	s_cmp_eq_f32 s10, 0
	s_wait_alu 0xfffe
	v_cndmask_b32_e32 v1, v1, v2, vcc_lo
	s_cselect_b32 s27, -1, 0
	s_wait_alu 0xfffe
	s_or_b32 vcc_lo, s27, s26
	s_cmp_lt_f32 s11, 0
	s_cselect_b32 s11, -1, 0
	s_wait_alu 0xfffe
	s_xor_b32 s11, s11, s27
	s_wait_alu 0xfffe
	s_and_b32 s11, s11, exec_lo
	s_cselect_b32 s11, 0, 0x7f800000
	s_and_b32 s25, s25, exec_lo
	s_cselect_b32 s25, s10, 0
	s_cmp_o_f32 s10, s10
	s_wait_alu 0xfffe
	v_mov_b32_e32 v2, s25
	s_delay_alu instid0(VALU_DEP_1) | instskip(NEXT) | instid1(VALU_DEP_1)
	v_bfi_b32 v2, 0x7fffffff, s11, v2
	v_cndmask_b32_e32 v1, v1, v2, vcc_lo
	s_cselect_b32 vcc_lo, -1, 0
	s_wait_alu 0xfffe
	s_delay_alu instid0(VALU_DEP_1)
	v_cndmask_b32_e32 v56, 0x7fc00000, v1, vcc_lo
.LBB74_4:
	v_bfe_u32 v74, v0, 10, 10
	s_load_b96 s[44:46], s[0:1], 0x70
	v_and_b32_e32 v80, 0x3ff, v0
	s_ashr_i32 s31, s30, 31
	v_mov_b32_e32 v96, 0
	v_lshl_add_u32 v79, ttmp9, 1, v74
	v_lshlrev_b32_e32 v55, 9, v74
	v_lshlrev_b32_e32 v90, 3, v80
	;; [unrolled: 1-line block ×3, first 2 shown]
	s_delay_alu instid0(VALU_DEP_4) | instskip(NEXT) | instid1(VALU_DEP_4)
	v_mul_hi_u32 v1, s20, v79
	v_add_nc_u32_e32 v58, 0x1200, v55
	s_delay_alu instid0(VALU_DEP_2) | instskip(SKIP_3) | instid1(VALU_DEP_1)
	v_add_nc_u32_e32 v1, v79, v1
	s_wait_kmcnt 0x0
	s_mul_i32 s10, s30, s45
	s_ashr_i32 s45, s44, 31
	v_lshrrev_b32_e32 v1, s21, v1
	s_lshr_b64 s[20:21], s[44:45], 2
	s_lshr_b32 s11, s45, 2
	s_delay_alu instid0(VALU_DEP_1) | instskip(NEXT) | instid1(VALU_DEP_1)
	v_mul_lo_u32 v1, v1, s22
	v_sub_nc_u32_e32 v57, v79, v1
	s_wait_alu 0xfffe
	s_delay_alu instid0(VALU_DEP_1)
	v_mad_co_u64_u32 v[1:2], null, s20, v57, 0
	s_mul_i32 s20, s28, s46
	s_wait_alu 0xfffe
	s_ashr_i32 s21, s20, 31
	s_wait_alu 0xfffe
	s_add_nc_u64 s[4:5], s[4:5], s[20:21]
	v_mad_co_u64_u32 v[2:3], null, s11, v57, v[2:3]
	s_ashr_i32 s11, s10, 31
	s_wait_alu 0xfffe
	s_add_nc_u64 s[4:5], s[4:5], s[10:11]
	s_ashr_i32 s10, s29, 31
	s_mov_b32 s29, 0
	s_cmp_eq_u64 s[14:15], 0
	v_lshlrev_b64_e32 v[0:1], 2, v[1:2]
	v_lshlrev_b32_e32 v2, 4, v80
	s_wait_alu 0xfffe
	s_delay_alu instid0(VALU_DEP_2) | instskip(SKIP_1) | instid1(VALU_DEP_3)
	v_add_co_u32 v0, vcc_lo, s4, v0
	s_wait_alu 0xfffd
	v_add_co_ci_u32_e64 v1, null, s5, v1, vcc_lo
	s_mul_u64 s[4:5], s[38:39], s[42:43]
	v_add_co_u32 v4, vcc_lo, v0, v2
	s_wait_alu 0xfffd
	v_add_co_ci_u32_e64 v5, null, 0, v1, vcc_lo
	s_clause 0x1
	global_load_b128 v[0:3], v[4:5], off
	global_load_b128 v[4:7], v[4:5], off offset:512
	s_wait_loadcnt 0x1
	v_fma_mixlo_f16 v0, s24, v0, 0
	v_fma_mixlo_f16 v1, s24, v1, 0
	s_wait_loadcnt 0x0
	v_fma_mixlo_f16 v4, s24, v4, 0
	v_fma_mixlo_f16 v5, s24, v5, 0
	;; [unrolled: 1-line block ×6, first 2 shown]
	v_lshlrev_b32_e32 v1, 16, v1
	v_and_b32_e32 v0, 0xffff, v0
	v_lshlrev_b32_e32 v5, 16, v5
	v_and_b32_e32 v4, 0xffff, v4
	;; [unrolled: 2-line block ×4, first 2 shown]
	v_or_b32_e32 v0, v1, v0
	v_or_b32_e32 v4, v5, v4
	v_add_nc_u32_e32 v5, v58, v90
	v_or3_b32 v1, v3, v2, 0
	v_or3_b32 v3, v7, v6, 0
	;; [unrolled: 1-line block ×4, first 2 shown]
	ds_store_2addr_b64 v5, v[0:1], v[2:3] offset1:32
	s_wait_dscnt 0x0
	s_barrier_signal -1
	s_barrier_wait -1
	global_inv scope:SCOPE_SE
	s_cbranch_scc1 .LBB74_6
; %bb.5:
	s_load_b32 s2, s[0:1], 0xd0
	s_mov_b32 s21, s29
	s_wait_kmcnt 0x0
	s_mul_i32 s2, s2, s28
	s_delay_alu instid0(SALU_CYCLE_1)
	s_add_co_i32 s20, s2, ttmp9
	s_wait_alu 0xfffe
	s_lshl_b64 s[20:21], s[20:21], 2
	s_wait_alu 0xfffe
	s_add_nc_u64 s[14:15], s[14:15], s[20:21]
	s_load_b32 s2, s[14:15], 0x0
.LBB74_6:
	s_clause 0x2
	s_load_b64 s[14:15], s[0:1], 0x8c
	s_load_b128 s[24:27], s[0:1], 0x98
	s_load_b64 s[20:21], s[0:1], 0xa8
	s_mul_i32 s4, s5, s3
	s_ashr_i32 s33, s41, 1
	s_wait_alu 0xfffe
	s_sub_co_i32 s38, s38, s4
	s_xor_b32 s11, s31, s10
	s_add_co_i32 s36, s5, 1
	s_sub_co_i32 s39, s38, s3
	v_lshrrev_b32_e32 v61, 3, v80
	v_and_b32_e32 v60, 28, v88
	v_mul_u32_u24_e32 v59, 0x90, v80
	v_lshlrev_b32_e32 v91, 2, v88
	v_mbcnt_lo_u32_b32 v89, -1, 0
	s_wait_kmcnt 0x0
	s_ashr_i32 s4, s14, 2
	s_ashr_i32 s10, s26, 2
	s_cmp_ge_u32 s38, s3
	s_mul_u64 s[24:25], s[24:25], s[28:29]
	s_mul_u64 s[20:21], s[20:21], s[28:29]
	s_wait_alu 0xfffe
	s_cselect_b32 s5, s36, s5
	s_add_nc_u64 s[6:7], s[6:7], s[24:25]
	s_add_nc_u64 s[24:25], s[8:9], s[20:21]
	s_cselect_b32 s8, s39, s38
	s_wait_alu 0xfffe
	s_add_co_i32 s9, s5, 1
	s_cmp_ge_u32 s8, s3
	v_mul_lo_u32 v36, s10, v74
	s_cselect_b32 s3, s9, s5
	s_and_b32 s8, ttmp7, 0xffff
	s_xor_b32 s5, s3, s11
	s_sub_co_i32 s3, s2, 32
	s_wait_alu 0xfffe
	s_sub_co_i32 s5, s5, s11
	s_lshl_b32 s20, s8, 5
	s_wait_alu 0xfffe
	s_mul_i32 s14, s5, s15
	s_mul_i32 s26, s5, s27
	s_ashr_i32 s15, s14, 31
	s_wait_alu 0xfffe
	s_ashr_i32 s27, s26, 31
	s_cmp_ge_i32 s20, s3
	s_add_nc_u64 s[6:7], s[6:7], s[14:15]
	s_wait_alu 0xfffe
	s_add_nc_u64 s[14:15], s[24:25], s[26:27]
	s_cbranch_scc1 .LBB74_17
; %bb.7:
	v_lshl_add_u32 v1, v74, 2, v61
	s_ashr_i32 s5, s4, 31
	s_lshl_b32 s11, s4, 3
	s_cmp_lg_u64 s[34:35], 0
	v_dual_mov_b32 v92, 0 :: v_dual_lshlrev_b32 v3, 2, v60
	v_mul_lo_u32 v0, s4, v1
	s_cselect_b32 s9, -1, 0
	s_lshl_b32 s21, s10, 1
	s_wait_alu 0xfffe
	v_dual_mov_b32 v93, 0 :: v_dual_add_nc_u32 v6, s21, v36
	v_lshl_add_u32 v13, v74, 9, v91
	v_ashrrev_i32_e32 v37, 31, v36
	s_delay_alu instid0(VALU_DEP_4) | instskip(NEXT) | instid1(VALU_DEP_4)
	v_dual_mov_b32 v75, 0xfeffffff :: v_dual_add_nc_u32 v2, s11, v0
	v_add_nc_u32_e32 v10, s21, v6
	v_mad_u32_u24 v64, 0x90, v1, v3
	v_ashrrev_i32_e32 v1, 31, v0
	s_delay_alu instid0(VALU_DEP_4) | instskip(NEXT) | instid1(VALU_DEP_4)
	v_dual_mov_b32 v95, 0 :: v_dual_add_nc_u32 v4, s11, v2
	v_add_nc_u32_e32 v12, s21, v10
	v_ashrrev_i32_e32 v3, 31, v2
	v_add_nc_u32_e32 v69, 0x400, v13
	v_ashrrev_i32_e32 v7, 31, v6
	;; [unrolled: 2-line block ×5, first 2 shown]
	v_ashrrev_i32_e32 v13, 31, v12
	v_lshl_add_u32 v62, v74, 6, 0x1600
	v_mad_co_u64_u32 v[38:39], null, v57, s33, v[80:81]
	v_lshlrev_b64_e32 v[39:40], 2, v[0:1]
	v_lshlrev_b64_e32 v[41:42], 2, v[2:3]
	;; [unrolled: 1-line block ×8, first 2 shown]
	v_dual_mov_b32 v94, 0 :: v_dual_add_nc_u32 v63, v55, v91
	v_lshl_add_u32 v65, v80, 1, v62
	v_dual_mov_b32 v73, 0 :: v_dual_add_nc_u32 v66, 0x480, v64
	v_add_nc_u32_e32 v67, 0x900, v64
	v_add_nc_u32_e32 v68, 0xd80, v64
	v_lshlrev_b32_e32 v72, 2, v60
	v_mbcnt_lo_u32_b32 v37, -1, 0
	s_ashr_i32 s11, s10, 31
	s_add_nc_u64 s[24:25], s[0:1], 0xd0
	s_mov_b32 s26, 0xbbbac73d
.LBB74_8:                               ; =>This Inner Loop Header: Depth=1
	s_ashr_i32 s21, s20, 31
	s_wait_alu 0xfffe
	s_mul_u64 s[38:39], s[20:21], s[4:5]
	s_wait_alu 0xfffe
	s_lshl_b64 s[38:39], s[38:39], 2
	s_wait_alu 0xfffe
	s_add_nc_u64 s[38:39], s[6:7], s[38:39]
	s_wait_alu 0xfffe
	v_add_co_u32 v0, vcc_lo, s38, v39
	s_wait_alu 0xfffd
	v_add_co_ci_u32_e64 v1, null, s39, v40, vcc_lo
	v_add_co_u32 v2, vcc_lo, s38, v41
	s_wait_alu 0xfffd
	v_add_co_ci_u32_e64 v3, null, s39, v42, vcc_lo
	;; [unrolled: 3-line block ×8, first 2 shown]
	s_clause 0x3
	global_load_b128 v[8:11], v[0:1], off
	global_load_b128 v[12:15], v[2:3], off
	;; [unrolled: 1-line block ×4, first 2 shown]
	s_wait_loadcnt 0x3
	ds_store_b128 v64, v[8:11]
	s_wait_loadcnt 0x2
	ds_store_b128 v66, v[12:15]
	;; [unrolled: 2-line block ×4, first 2 shown]
	s_wait_dscnt 0x0
	s_barrier_signal -1
	s_barrier_wait -1
	global_inv scope:SCOPE_SE
	ds_load_b128 v[9:12], v59
	ds_load_b128 v[13:16], v58
	v_mov_b32_e32 v8, 0
	s_wait_dscnt 0x0
	;;#ASMSTART
	v_dot2_f32_f16 v8, v9, v13, v8
	;;#ASMEND
	;;#ASMSTART
	v_dot2_f32_f16 v8, v10, v14, v8
	;;#ASMEND
	;;#ASMSTART
	v_dot2_f32_f16 v8, v11, v15, v8
	;;#ASMEND
	;;#ASMSTART
	v_dot2_f32_f16 v8, v12, v16, v8
	;;#ASMEND
	ds_load_b128 v[9:12], v59 offset:16
	ds_load_b128 v[13:16], v58 offset:16
	s_wait_dscnt 0x0
	;;#ASMSTART
	v_dot2_f32_f16 v8, v9, v13, v8
	;;#ASMEND
	;;#ASMSTART
	v_dot2_f32_f16 v8, v10, v14, v8
	;;#ASMEND
	;;#ASMSTART
	v_dot2_f32_f16 v8, v11, v15, v8
	;;#ASMEND
	;;#ASMSTART
	v_dot2_f32_f16 v8, v12, v16, v8
	;;#ASMEND
	ds_load_b128 v[9:12], v59 offset:32
	ds_load_b128 v[13:16], v58 offset:32
	;; [unrolled: 15-line block ×7, first 2 shown]
	s_wait_dscnt 0x0
	;;#ASMSTART
	v_dot2_f32_f16 v8, v9, v13, v8
	;;#ASMEND
	;;#ASMSTART
	v_dot2_f32_f16 v8, v10, v14, v8
	;;#ASMEND
	;; [unrolled: 3-line block ×4, first 2 shown]
	s_wait_loadcnt 0x0
	s_barrier_signal -1
	s_barrier_wait -1
	global_inv scope:SCOPE_SE
	s_clause 0x3
	global_load_b128 v[9:12], v[0:1], off offset:128
	global_load_b128 v[13:16], v[2:3], off offset:128
	;; [unrolled: 1-line block ×4, first 2 shown]
	s_wait_loadcnt 0x3
	ds_store_b128 v64, v[9:12]
	s_wait_loadcnt 0x2
	ds_store_b128 v66, v[13:16]
	;; [unrolled: 2-line block ×4, first 2 shown]
	s_wait_dscnt 0x0
	s_barrier_signal -1
	s_barrier_wait -1
	global_inv scope:SCOPE_SE
	ds_load_b128 v[9:12], v59
	ds_load_b128 v[13:16], v58 offset:128
	s_wait_dscnt 0x0
	;;#ASMSTART
	v_dot2_f32_f16 v8, v9, v13, v8
	;;#ASMEND
	;;#ASMSTART
	v_dot2_f32_f16 v8, v10, v14, v8
	;;#ASMEND
	;;#ASMSTART
	v_dot2_f32_f16 v8, v11, v15, v8
	;;#ASMEND
	;;#ASMSTART
	v_dot2_f32_f16 v8, v12, v16, v8
	;;#ASMEND
	ds_load_b128 v[9:12], v59 offset:16
	ds_load_b128 v[13:16], v58 offset:144
	s_wait_dscnt 0x0
	;;#ASMSTART
	v_dot2_f32_f16 v8, v9, v13, v8
	;;#ASMEND
	;;#ASMSTART
	v_dot2_f32_f16 v8, v10, v14, v8
	;;#ASMEND
	;;#ASMSTART
	v_dot2_f32_f16 v8, v11, v15, v8
	;;#ASMEND
	;;#ASMSTART
	v_dot2_f32_f16 v8, v12, v16, v8
	;;#ASMEND
	ds_load_b128 v[9:12], v59 offset:32
	;; [unrolled: 15-line block ×7, first 2 shown]
	ds_load_b128 v[13:16], v58 offset:240
	s_wait_dscnt 0x0
	;;#ASMSTART
	v_dot2_f32_f16 v8, v9, v13, v8
	;;#ASMEND
	;;#ASMSTART
	v_dot2_f32_f16 v8, v10, v14, v8
	;;#ASMEND
	;; [unrolled: 3-line block ×4, first 2 shown]
	s_wait_loadcnt 0x0
	s_barrier_signal -1
	s_barrier_wait -1
	global_inv scope:SCOPE_SE
	s_clause 0x3
	global_load_b128 v[9:12], v[0:1], off offset:256
	global_load_b128 v[13:16], v[2:3], off offset:256
	;; [unrolled: 1-line block ×4, first 2 shown]
	s_wait_loadcnt 0x3
	ds_store_b128 v64, v[9:12]
	s_wait_loadcnt 0x2
	ds_store_b128 v66, v[13:16]
	;; [unrolled: 2-line block ×4, first 2 shown]
	s_wait_dscnt 0x0
	s_barrier_signal -1
	s_barrier_wait -1
	global_inv scope:SCOPE_SE
	ds_load_b128 v[9:12], v59
	ds_load_b128 v[13:16], v58 offset:256
	s_wait_dscnt 0x0
	;;#ASMSTART
	v_dot2_f32_f16 v8, v9, v13, v8
	;;#ASMEND
	;;#ASMSTART
	v_dot2_f32_f16 v8, v10, v14, v8
	;;#ASMEND
	;;#ASMSTART
	v_dot2_f32_f16 v8, v11, v15, v8
	;;#ASMEND
	;;#ASMSTART
	v_dot2_f32_f16 v8, v12, v16, v8
	;;#ASMEND
	ds_load_b128 v[9:12], v59 offset:16
	ds_load_b128 v[13:16], v58 offset:272
	s_wait_dscnt 0x0
	;;#ASMSTART
	v_dot2_f32_f16 v8, v9, v13, v8
	;;#ASMEND
	;;#ASMSTART
	v_dot2_f32_f16 v8, v10, v14, v8
	;;#ASMEND
	;;#ASMSTART
	v_dot2_f32_f16 v8, v11, v15, v8
	;;#ASMEND
	;;#ASMSTART
	v_dot2_f32_f16 v8, v12, v16, v8
	;;#ASMEND
	ds_load_b128 v[9:12], v59 offset:32
	;; [unrolled: 15-line block ×7, first 2 shown]
	ds_load_b128 v[13:16], v58 offset:368
	s_wait_dscnt 0x0
	;;#ASMSTART
	v_dot2_f32_f16 v8, v9, v13, v8
	;;#ASMEND
	;;#ASMSTART
	v_dot2_f32_f16 v8, v10, v14, v8
	;;#ASMEND
	;; [unrolled: 3-line block ×4, first 2 shown]
	s_wait_loadcnt 0x0
	s_barrier_signal -1
	s_barrier_wait -1
	global_inv scope:SCOPE_SE
	s_clause 0x3
	global_load_b128 v[9:12], v[0:1], off offset:384
	global_load_b128 v[0:3], v[2:3], off offset:384
	;; [unrolled: 1-line block ×4, first 2 shown]
	s_wait_loadcnt 0x3
	ds_store_b128 v64, v[9:12]
	s_wait_loadcnt 0x2
	ds_store_b128 v66, v[0:3]
	;; [unrolled: 2-line block ×4, first 2 shown]
	s_wait_dscnt 0x0
	s_barrier_signal -1
	s_barrier_wait -1
	global_inv scope:SCOPE_SE
	ds_load_b128 v[0:3], v59
	ds_load_b128 v[4:7], v58 offset:384
	s_wait_dscnt 0x0
	;;#ASMSTART
	v_dot2_f32_f16 v8, v0, v4, v8
	;;#ASMEND
	;;#ASMSTART
	v_dot2_f32_f16 v8, v1, v5, v8
	;;#ASMEND
	;;#ASMSTART
	v_dot2_f32_f16 v8, v2, v6, v8
	;;#ASMEND
	;;#ASMSTART
	v_dot2_f32_f16 v8, v3, v7, v8
	;;#ASMEND
	ds_load_b128 v[0:3], v59 offset:16
	ds_load_b128 v[4:7], v58 offset:400
	s_wait_dscnt 0x0
	;;#ASMSTART
	v_dot2_f32_f16 v8, v0, v4, v8
	;;#ASMEND
	;;#ASMSTART
	v_dot2_f32_f16 v8, v1, v5, v8
	;;#ASMEND
	;;#ASMSTART
	v_dot2_f32_f16 v8, v2, v6, v8
	;;#ASMEND
	;;#ASMSTART
	v_dot2_f32_f16 v8, v3, v7, v8
	;;#ASMEND
	ds_load_b128 v[0:3], v59 offset:32
	;; [unrolled: 15-line block ×7, first 2 shown]
	ds_load_b128 v[4:7], v58 offset:496
	s_wait_dscnt 0x0
	;;#ASMSTART
	v_dot2_f32_f16 v8, v0, v4, v8
	;;#ASMEND
	;;#ASMSTART
	v_dot2_f32_f16 v8, v1, v5, v8
	;;#ASMEND
	;; [unrolled: 3-line block ×4, first 2 shown]
	v_cmp_ngt_f32_e64 s27, 0x3f200000, |v8|
                                        ; implicit-def: $vgpr0
	s_and_saveexec_b32 s29, s27
	s_delay_alu instid0(SALU_CYCLE_1)
	s_xor_b32 s27, exec_lo, s29
	s_cbranch_execnz .LBB74_12
; %bb.9:                                ;   in Loop: Header=BB74_8 Depth=1
	s_wait_alu 0xfffe
	s_and_not1_saveexec_b32 s27, s27
	s_cbranch_execnz .LBB74_13
.LBB74_10:                              ;   in Loop: Header=BB74_8 Depth=1
	s_wait_alu 0xfffe
	s_or_b32 exec_lo, exec_lo, s27
	s_delay_alu instid0(SALU_CYCLE_1)
	s_and_not1_b32 vcc_lo, exec_lo, s9
	s_wait_alu 0xfffe
	s_cbranch_vccnz .LBB74_14
.LBB74_11:                              ;   in Loop: Header=BB74_8 Depth=1
	v_add_nc_u32_e32 v1, s20, v38
	s_delay_alu instid0(VALU_DEP_1) | instskip(NEXT) | instid1(VALU_DEP_1)
	v_ashrrev_i32_e32 v2, 31, v1
	v_lshlrev_b64_e32 v[1:2], 1, v[1:2]
	s_delay_alu instid0(VALU_DEP_1) | instskip(SKIP_1) | instid1(VALU_DEP_2)
	v_add_co_u32 v1, vcc_lo, s34, v1
	s_wait_alu 0xfffd
	v_add_co_ci_u32_e64 v2, null, s35, v2, vcc_lo
	global_load_u16 v1, v[1:2], off
	s_wait_loadcnt 0x0
	v_cvt_f32_f16_e32 v1, v1
	s_delay_alu instid0(VALU_DEP_1)
	v_mul_f32_e32 v1, v56, v1
	s_branch .LBB74_15
.LBB74_12:                              ;   in Loop: Header=BB74_8 Depth=1
	v_add_f32_e64 v0, |v8|, |v8|
	s_delay_alu instid0(VALU_DEP_1) | instskip(SKIP_1) | instid1(VALU_DEP_2)
	v_mul_f32_e32 v1, 0x3fb8aa3b, v0
	v_cmp_ngt_f32_e32 vcc_lo, 0xc2ce8ed0, v0
	v_rndne_f32_e32 v2, v1
	v_fma_f32 v3, 0x3fb8aa3b, v0, -v1
	s_delay_alu instid0(VALU_DEP_2) | instskip(NEXT) | instid1(VALU_DEP_2)
	v_sub_f32_e32 v1, v1, v2
	v_fmac_f32_e32 v3, 0x32a5705f, v0
	v_cvt_i32_f32_e32 v2, v2
	s_delay_alu instid0(VALU_DEP_2) | instskip(NEXT) | instid1(VALU_DEP_1)
	v_add_f32_e32 v1, v1, v3
	v_exp_f32_e32 v1, v1
	s_delay_alu instid0(TRANS32_DEP_1) | instskip(SKIP_1) | instid1(VALU_DEP_1)
	v_ldexp_f32 v1, v1, v2
	s_wait_alu 0xfffd
	v_cndmask_b32_e32 v1, 0, v1, vcc_lo
	v_cmp_nlt_f32_e32 vcc_lo, 0x42b17218, v0
	s_wait_alu 0xfffd
	s_delay_alu instid0(VALU_DEP_2) | instskip(NEXT) | instid1(VALU_DEP_1)
	v_cndmask_b32_e32 v0, 0x7f800000, v1, vcc_lo
	v_add_f32_e32 v0, 1.0, v0
	s_delay_alu instid0(VALU_DEP_1) | instskip(NEXT) | instid1(TRANS32_DEP_1)
	v_rcp_f32_e32 v0, v0
	v_fma_f32 v0, v0, -2.0, 1.0
	s_wait_alu 0xfffe
	s_and_not1_saveexec_b32 s27, s27
	s_cbranch_execz .LBB74_10
.LBB74_13:                              ;   in Loop: Header=BB74_8 Depth=1
	v_mul_f32_e32 v0, v8, v8
	s_delay_alu instid0(VALU_DEP_1) | instskip(NEXT) | instid1(VALU_DEP_1)
	v_fmaak_f32 v1, s26, v0, 0x3ca908c9
	v_fmaak_f32 v1, v0, v1, 0xbd5c1c4e
	s_delay_alu instid0(VALU_DEP_1) | instskip(NEXT) | instid1(VALU_DEP_1)
	v_fmaak_f32 v1, v0, v1, 0x3e088382
	v_fmaak_f32 v1, v0, v1, 0xbeaaaa99
	s_delay_alu instid0(VALU_DEP_1) | instskip(NEXT) | instid1(VALU_DEP_1)
	v_mul_f32_e64 v1, |v8|, v1
	v_fma_f32 v0, v0, v1, |v8|
	s_wait_alu 0xfffe
	s_or_b32 exec_lo, exec_lo, s27
	s_delay_alu instid0(SALU_CYCLE_1)
	s_and_not1_b32 vcc_lo, exec_lo, s9
	s_wait_alu 0xfffe
	s_cbranch_vccz .LBB74_11
.LBB74_14:                              ;   in Loop: Header=BB74_8 Depth=1
	v_mov_b32_e32 v1, 0
.LBB74_15:                              ;   in Loop: Header=BB74_8 Depth=1
	s_mul_u64 s[38:39], s[20:21], s[10:11]
	s_wait_loadcnt 0x0
	s_wait_alu 0xfffe
	s_lshl_b64 s[38:39], s[38:39], 2
	s_barrier_signal -1
	s_wait_alu 0xfffe
	s_add_nc_u64 s[38:39], s[14:15], s[38:39]
	s_barrier_wait -1
	s_wait_alu 0xfffe
	v_add_co_u32 v2, vcc_lo, s38, v47
	s_wait_alu 0xfffd
	v_add_co_ci_u32_e64 v3, null, s39, v48, vcc_lo
	v_add_co_u32 v4, vcc_lo, s38, v49
	s_wait_alu 0xfffd
	v_add_co_ci_u32_e64 v5, null, s39, v50, vcc_lo
	;; [unrolled: 3-line block ×8, first 2 shown]
	global_inv scope:SCOPE_SE
	s_clause 0x3
	global_load_b128 v[2:5], v[2:3], off
	global_load_b128 v[9:12], v[6:7], off
	;; [unrolled: 1-line block ×4, first 2 shown]
	v_bfi_b32 v0, 0x7fffffff, v0, v8
	v_xor_b32_e32 v6, 16, v37
	s_or_b32 s38, s20, 8
	s_wait_alu 0xfffe
	s_ashr_i32 s39, s38, 31
	v_dual_fmac_f32 v1, s37, v0 :: v_dual_max_num_f32 v0, v75, v75
	v_cmp_gt_i32_e32 vcc_lo, 32, v6
	s_wait_alu 0xfffe
	s_mul_u64 s[38:39], s[38:39], s[10:11]
	s_delay_alu instid0(VALU_DEP_2)
	v_add_f32_e32 v7, 0x40051340, v1
	s_wait_alu 0xfffe
	s_lshl_b64 s[38:39], s[38:39], 2
	s_wait_alu 0xfffd
	v_cndmask_b32_e32 v6, v37, v6, vcc_lo
	s_wait_alu 0xfffe
	s_add_nc_u64 s[38:39], s[14:15], s[38:39]
	v_max_num_f32_e32 v0, v0, v7
	v_xor_b32_e32 v7, 8, v37
	s_delay_alu instid0(VALU_DEP_1)
	v_cmp_gt_i32_e32 vcc_lo, 32, v7
	s_wait_alu 0xfffd
	v_dual_cndmask_b32 v7, v37, v7 :: v_dual_lshlrev_b32 v6, 2, v6
	ds_bpermute_b32 v6, v6, v0
	s_wait_dscnt 0x0
	v_dual_max_num_f32 v6, v6, v6 :: v_dual_lshlrev_b32 v7, 2, v7
	s_delay_alu instid0(VALU_DEP_1) | instskip(SKIP_2) | instid1(VALU_DEP_1)
	v_max_num_f32_e32 v0, v0, v6
	ds_bpermute_b32 v6, v7, v0
	v_xor_b32_e32 v7, 4, v37
	v_cmp_gt_i32_e32 vcc_lo, 32, v7
	s_wait_alu 0xfffd
	v_cndmask_b32_e32 v7, v37, v7, vcc_lo
	s_wait_dscnt 0x0
	s_delay_alu instid0(VALU_DEP_1) | instskip(NEXT) | instid1(VALU_DEP_1)
	v_dual_max_num_f32 v6, v6, v6 :: v_dual_lshlrev_b32 v7, 2, v7
	v_max_num_f32_e32 v0, v0, v6
	ds_bpermute_b32 v6, v7, v0
	v_xor_b32_e32 v7, 2, v37
	s_delay_alu instid0(VALU_DEP_1) | instskip(SKIP_3) | instid1(VALU_DEP_1)
	v_cmp_gt_i32_e32 vcc_lo, 32, v7
	s_wait_alu 0xfffd
	v_cndmask_b32_e32 v7, v37, v7, vcc_lo
	s_wait_dscnt 0x0
	v_dual_max_num_f32 v6, v6, v6 :: v_dual_lshlrev_b32 v7, 2, v7
	s_delay_alu instid0(VALU_DEP_1) | instskip(SKIP_2) | instid1(VALU_DEP_1)
	v_max_num_f32_e32 v0, v0, v6
	ds_bpermute_b32 v6, v7, v0
	v_xor_b32_e32 v7, 1, v37
	v_cmp_gt_i32_e32 vcc_lo, 32, v7
	s_wait_alu 0xfffd
	v_cndmask_b32_e32 v7, v37, v7, vcc_lo
	s_wait_alu 0xfffe
	v_add_co_u32 v8, vcc_lo, s38, v47
	s_wait_alu 0xfffd
	v_add_co_ci_u32_e64 v21, null, s39, v48, vcc_lo
	s_wait_dscnt 0x0
	v_dual_max_num_f32 v6, v6, v6 :: v_dual_lshlrev_b32 v7, 2, v7
	s_delay_alu instid0(VALU_DEP_1) | instskip(SKIP_3) | instid1(VALU_DEP_1)
	v_max_num_f32_e32 v0, v0, v6
	ds_bpermute_b32 v6, v7, v0
	s_wait_dscnt 0x0
	v_max_num_f32_e32 v6, v6, v6
	v_max_num_f32_e32 v81, v0, v6
	s_delay_alu instid0(VALU_DEP_1) | instskip(NEXT) | instid1(VALU_DEP_1)
	v_sub_f32_e32 v0, v1, v81
	v_mul_f32_e32 v1, 0x3fb8aa3b, v0
	s_delay_alu instid0(VALU_DEP_1) | instskip(SKIP_1) | instid1(VALU_DEP_1)
	v_fma_f32 v6, 0x3fb8aa3b, v0, -v1
	v_rndne_f32_e32 v7, v1
	v_dual_fmac_f32 v6, 0x32a5705f, v0 :: v_dual_sub_f32 v1, v1, v7
	v_cvt_i32_f32_e32 v7, v7
	s_delay_alu instid0(VALU_DEP_2) | instskip(SKIP_3) | instid1(VALU_DEP_3)
	v_add_f32_e32 v1, v1, v6
	v_add_co_u32 v6, vcc_lo, s38, v49
	s_wait_alu 0xfffd
	v_add_co_ci_u32_e64 v22, null, s39, v50, vcc_lo
	v_exp_f32_e32 v1, v1
	v_add_co_u32 v23, vcc_lo, s38, v51
	s_wait_alu 0xfffd
	v_add_co_ci_u32_e64 v24, null, s39, v52, vcc_lo
	v_add_co_u32 v25, vcc_lo, s38, v53
	s_wait_alu 0xfffd
	v_add_co_ci_u32_e64 v26, null, s39, v54, vcc_lo
	v_add_co_u32 v77, vcc_lo, v8, v91
	s_delay_alu instid0(TRANS32_DEP_1)
	v_ldexp_f32 v1, v1, v7
	s_wait_alu 0xfffd
	v_add_co_ci_u32_e64 v78, null, 0, v21, vcc_lo
	v_cmp_ngt_f32_e32 vcc_lo, 0xc2ce8ed0, v0
	v_add_nc_u32_e32 v76, 0x800, v90
	s_or_b32 s38, s20, 16
	s_wait_alu 0xfffe
	s_ashr_i32 s39, s38, 31
	s_wait_alu 0xfffd
	v_cndmask_b32_e32 v1, 0, v1, vcc_lo
	v_add_co_u32 v86, vcc_lo, v6, v91
	s_wait_alu 0xfffd
	v_add_co_ci_u32_e64 v87, null, 0, v22, vcc_lo
	v_cmp_nlt_f32_e32 vcc_lo, 0x42b17218, v0
	s_wait_alu 0xfffe
	s_mul_u64 s[38:39], s[38:39], s[10:11]
	s_wait_alu 0xfffe
	s_lshl_b64 s[38:39], s[38:39], 2
	s_wait_alu 0xfffd
	v_cndmask_b32_e32 v96, 0x7f800000, v1, vcc_lo
	v_add_co_u32 v101, vcc_lo, v23, v91
	s_wait_alu 0xfffd
	v_add_co_ci_u32_e64 v102, null, 0, v24, vcc_lo
	s_delay_alu instid0(VALU_DEP_3)
	v_cvt_f16_f32_e32 v0, v96
	v_add_co_u32 v105, vcc_lo, v25, v91
	s_wait_alu 0xfffd
	v_add_co_ci_u32_e64 v106, null, 0, v26, vcc_lo
	s_wait_alu 0xfffe
	s_add_nc_u64 s[38:39], s[14:15], s[38:39]
	ds_store_b16 v65, v0
	s_wait_loadcnt 0x3
	ds_store_b128 v63, v[2:5]
	s_wait_loadcnt 0x2
	ds_store_b128 v69, v[9:12]
	;; [unrolled: 2-line block ×4, first 2 shown]
	s_wait_dscnt 0x0
	s_barrier_signal -1
	s_barrier_wait -1
	global_inv scope:SCOPE_SE
	ds_load_2addr_b64 v[28:31], v90 offset1:32
	ds_load_b128 v[32:35], v62
	ds_load_2addr_b64 v[24:27], v90 offset0:64 offset1:96
	ds_load_2addr_b64 v[20:23], v90 offset0:128 offset1:160
	;; [unrolled: 1-line block ×3, first 2 shown]
	ds_load_2addr_b64 v[12:15], v76 offset1:32
	ds_load_2addr_b64 v[8:11], v76 offset0:64 offset1:96
	ds_load_2addr_b64 v[4:7], v76 offset0:128 offset1:160
	;; [unrolled: 1-line block ×3, first 2 shown]
	s_wait_loadcnt_dscnt 0x0
	s_barrier_signal -1
	s_barrier_wait -1
	global_inv scope:SCOPE_SE
	s_clause 0x3
	global_load_b128 v[82:85], v[77:78], off
	global_load_b128 v[97:100], v[86:87], off
	;; [unrolled: 1-line block ×4, first 2 shown]
	s_wait_alu 0xfffe
	v_add_co_u32 v77, vcc_lo, s38, v47
	s_wait_alu 0xfffd
	v_add_co_ci_u32_e64 v78, null, s39, v48, vcc_lo
	v_add_co_u32 v86, vcc_lo, s38, v49
	s_wait_alu 0xfffd
	v_add_co_ci_u32_e64 v87, null, s39, v50, vcc_lo
	;; [unrolled: 3-line block ×8, first 2 shown]
	s_or_b32 s38, s20, 24
	v_sub_f32_e32 v75, v75, v81
	s_wait_alu 0xfffe
	s_ashr_i32 s39, s38, 31
	v_lshrrev_b32_e32 v181, 16, v35
	s_wait_alu 0xfffe
	s_mul_u64 s[38:39], s[38:39], s[10:11]
	v_and_b32_e32 v35, 0xffff, v35
	s_wait_alu 0xfffe
	s_lshl_b64 s[38:39], s[38:39], 2
	s_wait_loadcnt 0x3
	ds_store_b128 v63, v[82:85]
	s_wait_loadcnt 0x2
	ds_store_b128 v69, v[97:100]
	;; [unrolled: 2-line block ×4, first 2 shown]
	s_wait_dscnt 0x0
	s_barrier_signal -1
	s_barrier_wait -1
	global_inv scope:SCOPE_SE
	ds_load_2addr_b64 v[82:85], v90 offset1:32
	ds_load_b128 v[97:100], v62 offset:16
	ds_load_2addr_b64 v[101:104], v90 offset0:64 offset1:96
	ds_load_2addr_b64 v[105:108], v90 offset0:128 offset1:160
	;; [unrolled: 1-line block ×3, first 2 shown]
	ds_load_2addr_b64 v[113:116], v76 offset1:32
	ds_load_2addr_b64 v[117:120], v76 offset0:64 offset1:96
	ds_load_2addr_b64 v[121:124], v76 offset0:128 offset1:160
	;; [unrolled: 1-line block ×3, first 2 shown]
	s_wait_loadcnt_dscnt 0x0
	s_barrier_signal -1
	s_barrier_wait -1
	global_inv scope:SCOPE_SE
	s_clause 0x3
	global_load_b128 v[129:132], v[77:78], off
	global_load_b128 v[133:136], v[86:87], off
	;; [unrolled: 1-line block ×4, first 2 shown]
	s_wait_alu 0xfffe
	s_add_nc_u64 s[38:39], s[14:15], s[38:39]
	s_wait_loadcnt 0x3
	ds_store_b128 v63, v[129:132]
	s_wait_loadcnt 0x2
	ds_store_b128 v69, v[133:136]
	;; [unrolled: 2-line block ×4, first 2 shown]
	s_wait_alu 0xfffe
	v_add_co_u32 v77, vcc_lo, s38, v47
	s_wait_alu 0xfffd
	v_add_co_ci_u32_e64 v78, null, s39, v48, vcc_lo
	v_add_co_u32 v86, vcc_lo, s38, v49
	s_wait_alu 0xfffd
	v_add_co_ci_u32_e64 v87, null, s39, v50, vcc_lo
	;; [unrolled: 3-line block ×8, first 2 shown]
	s_wait_dscnt 0x0
	s_barrier_signal -1
	s_barrier_wait -1
	global_inv scope:SCOPE_SE
	ds_load_2addr_b64 v[129:132], v90 offset1:32
	ds_load_b128 v[133:136], v62 offset:32
	ds_load_2addr_b64 v[137:140], v90 offset0:64 offset1:96
	ds_load_2addr_b64 v[141:144], v90 offset0:128 offset1:160
	;; [unrolled: 1-line block ×3, first 2 shown]
	ds_load_2addr_b64 v[149:152], v76 offset1:32
	ds_load_2addr_b64 v[153:156], v76 offset0:64 offset1:96
	ds_load_2addr_b64 v[157:160], v76 offset0:128 offset1:160
	;; [unrolled: 1-line block ×3, first 2 shown]
	s_wait_loadcnt_dscnt 0x0
	s_barrier_signal -1
	s_barrier_wait -1
	global_inv scope:SCOPE_SE
	s_clause 0x3
	global_load_b128 v[165:168], v[77:78], off
	global_load_b128 v[169:172], v[86:87], off
	;; [unrolled: 1-line block ×4, first 2 shown]
	v_mul_f32_e32 v77, 0x3fb8aa3b, v75
	s_wait_loadcnt 0x3
	ds_store_b128 v63, v[165:168]
	s_wait_loadcnt 0x2
	ds_store_b128 v69, v[169:172]
	;; [unrolled: 2-line block ×4, first 2 shown]
	v_fma_f32 v78, 0x3fb8aa3b, v75, -v77
	v_rndne_f32_e32 v86, v77
	s_wait_dscnt 0x0
	s_barrier_signal -1
	s_barrier_wait -1
	s_delay_alu instid0(VALU_DEP_1)
	v_dual_fmac_f32 v78, 0x32a5705f, v75 :: v_dual_sub_f32 v77, v77, v86
	global_inv scope:SCOPE_SE
	v_add_f32_e32 v77, v77, v78
	v_cvt_i32_f32_e32 v78, v86
	v_and_b32_e32 v86, 0xffff, v32
	v_cmp_ngt_f32_e32 vcc_lo, 0xc2ce8ed0, v75
	v_lshrrev_b32_e32 v32, 16, v32
	v_exp_f32_e32 v77, v77
	s_delay_alu instid0(VALU_DEP_3) | instskip(NEXT) | instid1(VALU_DEP_2)
	v_mul_u32_u24_e32 v86, 0x10001, v86
	v_mul_u32_u24_e32 v32, 0x10001, v32
	s_delay_alu instid0(VALU_DEP_2) | instskip(SKIP_1) | instid1(TRANS32_DEP_1)
	v_pk_mul_f16 v28, v28, v86
	v_pk_mul_f16 v29, v29, v86
	v_ldexp_f32 v77, v77, v78
	s_wait_alu 0xfffd
	s_delay_alu instid0(VALU_DEP_1) | instskip(SKIP_2) | instid1(VALU_DEP_2)
	v_cndmask_b32_e32 v77, 0, v77, vcc_lo
	v_cmp_nlt_f32_e32 vcc_lo, 0x42b17218, v75
	s_wait_alu 0xfffd
	v_cndmask_b32_e32 v75, 0x7f800000, v77, vcc_lo
	s_delay_alu instid0(VALU_DEP_1) | instskip(NEXT) | instid1(VALU_DEP_1)
	v_cvt_f16_f32_e32 v77, v75
	v_dual_fmac_f32 v96, v73, v75 :: v_dual_and_b32 v77, 0xffff, v77
	s_delay_alu instid0(VALU_DEP_1) | instskip(NEXT) | instid1(VALU_DEP_1)
	v_mul_u32_u24_e32 v77, 0x10001, v77
	v_pk_mul_f16 v78, v95, v77
	v_pk_mul_f16 v87, v92, v77
	v_and_b32_e32 v92, 0xffff, v33
	v_pk_fma_f16 v28, v93, v77, v28
	v_lshrrev_b32_e32 v33, 16, v33
	v_pk_fma_f16 v30, v30, v86, v78
	v_pk_fma_f16 v31, v31, v86, v87
	;; [unrolled: 1-line block ×3, first 2 shown]
	v_mul_u32_u24_e32 v77, 0x10001, v92
	v_pk_fma_f16 v24, v24, v32, v28
	v_and_b32_e32 v95, 0xffff, v34
	v_pk_fma_f16 v26, v26, v32, v30
	v_pk_fma_f16 v27, v27, v32, v31
	v_pk_fma_f16 v25, v25, v32, v29
	v_mul_u32_u24_e32 v28, 0x10001, v33
	v_pk_fma_f16 v20, v20, v77, v24
	v_lshrrev_b32_e32 v34, 16, v34
	v_pk_fma_f16 v22, v22, v77, v26
	v_pk_fma_f16 v23, v23, v77, v27
	v_pk_fma_f16 v21, v21, v77, v25
	v_mul_u32_u24_e32 v24, 0x10001, v95
	v_pk_fma_f16 v16, v16, v28, v20
	v_pk_fma_f16 v18, v18, v28, v22
	v_pk_fma_f16 v19, v19, v28, v23
	v_pk_fma_f16 v17, v17, v28, v21
	v_mul_u32_u24_e32 v20, 0x10001, v34
	v_pk_fma_f16 v12, v12, v24, v16
	;; [unrolled: 5-line block ×4, first 2 shown]
	v_pk_fma_f16 v6, v6, v16, v10
	v_pk_fma_f16 v7, v7, v16, v11
	;; [unrolled: 1-line block ×3, first 2 shown]
	v_and_b32_e32 v9, 0xffff, v98
	v_pk_fma_f16 v0, v0, v12, v4
	v_and_b32_e32 v4, 0xffff, v97
	v_pk_fma_f16 v2, v2, v12, v6
	v_pk_fma_f16 v3, v3, v12, v7
	;; [unrolled: 1-line block ×3, first 2 shown]
	v_lshrrev_b32_e32 v5, 16, v97
	v_mul_u32_u24_e32 v4, 0x10001, v4
	v_lshrrev_b32_e32 v6, 16, v98
	v_and_b32_e32 v10, 0xffff, v99
	v_lshrrev_b32_e32 v7, 16, v99
	v_mul_u32_u24_e32 v5, 0x10001, v5
	v_pk_fma_f16 v0, v82, v4, v0
	v_pk_fma_f16 v1, v83, v4, v1
	v_pk_fma_f16 v2, v84, v4, v2
	v_pk_fma_f16 v3, v85, v4, v3
	v_mul_u32_u24_e32 v4, 0x10001, v9
	v_pk_fma_f16 v0, v101, v5, v0
	v_pk_fma_f16 v1, v102, v5, v1
	v_pk_fma_f16 v2, v103, v5, v2
	v_pk_fma_f16 v3, v104, v5, v3
	;; [unrolled: 5-line block ×4, first 2 shown]
	v_and_b32_e32 v11, 0xffff, v100
	v_mul_u32_u24_e32 v5, 0x10001, v7
	v_pk_fma_f16 v0, v113, v4, v0
	v_pk_fma_f16 v1, v114, v4, v1
	;; [unrolled: 1-line block ×4, first 2 shown]
	v_lshrrev_b32_e32 v8, 16, v100
	v_mul_u32_u24_e32 v4, 0x10001, v11
	v_pk_fma_f16 v0, v117, v5, v0
	v_pk_fma_f16 v1, v118, v5, v1
	;; [unrolled: 1-line block ×4, first 2 shown]
	v_mul_u32_u24_e32 v5, 0x10001, v8
	v_pk_fma_f16 v0, v121, v4, v0
	v_pk_fma_f16 v1, v122, v4, v1
	;; [unrolled: 1-line block ×4, first 2 shown]
	v_and_b32_e32 v4, 0xffff, v133
	v_pk_fma_f16 v0, v125, v5, v0
	v_pk_fma_f16 v1, v126, v5, v1
	;; [unrolled: 1-line block ×4, first 2 shown]
	v_lshrrev_b32_e32 v5, 16, v133
	v_mul_u32_u24_e32 v4, 0x10001, v4
	v_and_b32_e32 v9, 0xffff, v134
	v_lshrrev_b32_e32 v6, 16, v134
	v_and_b32_e32 v10, 0xffff, v135
	v_mul_u32_u24_e32 v5, 0x10001, v5
	v_pk_fma_f16 v0, v129, v4, v0
	v_pk_fma_f16 v1, v130, v4, v1
	;; [unrolled: 1-line block ×3, first 2 shown]
	v_mul_u32_u24_e32 v9, 0x10001, v9
	v_pk_fma_f16 v3, v132, v4, v3
	v_pk_fma_f16 v0, v137, v5, v0
	;; [unrolled: 1-line block ×4, first 2 shown]
	v_mul_u32_u24_e32 v4, 0x10001, v6
	v_pk_fma_f16 v3, v140, v5, v3
	v_pk_fma_f16 v0, v141, v9, v0
	;; [unrolled: 1-line block ×4, first 2 shown]
	v_lshrrev_b32_e32 v7, 16, v135
	v_mul_u32_u24_e32 v5, 0x10001, v10
	v_pk_fma_f16 v3, v144, v9, v3
	v_pk_fma_f16 v0, v145, v4, v0
	;; [unrolled: 1-line block ×4, first 2 shown]
	v_and_b32_e32 v11, 0xffff, v136
	v_mul_u32_u24_e32 v6, 0x10001, v7
	v_pk_fma_f16 v3, v148, v4, v3
	v_pk_fma_f16 v0, v149, v5, v0
	;; [unrolled: 1-line block ×4, first 2 shown]
	v_lshrrev_b32_e32 v8, 16, v136
	v_mul_u32_u24_e32 v4, 0x10001, v11
	v_pk_fma_f16 v3, v152, v5, v3
	v_pk_fma_f16 v0, v153, v6, v0
	;; [unrolled: 1-line block ×4, first 2 shown]
	v_mul_u32_u24_e32 v5, 0x10001, v8
	v_pk_fma_f16 v6, v156, v6, v3
	v_pk_fma_f16 v7, v157, v4, v0
	;; [unrolled: 1-line block ×4, first 2 shown]
	ds_load_b128 v[0:3], v62 offset:48
	v_pk_fma_f16 v4, v160, v4, v6
	v_pk_fma_f16 v73, v161, v5, v7
	v_pk_fma_f16 v75, v162, v5, v8
	v_pk_fma_f16 v77, v163, v5, v9
	s_delay_alu instid0(VALU_DEP_4)
	v_pk_fma_f16 v78, v164, v5, v4
	ds_load_2addr_b64 v[4:7], v90 offset1:32
	ds_load_2addr_b64 v[8:11], v90 offset0:64 offset1:96
	ds_load_2addr_b64 v[12:15], v90 offset0:128 offset1:160
	;; [unrolled: 1-line block ×3, first 2 shown]
	ds_load_2addr_b64 v[20:23], v76 offset1:32
	ds_load_2addr_b64 v[24:27], v76 offset0:64 offset1:96
	ds_load_2addr_b64 v[28:31], v76 offset0:128 offset1:160
	;; [unrolled: 1-line block ×3, first 2 shown]
	s_wait_loadcnt_dscnt 0x0
	s_barrier_signal -1
	s_barrier_wait -1
	global_inv scope:SCOPE_SE
	s_load_b32 s21, s[24:25], 0x4
	v_and_b32_e32 v76, 0xffff, v0
	v_lshrrev_b32_e32 v0, 16, v0
	v_lshrrev_b32_e32 v82, 16, v1
	v_and_b32_e32 v1, 0xffff, v1
	v_lshrrev_b32_e32 v83, 16, v2
	v_mul_u32_u24_e32 v76, 0x10001, v76
	v_mul_u32_u24_e32 v0, 0x10001, v0
	v_and_b32_e32 v2, 0xffff, v2
	v_mul_u32_u24_e32 v1, 0x10001, v1
	v_lshrrev_b32_e32 v84, 16, v3
	v_pk_fma_f16 v4, v4, v76, v73
	v_pk_fma_f16 v5, v5, v76, v75
	;; [unrolled: 1-line block ×4, first 2 shown]
	v_and_b32_e32 v3, 0xffff, v3
	v_pk_fma_f16 v4, v8, v0, v4
	v_pk_fma_f16 v5, v9, v0, v5
	v_pk_fma_f16 v6, v10, v0, v6
	v_pk_fma_f16 v0, v11, v0, v7
	v_mul_u32_u24_e32 v7, 0x10001, v82
	v_pk_fma_f16 v4, v12, v1, v4
	v_pk_fma_f16 v5, v13, v1, v5
	v_pk_fma_f16 v6, v14, v1, v6
	v_pk_fma_f16 v0, v15, v1, v0
	v_mul_u32_u24_e32 v1, 0x10001, v2
	;; [unrolled: 5-line block ×5, first 2 shown]
	v_pk_fma_f16 v2, v28, v1, v2
	v_pk_fma_f16 v3, v29, v1, v3
	;; [unrolled: 1-line block ×4, first 2 shown]
	s_wait_kmcnt 0x0
	s_lshl_b32 s21, s21, 5
	v_pk_fma_f16 v93, v32, v5, v2
	v_pk_fma_f16 v94, v33, v5, v3
	;; [unrolled: 1-line block ×4, first 2 shown]
	s_wait_alu 0xfffe
	s_add_co_i32 s20, s21, s20
	s_wait_alu 0xfffe
	s_cmp_lt_i32 s20, s3
	s_cbranch_scc0 .LBB74_18
; %bb.16:                               ;   in Loop: Header=BB74_8 Depth=1
	v_mov_b32_e32 v75, v81
	v_mov_b32_e32 v73, v96
	s_branch .LBB74_8
.LBB74_17:
	v_dual_mov_b32 v93, 0 :: v_dual_mov_b32 v94, 0
	v_dual_mov_b32 v81, 0xfeffffff :: v_dual_mov_b32 v92, 0
	v_mov_b32_e32 v95, 0
.LBB74_18:
	s_cmp_gt_i32 s2, s20
	s_cbranch_scc1 .LBB74_21
; %bb.19:
	v_mbcnt_lo_u32_b32 v1, -1, 0
	v_mov_b32_e32 v0, 32
	s_delay_alu instid0(VALU_DEP_2)
	v_xor_b32_e32 v99, 16, v1
	v_xor_b32_e32 v97, 8, v1
	;; [unrolled: 1-line block ×5, first 2 shown]
	s_cbranch_execz .LBB74_22
; %bb.20:
	v_mov_b32_e32 v89, v1
	s_branch .LBB74_32
.LBB74_21:
                                        ; implicit-def: $vgpr1
                                        ; implicit-def: $vgpr0
                                        ; implicit-def: $vgpr99
                                        ; implicit-def: $vgpr97
                                        ; implicit-def: $vgpr98
                                        ; implicit-def: $vgpr100
                                        ; implicit-def: $vgpr101
.LBB74_22:
	v_lshl_add_u32 v20, v74, 2, v61
	s_ashr_i32 s21, s20, 31
	s_ashr_i32 s5, s4, 31
	s_sub_co_i32 s9, s2, s20
	s_wait_alu 0xfffe
	s_mul_u64 s[26:27], s[20:21], s[4:5]
	v_mul_lo_u32 v3, s4, v20
	s_wait_alu 0xfffe
	s_lshl_b64 s[2:3], s[26:27], 2
	v_lshlrev_b32_e32 v21, 2, v60
	s_add_nc_u64 s[6:7], s[6:7], s[2:3]
	s_mov_b32 s40, 0
	s_mov_b64 s[24:25], src_private_base
	s_mov_b32 s41, s40
	s_mov_b32 s42, s40
	v_ashrrev_i32_e32 v4, 31, v3
	s_lshl_b32 s4, s4, 3
	v_add_nc_u32_e32 v14, 8, v20
	s_wait_alu 0xfffe
	v_add_nc_u32_e32 v16, s4, v3
	v_lshlrev_b64_e32 v[0:1], 2, v[3:4]
	v_mov_b32_e32 v4, 0
	s_delay_alu instid0(VALU_DEP_3) | instskip(SKIP_1) | instid1(VALU_DEP_4)
	v_ashrrev_i32_e32 v17, 31, v16
	v_add_nc_u32_e32 v18, s4, v16
	v_add_co_u32 v0, vcc_lo, s6, v0
	s_wait_alu 0xfffd
	v_add_co_ci_u32_e64 v1, null, s7, v1, vcc_lo
	s_delay_alu instid0(VALU_DEP_3) | instskip(NEXT) | instid1(VALU_DEP_3)
	v_ashrrev_i32_e32 v19, 31, v18
	v_add_co_u32 v6, vcc_lo, v0, v21
	s_wait_alu 0xfffd
	s_delay_alu instid0(VALU_DEP_3)
	v_add_co_ci_u32_e64 v7, null, 0, v1, vcc_lo
	v_cmp_gt_i32_e32 vcc_lo, s9, v20
	v_dual_mov_b32 v0, s40 :: v_dual_mov_b32 v1, s41
	v_mov_b32_e32 v2, s42
	s_clause 0x1
	scratch_store_b32 off, v4, off
	scratch_store_b96 off, v[0:2], off offset:4
	s_wait_alu 0xfffd
	v_cndmask_b32_e32 v9, s25, v7, vcc_lo
	v_cndmask_b32_e32 v8, 0, v6, vcc_lo
	v_add_co_u32 v22, s5, 0x80, v6
	s_wait_alu 0xf1ff
	v_add_co_ci_u32_e64 v23, null, 0, v7, s5
	flat_load_b128 v[10:13], v[8:9]
	v_lshlrev_b64_e32 v[8:9], 2, v[16:17]
	s_clause 0x1
	scratch_store_b32 off, v4, off
	scratch_store_b96 off, v[0:2], off offset:4
	v_dual_cndmask_b32 v23, s25, v23 :: v_dual_add_nc_u32 v16, 16, v20
	v_cndmask_b32_e32 v22, 0, v22, vcc_lo
	v_add_co_u32 v3, s2, s6, v8
	s_delay_alu instid0(VALU_DEP_1) | instskip(NEXT) | instid1(VALU_DEP_2)
	v_add_co_ci_u32_e64 v5, null, s7, v9, s2
	v_add_co_u32 v8, s2, v3, v21
	s_wait_alu 0xf1ff
	s_delay_alu instid0(VALU_DEP_2) | instskip(SKIP_3) | instid1(VALU_DEP_2)
	v_add_co_ci_u32_e64 v9, null, 0, v5, s2
	v_cmp_gt_i32_e64 s2, s9, v14
	v_mad_u32_u24 v5, 0x90, v20, v21
	s_wait_alu 0xf1ff
	v_cndmask_b32_e64 v15, s25, v9, s2
	v_cndmask_b32_e64 v14, 0, v8, s2
	s_wait_loadcnt_dscnt 0x0
	ds_store_b128 v5, v[10:13]
	flat_load_b128 v[12:15], v[14:15]
	v_lshlrev_b64_e32 v[10:11], 2, v[18:19]
	s_clause 0x1
	scratch_store_b32 off, v4, off
	scratch_store_b96 off, v[0:2], off offset:4
	v_add_co_u32 v3, s3, s6, v10
	s_wait_alu 0xf1ff
	v_add_co_ci_u32_e64 v11, null, s7, v11, s3
	s_delay_alu instid0(VALU_DEP_2) | instskip(SKIP_1) | instid1(VALU_DEP_2)
	v_add_co_u32 v10, s3, v3, v21
	s_wait_alu 0xf1ff
	v_add_co_ci_u32_e64 v11, null, 0, v11, s3
	v_cmp_gt_i32_e64 s3, s9, v16
	s_wait_alu 0xf1ff
	s_delay_alu instid0(VALU_DEP_1)
	v_cndmask_b32_e64 v17, s25, v11, s3
	v_cndmask_b32_e64 v16, 0, v10, s3
	s_wait_loadcnt_dscnt 0x0
	ds_store_b128 v5, v[12:15] offset:1152
	flat_load_b128 v[14:17], v[16:17]
	v_add_nc_u32_e32 v12, s4, v18
	v_add_nc_u32_e32 v18, 24, v20
	s_delay_alu instid0(VALU_DEP_2) | instskip(NEXT) | instid1(VALU_DEP_1)
	v_ashrrev_i32_e32 v13, 31, v12
	v_lshlrev_b64_e32 v[12:13], 2, v[12:13]
	s_delay_alu instid0(VALU_DEP_1) | instskip(SKIP_1) | instid1(VALU_DEP_2)
	v_add_co_u32 v3, s4, s6, v12
	s_wait_alu 0xf1ff
	v_add_co_ci_u32_e64 v13, null, s7, v13, s4
	s_delay_alu instid0(VALU_DEP_2) | instskip(SKIP_1) | instid1(VALU_DEP_2)
	v_add_co_u32 v12, s4, v3, v21
	s_wait_alu 0xf1ff
	v_add_co_ci_u32_e64 v13, null, 0, v13, s4
	v_cmp_gt_i32_e64 s4, s9, v18
	v_mov_b32_e32 v3, 0
	s_clause 0x1
	scratch_store_b32 off, v4, off
	scratch_store_b96 off, v[0:2], off offset:4
	s_wait_alu 0xf1ff
	v_cndmask_b32_e64 v19, s25, v13, s4
	v_cndmask_b32_e64 v18, 0, v12, s4
	s_wait_loadcnt_dscnt 0x0
	ds_store_b128 v5, v[14:17] offset:2304
	flat_load_b128 v[14:17], v[18:19]
	s_wait_loadcnt_dscnt 0x0
	ds_store_b128 v5, v[14:17] offset:3456
	s_wait_storecnt_dscnt 0x0
	s_barrier_signal -1
	s_barrier_wait -1
	global_inv scope:SCOPE_SE
	ds_load_b128 v[14:17], v59
	ds_load_b128 v[18:21], v58
	s_wait_dscnt 0x0
	;;#ASMSTART
	v_dot2_f32_f16 v3, v14, v18, v3
	;;#ASMEND
	;;#ASMSTART
	v_dot2_f32_f16 v3, v15, v19, v3
	;;#ASMEND
	;;#ASMSTART
	v_dot2_f32_f16 v3, v16, v20, v3
	;;#ASMEND
	;;#ASMSTART
	v_dot2_f32_f16 v3, v17, v21, v3
	;;#ASMEND
	ds_load_b128 v[14:17], v59 offset:16
	ds_load_b128 v[18:21], v58 offset:16
	s_wait_dscnt 0x0
	;;#ASMSTART
	v_dot2_f32_f16 v3, v14, v18, v3
	;;#ASMEND
	;;#ASMSTART
	v_dot2_f32_f16 v3, v15, v19, v3
	;;#ASMEND
	;;#ASMSTART
	v_dot2_f32_f16 v3, v16, v20, v3
	;;#ASMEND
	;;#ASMSTART
	v_dot2_f32_f16 v3, v17, v21, v3
	;;#ASMEND
	ds_load_b128 v[14:17], v59 offset:32
	ds_load_b128 v[18:21], v58 offset:32
	;; [unrolled: 15-line block ×7, first 2 shown]
	s_wait_dscnt 0x0
	;;#ASMSTART
	v_dot2_f32_f16 v3, v14, v18, v3
	;;#ASMEND
	;;#ASMSTART
	v_dot2_f32_f16 v3, v15, v19, v3
	;;#ASMEND
	;; [unrolled: 3-line block ×4, first 2 shown]
	s_wait_loadcnt 0x0
	s_barrier_signal -1
	s_barrier_wait -1
	global_inv scope:SCOPE_SE
	s_clause 0x1
	scratch_store_b32 off, v4, off
	scratch_store_b96 off, v[0:2], off offset:4
	flat_load_b128 v[14:17], v[22:23]
	v_add_co_u32 v18, s5, 0x80, v8
	s_wait_alu 0xf1ff
	v_add_co_ci_u32_e64 v19, null, 0, v9, s5
	s_clause 0x1
	scratch_store_b32 off, v4, off
	scratch_store_b96 off, v[0:2], off offset:4
	v_cndmask_b32_e64 v18, 0, v18, s2
	v_cndmask_b32_e64 v19, s25, v19, s2
	s_wait_loadcnt_dscnt 0x0
	ds_store_b128 v5, v[14:17]
	flat_load_b128 v[14:17], v[18:19]
	v_add_co_u32 v18, s5, 0x80, v10
	s_wait_alu 0xf1ff
	v_add_co_ci_u32_e64 v19, null, 0, v11, s5
	s_clause 0x1
	scratch_store_b32 off, v4, off
	scratch_store_b96 off, v[0:2], off offset:4
	v_cndmask_b32_e64 v18, 0, v18, s3
	v_cndmask_b32_e64 v19, s25, v19, s3
	s_wait_loadcnt_dscnt 0x0
	ds_store_b128 v5, v[14:17] offset:1152
	flat_load_b128 v[14:17], v[18:19]
	v_add_co_u32 v18, s5, 0x80, v12
	s_wait_alu 0xf1ff
	v_add_co_ci_u32_e64 v19, null, 0, v13, s5
	s_clause 0x1
	scratch_store_b32 off, v4, off
	scratch_store_b96 off, v[0:2], off offset:4
	v_cndmask_b32_e64 v18, 0, v18, s4
	v_add_co_u32 v22, s5, 0x100, v6
	v_cndmask_b32_e64 v19, s25, v19, s4
	s_wait_alu 0xf1ff
	v_add_co_ci_u32_e64 v23, null, 0, v7, s5
	s_delay_alu instid0(VALU_DEP_3) | instskip(NEXT) | instid1(VALU_DEP_2)
	v_cndmask_b32_e32 v22, 0, v22, vcc_lo
	v_cndmask_b32_e32 v23, s25, v23, vcc_lo
	s_wait_loadcnt_dscnt 0x0
	ds_store_b128 v5, v[14:17] offset:2304
	flat_load_b128 v[14:17], v[18:19]
	s_wait_loadcnt_dscnt 0x0
	ds_store_b128 v5, v[14:17] offset:3456
	s_wait_storecnt_dscnt 0x0
	s_barrier_signal -1
	s_barrier_wait -1
	global_inv scope:SCOPE_SE
	ds_load_b128 v[14:17], v59
	ds_load_b128 v[18:21], v58 offset:128
	s_wait_dscnt 0x0
	;;#ASMSTART
	v_dot2_f32_f16 v3, v14, v18, v3
	;;#ASMEND
	;;#ASMSTART
	v_dot2_f32_f16 v3, v15, v19, v3
	;;#ASMEND
	;;#ASMSTART
	v_dot2_f32_f16 v3, v16, v20, v3
	;;#ASMEND
	;;#ASMSTART
	v_dot2_f32_f16 v3, v17, v21, v3
	;;#ASMEND
	ds_load_b128 v[14:17], v59 offset:16
	ds_load_b128 v[18:21], v58 offset:144
	s_wait_dscnt 0x0
	;;#ASMSTART
	v_dot2_f32_f16 v3, v14, v18, v3
	;;#ASMEND
	;;#ASMSTART
	v_dot2_f32_f16 v3, v15, v19, v3
	;;#ASMEND
	;;#ASMSTART
	v_dot2_f32_f16 v3, v16, v20, v3
	;;#ASMEND
	;;#ASMSTART
	v_dot2_f32_f16 v3, v17, v21, v3
	;;#ASMEND
	ds_load_b128 v[14:17], v59 offset:32
	;; [unrolled: 15-line block ×7, first 2 shown]
	ds_load_b128 v[18:21], v58 offset:240
	s_wait_dscnt 0x0
	;;#ASMSTART
	v_dot2_f32_f16 v3, v14, v18, v3
	;;#ASMEND
	;;#ASMSTART
	v_dot2_f32_f16 v3, v15, v19, v3
	;;#ASMEND
	;; [unrolled: 3-line block ×4, first 2 shown]
	s_wait_loadcnt 0x0
	s_barrier_signal -1
	s_barrier_wait -1
	global_inv scope:SCOPE_SE
	s_clause 0x1
	scratch_store_b32 off, v4, off
	scratch_store_b96 off, v[0:2], off offset:4
	flat_load_b128 v[14:17], v[22:23]
	v_add_co_u32 v18, s5, 0x100, v8
	s_wait_alu 0xf1ff
	v_add_co_ci_u32_e64 v19, null, 0, v9, s5
	s_clause 0x1
	scratch_store_b32 off, v4, off
	scratch_store_b96 off, v[0:2], off offset:4
	v_cndmask_b32_e64 v18, 0, v18, s2
	v_cndmask_b32_e64 v19, s25, v19, s2
	s_wait_loadcnt_dscnt 0x0
	ds_store_b128 v5, v[14:17]
	flat_load_b128 v[14:17], v[18:19]
	v_add_co_u32 v18, s5, 0x100, v10
	s_wait_alu 0xf1ff
	v_add_co_ci_u32_e64 v19, null, 0, v11, s5
	s_clause 0x1
	scratch_store_b32 off, v4, off
	scratch_store_b96 off, v[0:2], off offset:4
	v_cndmask_b32_e64 v18, 0, v18, s3
	v_cndmask_b32_e64 v19, s25, v19, s3
	s_wait_loadcnt_dscnt 0x0
	ds_store_b128 v5, v[14:17] offset:1152
	flat_load_b128 v[14:17], v[18:19]
	v_add_co_u32 v18, s5, 0x100, v12
	s_wait_alu 0xf1ff
	v_add_co_ci_u32_e64 v19, null, 0, v13, s5
	s_clause 0x1
	scratch_store_b32 off, v4, off
	scratch_store_b96 off, v[0:2], off offset:4
	v_cndmask_b32_e64 v18, 0, v18, s4
	v_add_co_u32 v6, s5, 0x180, v6
	v_cndmask_b32_e64 v19, s25, v19, s4
	s_wait_alu 0xf1ff
	v_add_co_ci_u32_e64 v7, null, 0, v7, s5
	s_delay_alu instid0(VALU_DEP_3) | instskip(NEXT) | instid1(VALU_DEP_2)
	v_cndmask_b32_e32 v6, 0, v6, vcc_lo
	v_cndmask_b32_e32 v7, s25, v7, vcc_lo
	s_wait_loadcnt_dscnt 0x0
	ds_store_b128 v5, v[14:17] offset:2304
	flat_load_b128 v[14:17], v[18:19]
	s_wait_loadcnt_dscnt 0x0
	ds_store_b128 v5, v[14:17] offset:3456
	s_wait_storecnt_dscnt 0x0
	s_barrier_signal -1
	s_barrier_wait -1
	global_inv scope:SCOPE_SE
	ds_load_b128 v[14:17], v59
	ds_load_b128 v[18:21], v58 offset:256
	s_wait_dscnt 0x0
	;;#ASMSTART
	v_dot2_f32_f16 v3, v14, v18, v3
	;;#ASMEND
	;;#ASMSTART
	v_dot2_f32_f16 v3, v15, v19, v3
	;;#ASMEND
	;;#ASMSTART
	v_dot2_f32_f16 v3, v16, v20, v3
	;;#ASMEND
	;;#ASMSTART
	v_dot2_f32_f16 v3, v17, v21, v3
	;;#ASMEND
	ds_load_b128 v[14:17], v59 offset:16
	ds_load_b128 v[18:21], v58 offset:272
	s_wait_dscnt 0x0
	;;#ASMSTART
	v_dot2_f32_f16 v3, v14, v18, v3
	;;#ASMEND
	;;#ASMSTART
	v_dot2_f32_f16 v3, v15, v19, v3
	;;#ASMEND
	;;#ASMSTART
	v_dot2_f32_f16 v3, v16, v20, v3
	;;#ASMEND
	;;#ASMSTART
	v_dot2_f32_f16 v3, v17, v21, v3
	;;#ASMEND
	ds_load_b128 v[14:17], v59 offset:32
	;; [unrolled: 15-line block ×7, first 2 shown]
	ds_load_b128 v[18:21], v58 offset:368
	s_wait_dscnt 0x0
	;;#ASMSTART
	v_dot2_f32_f16 v3, v14, v18, v3
	;;#ASMEND
	;;#ASMSTART
	v_dot2_f32_f16 v3, v15, v19, v3
	;;#ASMEND
	;; [unrolled: 3-line block ×4, first 2 shown]
	s_wait_loadcnt 0x0
	s_barrier_signal -1
	s_barrier_wait -1
	global_inv scope:SCOPE_SE
	s_clause 0x1
	scratch_store_b32 off, v4, off
	scratch_store_b96 off, v[0:2], off offset:4
	flat_load_b128 v[14:17], v[6:7]
	v_add_co_u32 v6, vcc_lo, 0x180, v8
	s_wait_alu 0xfffd
	v_add_co_ci_u32_e64 v7, null, 0, v9, vcc_lo
	s_clause 0x1
	scratch_store_b32 off, v4, off
	scratch_store_b96 off, v[0:2], off offset:4
	v_cndmask_b32_e64 v6, 0, v6, s2
	v_add_co_u32 v10, vcc_lo, 0x180, v10
	v_cndmask_b32_e64 v7, s25, v7, s2
	s_wait_alu 0xfffd
	v_add_co_ci_u32_e64 v11, null, 0, v11, vcc_lo
	s_delay_alu instid0(VALU_DEP_3) | instskip(NEXT) | instid1(VALU_DEP_2)
	v_cndmask_b32_e64 v10, 0, v10, s3
	v_cndmask_b32_e64 v11, s25, v11, s3
	s_wait_loadcnt_dscnt 0x0
	ds_store_b128 v5, v[14:17]
	flat_load_b128 v[6:9], v[6:7]
	s_clause 0x1
	scratch_store_b32 off, v4, off
	scratch_store_b96 off, v[0:2], off offset:4
	s_wait_loadcnt_dscnt 0x0
	ds_store_b128 v5, v[6:9] offset:1152
	flat_load_b128 v[6:9], v[10:11]
	v_add_co_u32 v10, vcc_lo, 0x180, v12
	s_wait_alu 0xfffd
	v_add_co_ci_u32_e64 v11, null, 0, v13, vcc_lo
	s_clause 0x1
	scratch_store_b32 off, v4, off
	scratch_store_b96 off, v[0:2], off offset:4
	v_cndmask_b32_e64 v10, 0, v10, s4
                                        ; implicit-def: $vgpr0
	v_cndmask_b32_e64 v11, s25, v11, s4
	s_wait_loadcnt_dscnt 0x0
	ds_store_b128 v5, v[6:9] offset:2304
	flat_load_b128 v[6:9], v[10:11]
	s_wait_loadcnt_dscnt 0x0
	ds_store_b128 v5, v[6:9] offset:3456
	s_wait_storecnt_dscnt 0x0
	s_barrier_signal -1
	s_barrier_wait -1
	global_inv scope:SCOPE_SE
	ds_load_b128 v[4:7], v59
	ds_load_b128 v[8:11], v58 offset:384
	s_wait_dscnt 0x0
	;;#ASMSTART
	v_dot2_f32_f16 v3, v4, v8, v3
	;;#ASMEND
	;;#ASMSTART
	v_dot2_f32_f16 v3, v5, v9, v3
	;;#ASMEND
	;;#ASMSTART
	v_dot2_f32_f16 v3, v6, v10, v3
	;;#ASMEND
	;;#ASMSTART
	v_dot2_f32_f16 v3, v7, v11, v3
	;;#ASMEND
	ds_load_b128 v[4:7], v59 offset:16
	ds_load_b128 v[8:11], v58 offset:400
	s_wait_dscnt 0x0
	;;#ASMSTART
	v_dot2_f32_f16 v3, v4, v8, v3
	;;#ASMEND
	;;#ASMSTART
	v_dot2_f32_f16 v3, v5, v9, v3
	;;#ASMEND
	;;#ASMSTART
	v_dot2_f32_f16 v3, v6, v10, v3
	;;#ASMEND
	;;#ASMSTART
	v_dot2_f32_f16 v3, v7, v11, v3
	;;#ASMEND
	ds_load_b128 v[4:7], v59 offset:32
	;; [unrolled: 15-line block ×7, first 2 shown]
	ds_load_b128 v[8:11], v58 offset:496
	s_wait_dscnt 0x0
	;;#ASMSTART
	v_dot2_f32_f16 v3, v4, v8, v3
	;;#ASMEND
	;;#ASMSTART
	v_dot2_f32_f16 v3, v5, v9, v3
	;;#ASMEND
	;; [unrolled: 3-line block ×4, first 2 shown]
	v_cmp_ngt_f32_e64 s2, 0x3f200000, |v3|
	s_and_saveexec_b32 s3, s2
	s_wait_alu 0xfffe
	s_xor_b32 s2, exec_lo, s3
	s_cbranch_execz .LBB74_24
; %bb.23:
	v_add_f32_e64 v0, |v3|, |v3|
	s_delay_alu instid0(VALU_DEP_1) | instskip(SKIP_1) | instid1(VALU_DEP_2)
	v_mul_f32_e32 v1, 0x3fb8aa3b, v0
	v_cmp_ngt_f32_e32 vcc_lo, 0xc2ce8ed0, v0
	v_rndne_f32_e32 v2, v1
	v_fma_f32 v4, 0x3fb8aa3b, v0, -v1
	s_delay_alu instid0(VALU_DEP_1) | instskip(SKIP_1) | instid1(VALU_DEP_2)
	v_dual_sub_f32 v1, v1, v2 :: v_dual_fmamk_f32 v4, v0, 0x32a5705f, v4
	v_cvt_i32_f32_e32 v2, v2
	v_add_f32_e32 v1, v1, v4
	s_delay_alu instid0(VALU_DEP_1) | instskip(NEXT) | instid1(TRANS32_DEP_1)
	v_exp_f32_e32 v1, v1
	v_ldexp_f32 v1, v1, v2
	s_wait_alu 0xfffd
	s_delay_alu instid0(VALU_DEP_1) | instskip(SKIP_2) | instid1(VALU_DEP_2)
	v_cndmask_b32_e32 v1, 0, v1, vcc_lo
	v_cmp_nlt_f32_e32 vcc_lo, 0x42b17218, v0
	s_wait_alu 0xfffd
	v_cndmask_b32_e32 v0, 0x7f800000, v1, vcc_lo
	s_delay_alu instid0(VALU_DEP_1) | instskip(NEXT) | instid1(VALU_DEP_1)
	v_add_f32_e32 v0, 1.0, v0
	v_rcp_f32_e32 v0, v0
	s_delay_alu instid0(TRANS32_DEP_1)
	v_fma_f32 v0, v0, -2.0, 1.0
.LBB74_24:
	s_wait_alu 0xfffe
	s_and_not1_saveexec_b32 s2, s2
	s_cbranch_execz .LBB74_26
; %bb.25:
	v_mul_f32_e32 v0, v3, v3
	s_mov_b32 s3, 0xbbbac73d
	s_wait_alu 0xfffe
	s_delay_alu instid0(VALU_DEP_1) | instskip(NEXT) | instid1(VALU_DEP_1)
	v_fmaak_f32 v1, s3, v0, 0x3ca908c9
	v_fmaak_f32 v1, v0, v1, 0xbd5c1c4e
	s_delay_alu instid0(VALU_DEP_1) | instskip(NEXT) | instid1(VALU_DEP_1)
	v_fmaak_f32 v1, v0, v1, 0x3e088382
	v_fmaak_f32 v1, v0, v1, 0xbeaaaa99
	s_delay_alu instid0(VALU_DEP_1) | instskip(NEXT) | instid1(VALU_DEP_1)
	v_mul_f32_e64 v1, |v3|, v1
	v_fma_f32 v0, v0, v1, |v3|
.LBB74_26:
	s_wait_alu 0xfffe
	s_or_b32 exec_lo, exec_lo, s2
	s_delay_alu instid0(VALU_DEP_1) | instskip(SKIP_1) | instid1(VALU_DEP_1)
	v_bfi_b32 v0, 0x7fffffff, v0, v3
	s_mov_b32 s2, exec_lo
	v_dual_mov_b32 v1, v81 :: v_dual_mul_f32 v0, s37, v0
	v_cmpx_gt_i32_e64 s9, v80
	s_cbranch_execz .LBB74_31
; %bb.27:
	s_cmp_eq_u64 s[34:35], 0
	s_cbranch_scc1 .LBB74_29
; %bb.28:
	v_mul_lo_u32 v1, v57, s33
	s_delay_alu instid0(VALU_DEP_1) | instskip(NEXT) | instid1(VALU_DEP_1)
	v_add3_u32 v1, v1, v80, s20
	v_ashrrev_i32_e32 v2, 31, v1
	s_delay_alu instid0(VALU_DEP_1) | instskip(NEXT) | instid1(VALU_DEP_1)
	v_lshlrev_b64_e32 v[1:2], 1, v[1:2]
	v_add_co_u32 v1, vcc_lo, s34, v1
	s_wait_alu 0xfffd
	s_delay_alu instid0(VALU_DEP_2) | instskip(SKIP_3) | instid1(VALU_DEP_1)
	v_add_co_ci_u32_e64 v2, null, s35, v2, vcc_lo
	global_load_u16 v1, v[1:2], off
	s_wait_loadcnt 0x0
	v_cvt_f32_f16_e32 v1, v1
	v_mul_f32_e32 v1, v56, v1
	s_branch .LBB74_30
.LBB74_29:
	v_mov_b32_e32 v1, 0
.LBB74_30:
	s_delay_alu instid0(VALU_DEP_1) | instskip(NEXT) | instid1(VALU_DEP_1)
	v_add_f32_e32 v0, v0, v1
	v_dual_max_num_f32 v2, v81, v81 :: v_dual_add_f32 v1, 0x40051340, v0
	s_delay_alu instid0(VALU_DEP_1)
	v_max_num_f32_e32 v1, v2, v1
.LBB74_31:
	s_wait_alu 0xfffe
	s_or_b32 exec_lo, exec_lo, s2
	v_xor_b32_e32 v99, 16, v89
	v_xor_b32_e32 v97, 8, v89
	;; [unrolled: 1-line block ×4, first 2 shown]
	s_ashr_i32 s11, s10, 31
	v_cmp_gt_i32_e32 vcc_lo, 32, v99
	s_mov_b32 s4, 0
	s_wait_alu 0xfffe
	s_mul_u64 s[6:7], s[20:21], s[10:11]
	s_mov_b32 s5, s4
	s_wait_alu 0xfffe
	s_lshl_b64 s[24:25], s[6:7], 2
	s_wait_alu 0xfffd
	v_cndmask_b32_e32 v2, v89, v99, vcc_lo
	v_cmp_gt_i32_e32 vcc_lo, 32, v97
	s_mov_b32 s6, s4
	v_xor_b32_e32 v101, 1, v89
	s_mov_b64 s[2:3], src_private_base
	v_lshlrev_b32_e32 v2, 2, v2
	s_lshl_b32 s2, s10, 1
	v_ashrrev_i32_e32 v37, 31, v36
	s_wait_alu 0xfffe
	s_add_nc_u64 s[24:25], s[14:15], s[24:25]
	s_wait_loadcnt 0x0
	ds_bpermute_b32 v2, v2, v1
	v_max_num_f32_e32 v1, v1, v1
	s_wait_alu 0xfffd
	v_cndmask_b32_e32 v3, v89, v97, vcc_lo
	v_cmp_gt_i32_e32 vcc_lo, 32, v98
	v_lshlrev_b64_e32 v[72:73], 2, v[36:37]
	s_barrier_signal -1
	s_barrier_wait -1
	s_wait_dscnt 0x0
	global_inv scope:SCOPE_SE
	v_dual_mov_b32 v106, 0 :: v_dual_add_nc_u32 v111, 4, v74
	v_dual_mov_b32 v78, s6 :: v_dual_mov_b32 v77, s5
	v_mov_b32_e32 v76, s4
	s_or_b32 s4, s20, 8
	s_clause 0x1
	scratch_store_b32 off, v106, off
	scratch_store_b96 off, v[76:78], off offset:4
	s_wait_alu 0xfffe
	s_ashr_i32 s5, s4, 31
	v_lshlrev_b32_e32 v104, 6, v74
	s_wait_alu 0xfffe
	s_mul_u64 s[4:5], s[4:5], s[10:11]
	v_dual_max_num_f32 v2, v2, v2 :: v_dual_lshlrev_b32 v3, 2, v3
	s_wait_alu 0xfffe
	s_lshl_b64 s[4:5], s[4:5], 2
	v_add_nc_u32_e32 v112, 2, v74
	s_wait_alu 0xfffe
	s_add_nc_u64 s[4:5], s[14:15], s[4:5]
	v_max_num_f32_e32 v1, v1, v2
	v_add_nc_u32_e32 v113, v55, v91
	v_add_nc_u32_e32 v108, 6, v74
	v_lshl_add_u32 v110, v112, 9, v91
	ds_bpermute_b32 v2, v3, v1
	s_wait_alu 0xfffd
	v_cndmask_b32_e32 v3, v89, v98, vcc_lo
	v_cmp_gt_i32_e32 vcc_lo, 32, v100
	v_lshl_add_u32 v107, v108, 9, v91
	s_wait_dscnt 0x0
	s_delay_alu instid0(VALU_DEP_3) | instskip(NEXT) | instid1(VALU_DEP_1)
	v_dual_max_num_f32 v2, v2, v2 :: v_dual_lshlrev_b32 v3, 2, v3
	v_max_num_f32_e32 v1, v1, v2
	ds_bpermute_b32 v2, v3, v1
	s_wait_alu 0xfffd
	v_cndmask_b32_e32 v3, v89, v100, vcc_lo
	v_cmp_gt_i32_e32 vcc_lo, 32, v101
	s_wait_dscnt 0x0
	s_delay_alu instid0(VALU_DEP_2) | instskip(NEXT) | instid1(VALU_DEP_1)
	v_dual_max_num_f32 v2, v2, v2 :: v_dual_lshlrev_b32 v3, 2, v3
	v_max_num_f32_e32 v1, v1, v2
	ds_bpermute_b32 v2, v3, v1
	s_wait_dscnt 0x0
	s_wait_alu 0xfffd
	v_dual_cndmask_b32 v3, v89, v101 :: v_dual_max_num_f32 v2, v2, v2
	s_delay_alu instid0(VALU_DEP_1) | instskip(NEXT) | instid1(VALU_DEP_2)
	v_max_num_f32_e32 v1, v1, v2
	v_lshlrev_b32_e32 v3, 2, v3
	ds_bpermute_b32 v2, v3, v1
	s_wait_dscnt 0x0
	v_max_num_f32_e32 v2, v2, v2
	s_delay_alu instid0(VALU_DEP_1) | instskip(NEXT) | instid1(VALU_DEP_1)
	v_max_num_f32_e32 v102, v1, v2
	v_sub_f32_e32 v0, v0, v102
	s_delay_alu instid0(VALU_DEP_1) | instskip(SKIP_1) | instid1(VALU_DEP_2)
	v_mul_f32_e32 v1, 0x3fb8aa3b, v0
	v_cmp_ngt_f32_e32 vcc_lo, 0xc2ce8ed0, v0
	v_fma_f32 v2, 0x3fb8aa3b, v0, -v1
	v_rndne_f32_e32 v3, v1
	s_delay_alu instid0(VALU_DEP_1) | instskip(SKIP_1) | instid1(VALU_DEP_2)
	v_dual_fmac_f32 v2, 0x32a5705f, v0 :: v_dual_sub_f32 v1, v1, v3
	v_cvt_i32_f32_e32 v3, v3
	v_dual_add_f32 v1, v1, v2 :: v_dual_lshlrev_b32 v2, 1, v80
	s_delay_alu instid0(VALU_DEP_1) | instskip(NEXT) | instid1(VALU_DEP_1)
	v_exp_f32_e32 v1, v1
	v_add3_u32 v2, 0x1600, v104, v2
	s_delay_alu instid0(TRANS32_DEP_1) | instskip(SKIP_1) | instid1(VALU_DEP_1)
	v_ldexp_f32 v1, v1, v3
	s_wait_alu 0xfffd
	v_cndmask_b32_e32 v1, 0, v1, vcc_lo
	v_add_co_u32 v3, vcc_lo, s24, v72
	s_wait_alu 0xfffd
	v_add_co_ci_u32_e64 v4, null, s25, v73, vcc_lo
	v_cmp_nlt_f32_e32 vcc_lo, 0x42b17218, v0
	s_wait_alu 0xfffd
	v_cndmask_b32_e32 v0, 0x7f800000, v1, vcc_lo
	v_add_co_u32 v1, vcc_lo, v3, v91
	s_wait_alu 0xfffd
	v_add_co_ci_u32_e64 v3, null, 0, v4, vcc_lo
	v_cmp_gt_u32_e32 vcc_lo, s9, v80
	s_wait_alu 0xfffd
	v_cndmask_b32_e32 v103, 0, v0, vcc_lo
	v_cmp_gt_i32_e32 vcc_lo, s9, v74
	s_wait_alu 0xfffd
	v_cndmask_b32_e32 v0, 0, v1, vcc_lo
	s_delay_alu instid0(VALU_DEP_3) | instskip(SKIP_4) | instid1(VALU_DEP_1)
	v_cvt_f16_f32_e32 v4, v103
	v_cndmask_b32_e32 v1, s3, v3, vcc_lo
	ds_store_b16 v2, v4
	flat_load_b128 v[0:3], v[0:1]
	v_add_nc_u32_e32 v4, s2, v36
	v_ashrrev_i32_e32 v5, 31, v4
	s_delay_alu instid0(VALU_DEP_1)
	v_lshlrev_b64_e32 v[84:85], 2, v[4:5]
	v_add_nc_u32_e32 v4, s2, v4
	s_clause 0x1
	scratch_store_b32 off, v106, off
	scratch_store_b96 off, v[76:78], off offset:4
	v_add_co_u32 v5, vcc_lo, s24, v84
	s_wait_alu 0xfffd
	v_add_co_ci_u32_e64 v6, null, s25, v85, vcc_lo
	s_delay_alu instid0(VALU_DEP_2) | instskip(SKIP_1) | instid1(VALU_DEP_2)
	v_add_co_u32 v5, vcc_lo, v5, v91
	s_wait_alu 0xfffd
	v_add_co_ci_u32_e64 v6, null, 0, v6, vcc_lo
	v_cmp_gt_i32_e32 vcc_lo, s9, v112
	s_wait_alu 0xfffd
	v_cndmask_b32_e32 v5, 0, v5, vcc_lo
	s_delay_alu instid0(VALU_DEP_3)
	v_cndmask_b32_e32 v6, s3, v6, vcc_lo
	s_wait_loadcnt_dscnt 0x0
	ds_store_b128 v113, v[0:3]
	flat_load_b128 v[0:3], v[5:6]
	v_ashrrev_i32_e32 v5, 31, v4
	s_clause 0x1
	scratch_store_b32 off, v106, off
	scratch_store_b96 off, v[76:78], off offset:4
	v_lshlrev_b64_e32 v[86:87], 2, v[4:5]
	v_add_nc_u32_e32 v4, s2, v4
	s_add_co_i32 s2, s9, -8
	s_delay_alu instid0(VALU_DEP_2) | instskip(SKIP_1) | instid1(VALU_DEP_3)
	v_add_co_u32 v5, vcc_lo, s24, v86
	s_wait_alu 0xfffd
	v_add_co_ci_u32_e64 v6, null, s25, v87, vcc_lo
	s_delay_alu instid0(VALU_DEP_2) | instskip(SKIP_1) | instid1(VALU_DEP_2)
	v_add_co_u32 v5, vcc_lo, v5, v91
	s_wait_alu 0xfffd
	v_add_co_ci_u32_e64 v6, null, 0, v6, vcc_lo
	v_cmp_gt_i32_e32 vcc_lo, s9, v111
	s_wait_alu 0xfffd
	v_cndmask_b32_e32 v5, 0, v5, vcc_lo
	s_delay_alu instid0(VALU_DEP_3)
	v_cndmask_b32_e32 v6, s3, v6, vcc_lo
	s_wait_loadcnt_dscnt 0x0
	ds_store_b128 v110, v[0:3]
	flat_load_b128 v[0:3], v[5:6]
	v_ashrrev_i32_e32 v5, 31, v4
	s_clause 0x1
	scratch_store_b32 off, v106, off
	scratch_store_b96 off, v[76:78], off offset:4
	v_lshlrev_b64_e32 v[82:83], 2, v[4:5]
	s_delay_alu instid0(VALU_DEP_1) | instskip(SKIP_1) | instid1(VALU_DEP_2)
	v_add_co_u32 v4, vcc_lo, s24, v82
	s_wait_alu 0xfffd
	v_add_co_ci_u32_e64 v5, null, s25, v83, vcc_lo
	s_delay_alu instid0(VALU_DEP_2) | instskip(SKIP_1) | instid1(VALU_DEP_2)
	v_add_co_u32 v4, vcc_lo, v4, v91
	s_wait_alu 0xfffd
	v_add_co_ci_u32_e64 v5, null, 0, v5, vcc_lo
	v_cmp_gt_i32_e32 vcc_lo, s9, v108
	s_wait_alu 0xfffd
	v_cndmask_b32_e32 v4, 0, v4, vcc_lo
	v_lshl_add_u32 v109, v111, 9, v91
	v_cndmask_b32_e32 v5, s3, v5, vcc_lo
	s_wait_loadcnt_dscnt 0x0
	ds_store_b128 v109, v[0:3]
	flat_load_b128 v[0:3], v[4:5]
	s_wait_alu 0xfffe
	v_add_co_u32 v4, vcc_lo, s4, v72
	s_wait_alu 0xfffd
	v_add_co_ci_u32_e64 v5, null, s5, v73, vcc_lo
	s_delay_alu instid0(VALU_DEP_2) | instskip(SKIP_1) | instid1(VALU_DEP_2)
	v_add_co_u32 v4, vcc_lo, v4, v91
	s_wait_alu 0xfffd
	v_add_co_ci_u32_e64 v5, null, 0, v5, vcc_lo
	v_cmp_gt_i32_e32 vcc_lo, s2, v74
	s_wait_alu 0xfffd
	v_cndmask_b32_e32 v36, 0, v4, vcc_lo
	s_delay_alu instid0(VALU_DEP_3) | instskip(SKIP_3) | instid1(VALU_DEP_2)
	v_cndmask_b32_e32 v37, s3, v5, vcc_lo
	v_add_co_u32 v40, vcc_lo, s4, v84
	s_wait_alu 0xfffd
	v_add_co_ci_u32_e64 v41, null, s5, v85, vcc_lo
	v_add_co_u32 v40, vcc_lo, v40, v91
	s_wait_alu 0xfffd
	s_delay_alu instid0(VALU_DEP_2) | instskip(SKIP_3) | instid1(VALU_DEP_3)
	v_add_co_ci_u32_e64 v41, null, 0, v41, vcc_lo
	v_cmp_gt_i32_e32 vcc_lo, s2, v112
	s_wait_alu 0xfffd
	v_dual_cndmask_b32 v40, 0, v40 :: v_dual_add_nc_u32 v105, 0x800, v90
	v_cndmask_b32_e32 v41, s3, v41, vcc_lo
	s_wait_loadcnt_dscnt 0x0
	ds_store_b128 v107, v[0:3]
	s_wait_storecnt_dscnt 0x0
	s_barrier_signal -1
	s_barrier_wait -1
	global_inv scope:SCOPE_SE
	ds_load_2addr_b64 v[28:31], v90 offset1:32
	ds_load_b128 v[32:35], v104 offset:5632
	ds_load_2addr_b64 v[24:27], v90 offset0:64 offset1:96
	ds_load_2addr_b64 v[20:23], v90 offset0:128 offset1:160
	;; [unrolled: 1-line block ×3, first 2 shown]
	ds_load_2addr_b64 v[12:15], v105 offset1:32
	ds_load_2addr_b64 v[8:11], v105 offset0:64 offset1:96
	ds_load_2addr_b64 v[4:7], v105 offset0:128 offset1:160
	;; [unrolled: 1-line block ×3, first 2 shown]
	s_wait_loadcnt_dscnt 0x0
	s_barrier_signal -1
	s_barrier_wait -1
	global_inv scope:SCOPE_SE
	s_clause 0x1
	scratch_store_b32 off, v106, off
	scratch_store_b96 off, v[76:78], off offset:4
	flat_load_b128 v[36:39], v[36:37]
	s_clause 0x1
	scratch_store_b32 off, v106, off
	scratch_store_b96 off, v[76:78], off offset:4
	s_wait_loadcnt_dscnt 0x0
	ds_store_b128 v113, v[36:39]
	flat_load_b128 v[36:39], v[40:41]
	v_add_co_u32 v40, vcc_lo, s4, v86
	s_wait_alu 0xfffd
	v_add_co_ci_u32_e64 v41, null, s5, v87, vcc_lo
	s_clause 0x1
	scratch_store_b32 off, v106, off
	scratch_store_b96 off, v[76:78], off offset:4
	v_add_co_u32 v40, vcc_lo, v40, v91
	s_wait_alu 0xfffd
	v_add_co_ci_u32_e64 v41, null, 0, v41, vcc_lo
	v_cmp_gt_i32_e32 vcc_lo, s2, v111
	s_wait_alu 0xfffd
	v_cndmask_b32_e32 v40, 0, v40, vcc_lo
	s_delay_alu instid0(VALU_DEP_3)
	v_cndmask_b32_e32 v41, s3, v41, vcc_lo
	s_wait_loadcnt_dscnt 0x0
	ds_store_b128 v110, v[36:39]
	flat_load_b128 v[36:39], v[40:41]
	v_add_co_u32 v40, vcc_lo, s4, v82
	s_wait_alu 0xfffd
	v_add_co_ci_u32_e64 v41, null, s5, v83, vcc_lo
	s_clause 0x1
	scratch_store_b32 off, v106, off
	scratch_store_b96 off, v[76:78], off offset:4
	v_add_co_u32 v40, vcc_lo, v40, v91
	s_wait_alu 0xfffd
	v_add_co_ci_u32_e64 v41, null, 0, v41, vcc_lo
	v_cmp_gt_i32_e32 vcc_lo, s2, v108
	s_or_b32 s4, s20, 16
	s_add_co_i32 s2, s9, -16
	s_wait_alu 0xfffe
	s_ashr_i32 s5, s4, 31
	s_wait_alu 0xfffd
	v_cndmask_b32_e32 v40, 0, v40, vcc_lo
	v_cndmask_b32_e32 v41, s3, v41, vcc_lo
	s_wait_alu 0xfffe
	s_mul_u64 s[4:5], s[4:5], s[10:11]
	s_wait_alu 0xfffe
	s_lshl_b64 s[4:5], s[4:5], 2
	s_wait_alu 0xfffe
	s_add_nc_u64 s[4:5], s[14:15], s[4:5]
	s_wait_loadcnt_dscnt 0x0
	ds_store_b128 v109, v[36:39]
	flat_load_b128 v[36:39], v[40:41]
	s_wait_alu 0xfffe
	v_add_co_u32 v40, vcc_lo, s4, v72
	s_wait_alu 0xfffd
	v_add_co_ci_u32_e64 v41, null, s5, v73, vcc_lo
	s_delay_alu instid0(VALU_DEP_2) | instskip(SKIP_1) | instid1(VALU_DEP_2)
	v_add_co_u32 v40, vcc_lo, v40, v91
	s_wait_alu 0xfffd
	v_add_co_ci_u32_e64 v41, null, 0, v41, vcc_lo
	v_cmp_gt_i32_e32 vcc_lo, s2, v74
	s_wait_alu 0xfffd
	v_cndmask_b32_e32 v114, 0, v40, vcc_lo
	s_delay_alu instid0(VALU_DEP_3) | instskip(SKIP_3) | instid1(VALU_DEP_2)
	v_cndmask_b32_e32 v115, s3, v41, vcc_lo
	v_add_co_u32 v75, vcc_lo, s4, v84
	s_wait_alu 0xfffd
	v_add_co_ci_u32_e64 v118, null, s5, v85, vcc_lo
	v_add_co_u32 v75, vcc_lo, v75, v91
	s_wait_alu 0xfffd
	s_delay_alu instid0(VALU_DEP_2) | instskip(SKIP_3) | instid1(VALU_DEP_3)
	v_add_co_ci_u32_e64 v119, null, 0, v118, vcc_lo
	v_cmp_gt_i32_e32 vcc_lo, s2, v112
	s_wait_alu 0xfffd
	v_cndmask_b32_e32 v118, 0, v75, vcc_lo
	v_cndmask_b32_e32 v119, s3, v119, vcc_lo
	v_add_co_u32 v75, vcc_lo, s4, v86
	s_wait_loadcnt_dscnt 0x0
	ds_store_b128 v107, v[36:39]
	s_wait_storecnt_dscnt 0x0
	s_barrier_signal -1
	s_barrier_wait -1
	global_inv scope:SCOPE_SE
	ds_load_2addr_b64 v[64:67], v90 offset1:32
	ds_load_b128 v[68:71], v104 offset:5648
	ds_load_2addr_b64 v[60:63], v90 offset0:64 offset1:96
	ds_load_2addr_b64 v[56:59], v90 offset0:128 offset1:160
	;; [unrolled: 1-line block ×3, first 2 shown]
	ds_load_2addr_b64 v[48:51], v105 offset1:32
	ds_load_2addr_b64 v[44:47], v105 offset0:64 offset1:96
	ds_load_2addr_b64 v[40:43], v105 offset0:128 offset1:160
	;; [unrolled: 1-line block ×3, first 2 shown]
	s_wait_loadcnt_dscnt 0x0
	s_barrier_signal -1
	s_barrier_wait -1
	global_inv scope:SCOPE_SE
	s_clause 0x1
	scratch_store_b32 off, v106, off
	scratch_store_b96 off, v[76:78], off offset:4
	flat_load_b128 v[114:117], v[114:115]
	s_clause 0x1
	scratch_store_b32 off, v106, off
	scratch_store_b96 off, v[76:78], off offset:4
	s_wait_loadcnt_dscnt 0x0
	ds_store_b128 v113, v[114:117]
	flat_load_b128 v[114:117], v[118:119]
	s_wait_alu 0xfffd
	v_add_co_ci_u32_e64 v118, null, s5, v87, vcc_lo
	v_add_co_u32 v75, vcc_lo, v75, v91
	s_clause 0x1
	scratch_store_b32 off, v106, off
	scratch_store_b96 off, v[76:78], off offset:4
	s_wait_alu 0xfffd
	v_add_co_ci_u32_e64 v119, null, 0, v118, vcc_lo
	v_cmp_gt_i32_e32 vcc_lo, s2, v111
	s_wait_alu 0xfffd
	v_cndmask_b32_e32 v118, 0, v75, vcc_lo
	s_delay_alu instid0(VALU_DEP_3)
	v_cndmask_b32_e32 v119, s3, v119, vcc_lo
	v_add_co_u32 v75, vcc_lo, s4, v82
	s_or_b32 s4, s20, 24
	s_wait_loadcnt_dscnt 0x0
	ds_store_b128 v110, v[114:117]
	flat_load_b128 v[114:117], v[118:119]
	s_wait_alu 0xfffd
	v_add_co_ci_u32_e64 v118, null, s5, v83, vcc_lo
	v_add_co_u32 v75, vcc_lo, v75, v91
	s_clause 0x1
	scratch_store_b32 off, v106, off
	scratch_store_b96 off, v[76:78], off offset:4
	s_wait_alu 0xfffd
	v_add_co_ci_u32_e64 v119, null, 0, v118, vcc_lo
	v_cmp_gt_i32_e32 vcc_lo, s2, v108
	s_wait_alu 0xfffe
	s_ashr_i32 s5, s4, 31
	s_sub_co_i32 s2, s9, 24
	s_wait_alu 0xfffe
	s_mul_u64 s[4:5], s[4:5], s[10:11]
	s_wait_alu 0xfffd
	v_cndmask_b32_e32 v118, 0, v75, vcc_lo
	v_cndmask_b32_e32 v119, s3, v119, vcc_lo
	s_wait_alu 0xfffe
	s_lshl_b64 s[4:5], s[4:5], 2
	s_wait_alu 0xfffe
	s_add_nc_u64 s[4:5], s[14:15], s[4:5]
	s_wait_alu 0xfffe
	v_add_co_u32 v72, vcc_lo, s4, v72
	s_wait_alu 0xfffd
	v_add_co_ci_u32_e64 v73, null, s5, v73, vcc_lo
	s_delay_alu instid0(VALU_DEP_2) | instskip(SKIP_1) | instid1(VALU_DEP_2)
	v_add_co_u32 v72, vcc_lo, v72, v91
	s_wait_alu 0xfffd
	v_add_co_ci_u32_e64 v73, null, 0, v73, vcc_lo
	v_cmp_gt_i32_e32 vcc_lo, s2, v74
	s_wait_alu 0xfffd
	v_cndmask_b32_e32 v146, 0, v72, vcc_lo
	s_delay_alu instid0(VALU_DEP_3) | instskip(SKIP_3) | instid1(VALU_DEP_2)
	v_cndmask_b32_e32 v147, s3, v73, vcc_lo
	v_add_co_u32 v84, vcc_lo, s4, v84
	s_wait_alu 0xfffd
	v_add_co_ci_u32_e64 v85, null, s5, v85, vcc_lo
	v_add_co_u32 v84, vcc_lo, v84, v91
	s_wait_alu 0xfffd
	s_delay_alu instid0(VALU_DEP_2) | instskip(SKIP_3) | instid1(VALU_DEP_3)
	v_add_co_ci_u32_e64 v85, null, 0, v85, vcc_lo
	v_cmp_gt_i32_e32 vcc_lo, s2, v112
	s_wait_alu 0xfffd
	v_cndmask_b32_e32 v84, 0, v84, vcc_lo
	v_cndmask_b32_e32 v85, s3, v85, vcc_lo
	s_wait_loadcnt_dscnt 0x0
	ds_store_b128 v109, v[114:117]
	flat_load_b128 v[114:117], v[118:119]
	s_wait_loadcnt_dscnt 0x0
	ds_store_b128 v107, v[114:117]
	s_wait_storecnt_dscnt 0x0
	s_barrier_signal -1
	s_barrier_wait -1
	global_inv scope:SCOPE_SE
	ds_load_2addr_b64 v[114:117], v90 offset1:32
	ds_load_b128 v[118:121], v104 offset:5664
	ds_load_2addr_b64 v[122:125], v90 offset0:64 offset1:96
	ds_load_2addr_b64 v[126:129], v90 offset0:128 offset1:160
	;; [unrolled: 1-line block ×3, first 2 shown]
	ds_load_2addr_b64 v[134:137], v105 offset1:32
	ds_load_2addr_b64 v[138:141], v105 offset0:64 offset1:96
	ds_load_2addr_b64 v[142:145], v105 offset0:128 offset1:160
	;; [unrolled: 1-line block ×3, first 2 shown]
	s_wait_loadcnt_dscnt 0x0
	s_barrier_signal -1
	s_barrier_wait -1
	global_inv scope:SCOPE_SE
	s_clause 0x1
	scratch_store_b32 off, v106, off
	scratch_store_b96 off, v[76:78], off offset:4
	flat_load_b128 v[146:149], v[146:147]
	s_clause 0x1
	scratch_store_b32 off, v106, off
	scratch_store_b96 off, v[76:78], off offset:4
	s_wait_loadcnt_dscnt 0x0
	ds_store_b128 v113, v[146:149]
	flat_load_b128 v[146:149], v[84:85]
	v_add_co_u32 v84, vcc_lo, s4, v86
	s_wait_alu 0xfffd
	v_add_co_ci_u32_e64 v85, null, s5, v87, vcc_lo
	s_clause 0x1
	scratch_store_b32 off, v106, off
	scratch_store_b96 off, v[76:78], off offset:4
	v_add_co_u32 v84, vcc_lo, v84, v91
	s_wait_alu 0xfffd
	v_add_co_ci_u32_e64 v85, null, 0, v85, vcc_lo
	v_cmp_gt_i32_e32 vcc_lo, s2, v111
	s_wait_alu 0xfffd
	v_cndmask_b32_e32 v84, 0, v84, vcc_lo
	s_delay_alu instid0(VALU_DEP_3) | instskip(SKIP_3) | instid1(VALU_DEP_2)
	v_cndmask_b32_e32 v85, s3, v85, vcc_lo
	v_add_co_u32 v82, vcc_lo, s4, v82
	s_wait_alu 0xfffd
	v_add_co_ci_u32_e64 v83, null, s5, v83, vcc_lo
	v_add_co_u32 v82, vcc_lo, v82, v91
	s_wait_alu 0xfffd
	s_delay_alu instid0(VALU_DEP_2)
	v_add_co_ci_u32_e64 v83, null, 0, v83, vcc_lo
	v_cmp_gt_i32_e32 vcc_lo, s2, v108
	v_lshrrev_b32_e32 v91, 16, v34
	s_wait_alu 0xfffd
	v_cndmask_b32_e32 v82, 0, v82, vcc_lo
	v_cndmask_b32_e32 v83, s3, v83, vcc_lo
	s_wait_loadcnt_dscnt 0x0
	ds_store_b128 v110, v[146:149]
	flat_load_b128 v[84:87], v[84:85]
	s_clause 0x1
	scratch_store_b96 off, v[76:78], off offset:4
	scratch_store_b32 off, v106, off
	v_sub_f32_e32 v76, v81, v102
	s_delay_alu instid0(VALU_DEP_1) | instskip(SKIP_1) | instid1(VALU_DEP_2)
	v_mul_f32_e32 v77, 0x3fb8aa3b, v76
	v_cmp_ngt_f32_e32 vcc_lo, 0xc2ce8ed0, v76
	v_fma_f32 v78, 0x3fb8aa3b, v76, -v77
	v_rndne_f32_e32 v81, v77
	s_delay_alu instid0(VALU_DEP_1) | instskip(NEXT) | instid1(VALU_DEP_1)
	v_dual_fmac_f32 v78, 0x32a5705f, v76 :: v_dual_sub_f32 v77, v77, v81
	v_add_f32_e32 v77, v77, v78
	v_cvt_i32_f32_e32 v78, v81
	v_and_b32_e32 v81, 0xffff, v32
	v_lshrrev_b32_e32 v32, 16, v32
	s_delay_alu instid0(VALU_DEP_4) | instskip(NEXT) | instid1(VALU_DEP_2)
	v_exp_f32_e32 v77, v77
	v_mul_u32_u24_e32 v81, 0x10001, v81
	s_delay_alu instid0(VALU_DEP_2) | instskip(NEXT) | instid1(VALU_DEP_2)
	v_mul_u32_u24_e32 v32, 0x10001, v32
	v_pk_mul_f16 v28, v28, v81
	v_pk_mul_f16 v29, v29, v81
	s_delay_alu instid0(TRANS32_DEP_1) | instskip(SKIP_1) | instid1(VALU_DEP_1)
	v_ldexp_f32 v77, v77, v78
	s_wait_alu 0xfffd
	v_cndmask_b32_e32 v77, 0, v77, vcc_lo
	v_cmp_nlt_f32_e32 vcc_lo, 0x42b17218, v76
	s_wait_alu 0xfffd
	s_delay_alu instid0(VALU_DEP_2) | instskip(NEXT) | instid1(VALU_DEP_1)
	v_cndmask_b32_e32 v76, 0x7f800000, v77, vcc_lo
	v_dual_fmac_f32 v103, v96, v76 :: v_dual_and_b32 v34, 0xffff, v34
	v_cvt_f16_f32_e32 v77, v76
	s_delay_alu instid0(VALU_DEP_1) | instskip(NEXT) | instid1(VALU_DEP_1)
	v_dual_mov_b32 v96, v103 :: v_dual_and_b32 v77, 0xffff, v77
	v_mul_u32_u24_e32 v77, 0x10001, v77
	s_delay_alu instid0(VALU_DEP_1) | instskip(SKIP_2) | instid1(VALU_DEP_3)
	v_pk_mul_f16 v78, v95, v77
	v_pk_fma_f16 v28, v93, v77, v28
	v_pk_fma_f16 v29, v94, v77, v29
	;; [unrolled: 1-line block ×3, first 2 shown]
	s_delay_alu instid0(VALU_DEP_3) | instskip(NEXT) | instid1(VALU_DEP_3)
	v_pk_fma_f16 v24, v24, v32, v28
	v_pk_fma_f16 v25, v25, v32, v29
	s_delay_alu instid0(VALU_DEP_3)
	v_pk_fma_f16 v26, v26, v32, v30
	s_wait_loadcnt_dscnt 0x0
	ds_store_b128 v109, v[84:87]
	v_pk_mul_f16 v86, v92, v77
	v_lshrrev_b32_e32 v87, 16, v33
	v_and_b32_e32 v33, 0xffff, v33
	v_lshrrev_b32_e32 v92, 16, v35
	v_and_b32_e32 v35, 0xffff, v35
	v_pk_fma_f16 v31, v31, v81, v86
	v_mul_u32_u24_e32 v28, 0x10001, v87
	v_mul_u32_u24_e32 v33, 0x10001, v33
	v_mov_b32_e32 v81, v102
	s_delay_alu instid0(VALU_DEP_4) | instskip(NEXT) | instid1(VALU_DEP_3)
	v_pk_fma_f16 v27, v27, v32, v31
	v_pk_fma_f16 v20, v20, v33, v24
	;; [unrolled: 1-line block ×4, first 2 shown]
	s_delay_alu instid0(VALU_DEP_4)
	v_pk_fma_f16 v23, v23, v33, v27
	v_mul_u32_u24_e32 v24, 0x10001, v34
	v_pk_fma_f16 v16, v16, v28, v20
	v_pk_fma_f16 v18, v18, v28, v22
	v_pk_fma_f16 v17, v17, v28, v21
	v_pk_fma_f16 v19, v19, v28, v23
	v_mul_u32_u24_e32 v20, 0x10001, v91
	v_pk_fma_f16 v12, v12, v24, v16
	v_pk_fma_f16 v14, v14, v24, v18
	v_pk_fma_f16 v13, v13, v24, v17
	;; [unrolled: 5-line block ×4, first 2 shown]
	v_pk_fma_f16 v7, v7, v16, v11
	v_and_b32_e32 v9, 0xffff, v69
	v_pk_fma_f16 v0, v0, v12, v4
	v_and_b32_e32 v4, 0xffff, v68
	v_pk_fma_f16 v2, v2, v12, v6
	v_pk_fma_f16 v3, v3, v12, v7
	v_pk_fma_f16 v1, v1, v12, v5
	v_lshrrev_b32_e32 v5, 16, v68
	v_mul_u32_u24_e32 v4, 0x10001, v4
	v_lshrrev_b32_e32 v6, 16, v69
	v_and_b32_e32 v10, 0xffff, v70
	v_and_b32_e32 v11, 0xffff, v71
	v_mul_u32_u24_e32 v5, 0x10001, v5
	v_pk_fma_f16 v0, v64, v4, v0
	v_pk_fma_f16 v1, v65, v4, v1
	v_pk_fma_f16 v2, v66, v4, v2
	v_pk_fma_f16 v3, v67, v4, v3
	v_mul_u32_u24_e32 v4, 0x10001, v9
	v_pk_fma_f16 v0, v60, v5, v0
	v_pk_fma_f16 v1, v61, v5, v1
	v_pk_fma_f16 v2, v62, v5, v2
	v_pk_fma_f16 v3, v63, v5, v3
	;; [unrolled: 5-line block ×4, first 2 shown]
	v_lshrrev_b32_e32 v7, 16, v70
	v_pk_fma_f16 v0, v48, v4, v0
	v_pk_fma_f16 v1, v49, v4, v1
	;; [unrolled: 1-line block ×4, first 2 shown]
	v_mul_u32_u24_e32 v4, 0x10001, v11
	v_and_b32_e32 v11, 0xffff, v120
	flat_load_b128 v[82:85], v[82:83]
	v_mul_u32_u24_e32 v5, 0x10001, v7
	v_lshrrev_b32_e32 v8, 16, v71
	v_and_b32_e32 v10, 0xffff, v119
	v_lshrrev_b32_e32 v7, 16, v119
	v_and_b32_e32 v12, 0xffff, v121
	v_pk_fma_f16 v0, v44, v5, v0
	v_pk_fma_f16 v1, v45, v5, v1
	;; [unrolled: 1-line block ×4, first 2 shown]
	v_mul_u32_u24_e32 v5, 0x10001, v8
	v_pk_fma_f16 v6, v40, v4, v0
	v_pk_fma_f16 v1, v41, v4, v1
	;; [unrolled: 1-line block ×4, first 2 shown]
	v_mul_u32_u24_e32 v10, 0x10001, v10
	v_pk_fma_f16 v4, v36, v5, v6
	v_and_b32_e32 v6, 0xffff, v118
	v_pk_fma_f16 v1, v37, v5, v1
	v_pk_fma_f16 v2, v38, v5, v2
	v_pk_fma_f16 v3, v39, v5, v3
	v_lshrrev_b32_e32 v5, 16, v118
	v_mul_u32_u24_e32 v6, 0x10001, v6
	v_mul_u32_u24_e32 v7, 0x10001, v7
	v_lshrrev_b32_e32 v8, 16, v120
	v_lshrrev_b32_e32 v9, 16, v121
	v_mul_u32_u24_e32 v5, 0x10001, v5
	v_pk_fma_f16 v4, v114, v6, v4
	v_pk_fma_f16 v1, v115, v6, v1
	v_pk_fma_f16 v2, v116, v6, v2
	v_pk_fma_f16 v3, v117, v6, v3
	v_mul_u32_u24_e32 v6, 0x10001, v11
	v_pk_fma_f16 v4, v122, v5, v4
	v_pk_fma_f16 v1, v123, v5, v1
	v_pk_fma_f16 v2, v124, v5, v2
	v_pk_fma_f16 v3, v125, v5, v3
	;; [unrolled: 5-line block ×5, first 2 shown]
	v_mov_b32_e32 v0, 32
	v_pk_fma_f16 v10, v138, v5, v4
	v_pk_fma_f16 v11, v139, v5, v1
	;; [unrolled: 1-line block ×4, first 2 shown]
	s_delay_alu instid0(VALU_DEP_4) | instskip(NEXT) | instid1(VALU_DEP_4)
	v_pk_fma_f16 v6, v142, v8, v10
	v_pk_fma_f16 v10, v143, v8, v11
	s_delay_alu instid0(VALU_DEP_4) | instskip(NEXT) | instid1(VALU_DEP_4)
	v_pk_fma_f16 v11, v144, v8, v7
	v_pk_fma_f16 v12, v145, v8, v5
	;; [unrolled: 3-line block ×4, first 2 shown]
	s_wait_loadcnt_dscnt 0x0
	ds_store_b128 v107, v[82:85]
	s_wait_storecnt_dscnt 0x0
	s_barrier_signal -1
	s_barrier_wait -1
	global_inv scope:SCOPE_SE
	ds_load_b128 v[1:4], v104 offset:5680
	ds_load_2addr_b64 v[5:8], v90 offset1:32
	ds_load_2addr_b64 v[9:12], v90 offset0:64 offset1:96
	ds_load_2addr_b64 v[13:16], v90 offset0:128 offset1:160
	;; [unrolled: 1-line block ×3, first 2 shown]
	ds_load_2addr_b64 v[21:24], v105 offset1:32
	ds_load_2addr_b64 v[25:28], v105 offset0:64 offset1:96
	ds_load_2addr_b64 v[29:32], v105 offset0:128 offset1:160
	;; [unrolled: 1-line block ×3, first 2 shown]
	s_wait_loadcnt_dscnt 0x0
	s_barrier_signal -1
	s_barrier_wait -1
	global_inv scope:SCOPE_SE
	v_and_b32_e32 v41, 0xffff, v1
	v_lshrrev_b32_e32 v1, 16, v1
	v_lshrrev_b32_e32 v42, 16, v2
	v_and_b32_e32 v2, 0xffff, v2
	v_lshrrev_b32_e32 v43, 16, v3
	v_mul_u32_u24_e32 v41, 0x10001, v41
	v_mul_u32_u24_e32 v1, 0x10001, v1
	v_and_b32_e32 v3, 0xffff, v3
	v_mul_u32_u24_e32 v2, 0x10001, v2
	v_lshrrev_b32_e32 v44, 16, v4
	v_pk_fma_f16 v5, v5, v41, v37
	v_pk_fma_f16 v6, v6, v41, v38
	;; [unrolled: 1-line block ×4, first 2 shown]
	v_and_b32_e32 v4, 0xffff, v4
	v_pk_fma_f16 v5, v9, v1, v5
	v_pk_fma_f16 v6, v10, v1, v6
	v_pk_fma_f16 v7, v11, v1, v7
	v_pk_fma_f16 v1, v12, v1, v8
	v_mul_u32_u24_e32 v8, 0x10001, v42
	v_pk_fma_f16 v5, v13, v2, v5
	v_pk_fma_f16 v6, v14, v2, v6
	v_pk_fma_f16 v7, v15, v2, v7
	v_pk_fma_f16 v1, v16, v2, v1
	v_mul_u32_u24_e32 v2, 0x10001, v3
	;; [unrolled: 5-line block ×5, first 2 shown]
	v_pk_fma_f16 v3, v29, v2, v3
	v_pk_fma_f16 v4, v30, v2, v4
	;; [unrolled: 1-line block ×4, first 2 shown]
	s_delay_alu instid0(VALU_DEP_4) | instskip(NEXT) | instid1(VALU_DEP_4)
	v_pk_fma_f16 v93, v33, v6, v3
	v_pk_fma_f16 v94, v34, v6, v4
	s_delay_alu instid0(VALU_DEP_4) | instskip(NEXT) | instid1(VALU_DEP_4)
	v_pk_fma_f16 v95, v35, v6, v5
	v_pk_fma_f16 v92, v36, v6, v1
.LBB74_32:
	v_cmp_lt_i32_e32 vcc_lo, v99, v0
	s_cmp_eq_u64 s[12:13], 0
	s_cselect_b32 s2, -1, 0
	s_cmp_lg_u32 s8, 0
	s_wait_alu 0xfffd
	v_cndmask_b32_e32 v1, v89, v99, vcc_lo
	v_cmp_lt_i32_e32 vcc_lo, v97, v0
	s_cselect_b32 s3, -1, 0
	s_wait_alu 0xfffe
	s_or_b32 s2, s3, s2
	s_wait_alu 0xfffd
	v_cndmask_b32_e32 v2, v89, v97, vcc_lo
	v_cmp_lt_i32_e32 vcc_lo, v98, v0
	s_wait_alu 0xfffd
	v_cndmask_b32_e32 v3, v89, v98, vcc_lo
	v_cmp_lt_i32_e32 vcc_lo, v100, v0
	s_delay_alu instid0(VALU_DEP_2)
	v_lshlrev_b32_e32 v3, 2, v3
	v_lshlrev_b32_e32 v2, 2, v2
	;; [unrolled: 1-line block ×3, first 2 shown]
	ds_bpermute_b32 v1, v1, v96
	s_wait_dscnt 0x0
	v_add_f32_e32 v1, v96, v1
	ds_bpermute_b32 v2, v2, v1
	s_wait_dscnt 0x0
	v_add_f32_e32 v1, v1, v2
	ds_bpermute_b32 v2, v3, v1
	s_wait_alu 0xfffd
	v_cndmask_b32_e32 v3, v89, v100, vcc_lo
	v_cmp_lt_i32_e32 vcc_lo, v101, v0
	s_wait_alu 0xfffd
	s_delay_alu instid0(VALU_DEP_2) | instskip(SKIP_3) | instid1(VALU_DEP_1)
	v_dual_cndmask_b32 v0, v89, v101 :: v_dual_lshlrev_b32 v3, 2, v3
	s_wait_alu 0xfffe
	s_and_b32 vcc_lo, exec_lo, s2
	s_wait_dscnt 0x0
	v_dual_add_f32 v1, v1, v2 :: v_dual_lshlrev_b32 v0, 2, v0
	ds_bpermute_b32 v2, v3, v1
	s_wait_dscnt 0x0
	v_add_f32_e32 v1, v1, v2
	ds_bpermute_b32 v0, v0, v1
	s_wait_dscnt 0x0
	v_add_f32_e32 v82, v1, v0
	s_wait_alu 0xfffe
	s_cbranch_vccnz .LBB74_34
; %bb.33:
	v_dual_mov_b32 v0, 0 :: v_dual_max_num_f32 v1, v81, v81
	s_lshl_b64 s[2:3], s[30:31], 2
	s_wait_alu 0xfffe
	s_add_nc_u64 s[2:3], s[12:13], s[2:3]
	global_load_b32 v0, v0, s[2:3]
	s_wait_loadcnt 0x0
	v_max_num_f32_e32 v2, v0, v0
	s_delay_alu instid0(VALU_DEP_1) | instskip(NEXT) | instid1(VALU_DEP_1)
	v_max_num_f32_e32 v1, v1, v2
	v_sub_f32_e32 v0, v0, v1
	s_delay_alu instid0(VALU_DEP_1) | instskip(SKIP_2) | instid1(VALU_DEP_3)
	v_mul_f32_e32 v6, 0x3fb8aa3b, v0
	v_sub_f32_e32 v2, v81, v1
	v_mov_b32_e32 v81, v1
	v_rndne_f32_e32 v8, v6
	s_delay_alu instid0(VALU_DEP_3) | instskip(NEXT) | instid1(VALU_DEP_1)
	v_mul_f32_e32 v3, 0x3fb8aa3b, v2
	v_fma_f32 v4, 0x3fb8aa3b, v2, -v3
	v_rndne_f32_e32 v5, v3
	s_delay_alu instid0(VALU_DEP_1) | instskip(SKIP_1) | instid1(VALU_DEP_2)
	v_dual_fmac_f32 v4, 0x32a5705f, v2 :: v_dual_sub_f32 v3, v3, v5
	v_cvt_i32_f32_e32 v5, v5
	v_add_f32_e32 v3, v3, v4
	v_cmp_ngt_f32_e32 vcc_lo, 0xc2ce8ed0, v2
	v_sub_f32_e32 v4, v6, v8
	s_delay_alu instid0(VALU_DEP_3) | instskip(NEXT) | instid1(TRANS32_DEP_1)
	v_exp_f32_e32 v3, v3
	v_ldexp_f32 v3, v3, v5
	v_cvt_i32_f32_e32 v5, v8
	s_wait_alu 0xfffd
	s_delay_alu instid0(VALU_DEP_2) | instskip(SKIP_2) | instid1(VALU_DEP_2)
	v_cndmask_b32_e32 v3, 0, v3, vcc_lo
	v_fma_f32 v7, 0x3fb8aa3b, v0, -v6
	v_cmp_nlt_f32_e32 vcc_lo, 0x42b17218, v2
	v_fmac_f32_e32 v7, 0x32a5705f, v0
	s_wait_alu 0xfffd
	v_cndmask_b32_e32 v2, 0x7f800000, v3, vcc_lo
	v_cmp_ngt_f32_e32 vcc_lo, 0xc2ce8ed0, v0
	s_delay_alu instid0(VALU_DEP_3) | instskip(NEXT) | instid1(VALU_DEP_1)
	v_add_f32_e32 v4, v4, v7
	v_exp_f32_e32 v4, v4
	s_delay_alu instid0(TRANS32_DEP_1) | instskip(SKIP_1) | instid1(VALU_DEP_1)
	v_ldexp_f32 v4, v4, v5
	s_wait_alu 0xfffd
	v_cndmask_b32_e32 v3, 0, v4, vcc_lo
	v_cmp_nlt_f32_e32 vcc_lo, 0x42b17218, v0
	v_cvt_f16_f32_e32 v4, v2
	s_wait_alu 0xfffd
	s_delay_alu instid0(VALU_DEP_3) | instskip(NEXT) | instid1(VALU_DEP_1)
	v_cndmask_b32_e32 v0, 0x7f800000, v3, vcc_lo
	v_dual_fmac_f32 v0, v82, v2 :: v_dual_and_b32 v3, 0xffff, v4
	s_delay_alu instid0(VALU_DEP_1) | instskip(NEXT) | instid1(VALU_DEP_2)
	v_mov_b32_e32 v82, v0
	v_mul_u32_u24_e32 v2, 0x10001, v3
	s_delay_alu instid0(VALU_DEP_1)
	v_pk_mul_f16 v93, v93, v2
	v_pk_mul_f16 v94, v94, v2
	;; [unrolled: 1-line block ×4, first 2 shown]
.LBB74_34:
	s_mov_b32 s2, exec_lo
	v_cmpx_gt_i32_e64 s22, v79
	s_cbranch_execz .LBB74_37
; %bb.35:
	v_div_scale_f32 v3, null, v82, v82, 1.0
	s_load_b32 s1, s[0:1], 0xd4
	v_mad_co_u64_u32 v[0:1], null, s28, s22, v[79:80]
	v_rcp_f32_e32 v5, v3
	v_div_scale_f32 v4, vcc_lo, 1.0, v82, 1.0
	v_cvt_f32_f16_e32 v7, v94
	v_lshrrev_b32_e32 v9, 16, v93
	v_lshrrev_b32_e32 v6, 16, v94
	v_mad_co_u64_u32 v[0:1], null, v0, s23, s[30:31]
	v_lshrrev_b32_e32 v10, 16, v92
	s_delay_alu instid0(VALU_DEP_4) | instskip(NEXT) | instid1(TRANS32_DEP_1)
	v_cvt_f32_f16_e32 v16, v9
	v_fma_f32 v2, -v3, v5, 1.0
	v_cvt_f32_f16_e32 v6, v6
	v_lshrrev_b32_e32 v11, 16, v95
	v_cvt_f32_f16_e32 v13, v93
	v_cvt_f32_f16_e32 v14, v92
	v_dual_fmac_f32 v5, v2, v5 :: v_dual_mov_b32 v2, 0
	s_wait_kmcnt 0x0
	v_mad_co_u64_u32 v[0:1], null, s1, v0, s[8:9]
	s_cmp_lg_u32 s1, 1
	v_mul_f32_e32 v8, v4, v5
	s_cselect_b32 s1, -1, 0
	v_cvt_f32_f16_e32 v15, v95
	v_cvt_f32_f16_e32 v17, v11
	v_cmp_eq_u32_e64 s0, 0, v80
	v_fma_f32 v1, -v3, v8, v4
	s_wait_alu 0xfffe
	s_and_b32 s0, s0, s1
	s_delay_alu instid0(VALU_DEP_1) | instskip(SKIP_1) | instid1(VALU_DEP_2)
	v_fmac_f32_e32 v8, v1, v5
	v_lshl_add_u32 v1, v0, 8, v88
	v_fma_f32 v9, -v3, v8, v4
	s_delay_alu instid0(VALU_DEP_2) | instskip(SKIP_1) | instid1(VALU_DEP_2)
	v_lshlrev_b64_e32 v[3:4], 2, v[1:2]
	s_wait_alu 0xfffd
	v_div_fmas_f32 v5, v9, v5, v8
	v_cvt_f32_f16_e32 v8, v10
	s_delay_alu instid0(VALU_DEP_3) | instskip(SKIP_3) | instid1(VALU_DEP_1)
	v_add_co_u32 v9, vcc_lo, s16, v3
	s_wait_alu 0xfffd
	v_add_co_ci_u32_e64 v10, null, s17, v4, vcc_lo
	v_div_fixup_f32 v5, v5, v82, 1.0
	v_cndmask_b32_e64 v5, v5, 1.0, s1
	s_delay_alu instid0(VALU_DEP_1) | instskip(NEXT) | instid1(VALU_DEP_1)
	v_dual_mul_f32 v4, v5, v6 :: v_dual_add_nc_u32 v1, 0x80, v1
	v_lshlrev_b64_e32 v[1:2], 2, v[1:2]
	v_mul_f32_e32 v3, v5, v7
	v_mul_f32_e32 v8, v5, v8
	;; [unrolled: 1-line block ×4, first 2 shown]
	v_add_co_u32 v11, vcc_lo, s16, v1
	s_wait_alu 0xfffd
	v_add_co_ci_u32_e64 v12, null, s17, v2, vcc_lo
	v_mul_f32_e32 v2, v5, v16
	v_mul_f32_e32 v1, v5, v13
	;; [unrolled: 1-line block ×3, first 2 shown]
	s_clause 0x1
	global_store_b128 v[9:10], v[1:4], off
	global_store_b128 v[11:12], v[5:8], off
	s_wait_alu 0xfffe
	s_and_b32 exec_lo, exec_lo, s0
	s_cbranch_execz .LBB74_37
; %bb.36:
	v_ashrrev_i32_e32 v1, 31, v0
	s_delay_alu instid0(VALU_DEP_1) | instskip(NEXT) | instid1(VALU_DEP_1)
	v_lshlrev_b64_e32 v[0:1], 3, v[0:1]
	v_add_co_u32 v0, vcc_lo, s18, v0
	s_wait_alu 0xfffd
	s_delay_alu instid0(VALU_DEP_2)
	v_add_co_ci_u32_e64 v1, null, s19, v1, vcc_lo
	global_store_b64 v[0:1], v[81:82], off
.LBB74_37:
	s_nop 0
	s_sendmsg sendmsg(MSG_DEALLOC_VGPRS)
	s_endpgm
	.section	.rodata,"a",@progbits
	.p2align	6, 0x0
	.amdhsa_kernel _ZL15flash_attn_tileILi256ELi256ELi2ELi1ELb1EEvPKcS1_S1_S1_S1_PKiPfP15HIP_vector_typeIfLj2EEffffjfiS5_IjLj3EEiiiiiiiiiiiliiliiiiil
		.amdhsa_group_segment_fixed_size 5760
		.amdhsa_private_segment_fixed_size 32
		.amdhsa_kernarg_size 464
		.amdhsa_user_sgpr_count 2
		.amdhsa_user_sgpr_dispatch_ptr 0
		.amdhsa_user_sgpr_queue_ptr 0
		.amdhsa_user_sgpr_kernarg_segment_ptr 1
		.amdhsa_user_sgpr_dispatch_id 0
		.amdhsa_user_sgpr_private_segment_size 0
		.amdhsa_wavefront_size32 1
		.amdhsa_uses_dynamic_stack 0
		.amdhsa_enable_private_segment 1
		.amdhsa_system_sgpr_workgroup_id_x 1
		.amdhsa_system_sgpr_workgroup_id_y 1
		.amdhsa_system_sgpr_workgroup_id_z 1
		.amdhsa_system_sgpr_workgroup_info 0
		.amdhsa_system_vgpr_workitem_id 1
		.amdhsa_next_free_vgpr 182
		.amdhsa_next_free_sgpr 48
		.amdhsa_reserve_vcc 1
		.amdhsa_float_round_mode_32 0
		.amdhsa_float_round_mode_16_64 0
		.amdhsa_float_denorm_mode_32 3
		.amdhsa_float_denorm_mode_16_64 3
		.amdhsa_fp16_overflow 0
		.amdhsa_workgroup_processor_mode 1
		.amdhsa_memory_ordered 1
		.amdhsa_forward_progress 1
		.amdhsa_inst_pref_size 137
		.amdhsa_round_robin_scheduling 0
		.amdhsa_exception_fp_ieee_invalid_op 0
		.amdhsa_exception_fp_denorm_src 0
		.amdhsa_exception_fp_ieee_div_zero 0
		.amdhsa_exception_fp_ieee_overflow 0
		.amdhsa_exception_fp_ieee_underflow 0
		.amdhsa_exception_fp_ieee_inexact 0
		.amdhsa_exception_int_div_zero 0
	.end_amdhsa_kernel
	.section	.text._ZL15flash_attn_tileILi256ELi256ELi2ELi1ELb1EEvPKcS1_S1_S1_S1_PKiPfP15HIP_vector_typeIfLj2EEffffjfiS5_IjLj3EEiiiiiiiiiiiliiliiiiil,"axG",@progbits,_ZL15flash_attn_tileILi256ELi256ELi2ELi1ELb1EEvPKcS1_S1_S1_S1_PKiPfP15HIP_vector_typeIfLj2EEffffjfiS5_IjLj3EEiiiiiiiiiiiliiliiiiil,comdat
.Lfunc_end74:
	.size	_ZL15flash_attn_tileILi256ELi256ELi2ELi1ELb1EEvPKcS1_S1_S1_S1_PKiPfP15HIP_vector_typeIfLj2EEffffjfiS5_IjLj3EEiiiiiiiiiiiliiliiiiil, .Lfunc_end74-_ZL15flash_attn_tileILi256ELi256ELi2ELi1ELb1EEvPKcS1_S1_S1_S1_PKiPfP15HIP_vector_typeIfLj2EEffffjfiS5_IjLj3EEiiiiiiiiiiiliiliiiiil
                                        ; -- End function
	.set _ZL15flash_attn_tileILi256ELi256ELi2ELi1ELb1EEvPKcS1_S1_S1_S1_PKiPfP15HIP_vector_typeIfLj2EEffffjfiS5_IjLj3EEiiiiiiiiiiiliiliiiiil.num_vgpr, 182
	.set _ZL15flash_attn_tileILi256ELi256ELi2ELi1ELb1EEvPKcS1_S1_S1_S1_PKiPfP15HIP_vector_typeIfLj2EEffffjfiS5_IjLj3EEiiiiiiiiiiiliiliiiiil.num_agpr, 0
	.set _ZL15flash_attn_tileILi256ELi256ELi2ELi1ELb1EEvPKcS1_S1_S1_S1_PKiPfP15HIP_vector_typeIfLj2EEffffjfiS5_IjLj3EEiiiiiiiiiiiliiliiiiil.numbered_sgpr, 48
	.set _ZL15flash_attn_tileILi256ELi256ELi2ELi1ELb1EEvPKcS1_S1_S1_S1_PKiPfP15HIP_vector_typeIfLj2EEffffjfiS5_IjLj3EEiiiiiiiiiiiliiliiiiil.num_named_barrier, 0
	.set _ZL15flash_attn_tileILi256ELi256ELi2ELi1ELb1EEvPKcS1_S1_S1_S1_PKiPfP15HIP_vector_typeIfLj2EEffffjfiS5_IjLj3EEiiiiiiiiiiiliiliiiiil.private_seg_size, 32
	.set _ZL15flash_attn_tileILi256ELi256ELi2ELi1ELb1EEvPKcS1_S1_S1_S1_PKiPfP15HIP_vector_typeIfLj2EEffffjfiS5_IjLj3EEiiiiiiiiiiiliiliiiiil.uses_vcc, 1
	.set _ZL15flash_attn_tileILi256ELi256ELi2ELi1ELb1EEvPKcS1_S1_S1_S1_PKiPfP15HIP_vector_typeIfLj2EEffffjfiS5_IjLj3EEiiiiiiiiiiiliiliiiiil.uses_flat_scratch, 1
	.set _ZL15flash_attn_tileILi256ELi256ELi2ELi1ELb1EEvPKcS1_S1_S1_S1_PKiPfP15HIP_vector_typeIfLj2EEffffjfiS5_IjLj3EEiiiiiiiiiiiliiliiiiil.has_dyn_sized_stack, 0
	.set _ZL15flash_attn_tileILi256ELi256ELi2ELi1ELb1EEvPKcS1_S1_S1_S1_PKiPfP15HIP_vector_typeIfLj2EEffffjfiS5_IjLj3EEiiiiiiiiiiiliiliiiiil.has_recursion, 0
	.set _ZL15flash_attn_tileILi256ELi256ELi2ELi1ELb1EEvPKcS1_S1_S1_S1_PKiPfP15HIP_vector_typeIfLj2EEffffjfiS5_IjLj3EEiiiiiiiiiiiliiliiiiil.has_indirect_call, 0
	.section	.AMDGPU.csdata,"",@progbits
; Kernel info:
; codeLenInByte = 17420
; TotalNumSgprs: 50
; NumVgprs: 182
; ScratchSize: 32
; MemoryBound: 0
; FloatMode: 240
; IeeeMode: 1
; LDSByteSize: 5760 bytes/workgroup (compile time only)
; SGPRBlocks: 0
; VGPRBlocks: 22
; NumSGPRsForWavesPerEU: 50
; NumVGPRsForWavesPerEU: 182
; Occupancy: 8
; WaveLimiterHint : 1
; COMPUTE_PGM_RSRC2:SCRATCH_EN: 1
; COMPUTE_PGM_RSRC2:USER_SGPR: 2
; COMPUTE_PGM_RSRC2:TRAP_HANDLER: 0
; COMPUTE_PGM_RSRC2:TGID_X_EN: 1
; COMPUTE_PGM_RSRC2:TGID_Y_EN: 1
; COMPUTE_PGM_RSRC2:TGID_Z_EN: 1
; COMPUTE_PGM_RSRC2:TIDIG_COMP_CNT: 1
	.section	.AMDGPU.gpr_maximums,"",@progbits
	.set amdgpu.max_num_vgpr, 0
	.set amdgpu.max_num_agpr, 0
	.set amdgpu.max_num_sgpr, 0
	.section	.AMDGPU.csdata,"",@progbits
	.type	__hip_cuid_1cfa38db81798507,@object ; @__hip_cuid_1cfa38db81798507
	.section	.bss,"aw",@nobits
	.globl	__hip_cuid_1cfa38db81798507
__hip_cuid_1cfa38db81798507:
	.byte	0                               ; 0x0
	.size	__hip_cuid_1cfa38db81798507, 1

	.ident	"AMD clang version 22.0.0git (https://github.com/RadeonOpenCompute/llvm-project roc-7.2.4 26084 f58b06dce1f9c15707c5f808fd002e18c2accf7e)"
	.section	".note.GNU-stack","",@progbits
	.addrsig
	.addrsig_sym __hip_cuid_1cfa38db81798507
	.amdgpu_metadata
---
amdhsa.kernels:
  - .args:
      - .address_space:  global
        .offset:         0
        .size:           8
        .value_kind:     global_buffer
      - .address_space:  global
        .offset:         8
        .size:           8
        .value_kind:     global_buffer
      - .address_space:  global
        .offset:         16
        .size:           8
        .value_kind:     global_buffer
      - .address_space:  global
        .offset:         24
        .size:           8
        .value_kind:     global_buffer
      - .address_space:  global
        .offset:         32
        .size:           8
        .value_kind:     global_buffer
      - .address_space:  global
        .offset:         40
        .size:           8
        .value_kind:     global_buffer
      - .address_space:  global
        .offset:         48
        .size:           8
        .value_kind:     global_buffer
      - .address_space:  global
        .offset:         56
        .size:           8
        .value_kind:     global_buffer
      - .offset:         64
        .size:           4
        .value_kind:     by_value
      - .offset:         68
        .size:           4
        .value_kind:     by_value
      - .offset:         72
        .size:           4
        .value_kind:     by_value
      - .offset:         76
        .size:           4
        .value_kind:     by_value
      - .offset:         80
        .size:           4
        .value_kind:     by_value
      - .offset:         84
        .size:           4
        .value_kind:     by_value
      - .offset:         88
        .size:           4
        .value_kind:     by_value
      - .offset:         92
        .size:           12
        .value_kind:     by_value
      - .offset:         104
        .size:           4
        .value_kind:     by_value
      - .offset:         108
        .size:           4
        .value_kind:     by_value
      - .offset:         112
        .size:           4
        .value_kind:     by_value
      - .offset:         116
        .size:           4
        .value_kind:     by_value
      - .offset:         120
        .size:           4
        .value_kind:     by_value
      - .offset:         124
        .size:           4
        .value_kind:     by_value
      - .offset:         128
        .size:           4
        .value_kind:     by_value
      - .offset:         132
        .size:           4
        .value_kind:     by_value
      - .offset:         136
        .size:           4
        .value_kind:     by_value
      - .offset:         140
        .size:           4
        .value_kind:     by_value
      - .offset:         144
        .size:           4
        .value_kind:     by_value
      - .offset:         152
        .size:           8
        .value_kind:     by_value
      - .offset:         160
        .size:           4
        .value_kind:     by_value
      - .offset:         164
        .size:           4
        .value_kind:     by_value
      - .offset:         168
        .size:           8
        .value_kind:     by_value
      - .offset:         176
        .size:           4
        .value_kind:     by_value
      - .offset:         180
        .size:           4
        .value_kind:     by_value
      - .offset:         184
        .size:           4
        .value_kind:     by_value
      - .offset:         188
        .size:           4
        .value_kind:     by_value
      - .offset:         192
        .size:           4
        .value_kind:     by_value
      - .offset:         200
        .size:           8
        .value_kind:     by_value
      - .offset:         208
        .size:           4
        .value_kind:     hidden_block_count_x
      - .offset:         212
        .size:           4
        .value_kind:     hidden_block_count_y
      - .offset:         216
        .size:           4
        .value_kind:     hidden_block_count_z
      - .offset:         220
        .size:           2
        .value_kind:     hidden_group_size_x
      - .offset:         222
        .size:           2
        .value_kind:     hidden_group_size_y
      - .offset:         224
        .size:           2
        .value_kind:     hidden_group_size_z
      - .offset:         226
        .size:           2
        .value_kind:     hidden_remainder_x
      - .offset:         228
        .size:           2
        .value_kind:     hidden_remainder_y
      - .offset:         230
        .size:           2
        .value_kind:     hidden_remainder_z
      - .offset:         248
        .size:           8
        .value_kind:     hidden_global_offset_x
      - .offset:         256
        .size:           8
        .value_kind:     hidden_global_offset_y
      - .offset:         264
        .size:           8
        .value_kind:     hidden_global_offset_z
      - .offset:         272
        .size:           2
        .value_kind:     hidden_grid_dims
    .group_segment_fixed_size: 37888
    .kernarg_segment_align: 8
    .kernarg_segment_size: 464
    .language:       OpenCL C
    .language_version:
      - 2
      - 0
    .max_flat_workgroup_size: 256
    .name:           _ZL15flash_attn_tileILi256ELi256ELi4ELi8ELb0EEvPKcS1_S1_S1_S1_PKiPfP15HIP_vector_typeIfLj2EEffffjfiS5_IjLj3EEiiiiiiiiiiiliiliiiiil
    .private_segment_fixed_size: 0
    .sgpr_count:     58
    .sgpr_spill_count: 0
    .symbol:         _ZL15flash_attn_tileILi256ELi256ELi4ELi8ELb0EEvPKcS1_S1_S1_S1_PKiPfP15HIP_vector_typeIfLj2EEffffjfiS5_IjLj3EEiiiiiiiiiiiliiliiiiil.kd
    .uniform_work_group_size: 1
    .uses_dynamic_stack: false
    .vgpr_count:     238
    .vgpr_spill_count: 0
    .wavefront_size: 32
    .workgroup_processor_mode: 1
  - .args:
      - .actual_access:  read_only
        .address_space:  global
        .offset:         0
        .size:           8
        .value_kind:     global_buffer
      - .actual_access:  write_only
        .address_space:  global
        .offset:         8
        .size:           8
        .value_kind:     global_buffer
      - .offset:         16
        .size:           4
        .value_kind:     by_value
      - .offset:         20
        .size:           4
        .value_kind:     by_value
      - .offset:         24
        .size:           4
        .value_kind:     by_value
      - .offset:         32
        .size:           4
        .value_kind:     hidden_block_count_x
      - .offset:         36
        .size:           4
        .value_kind:     hidden_block_count_y
      - .offset:         40
        .size:           4
        .value_kind:     hidden_block_count_z
      - .offset:         44
        .size:           2
        .value_kind:     hidden_group_size_x
      - .offset:         46
        .size:           2
        .value_kind:     hidden_group_size_y
      - .offset:         48
        .size:           2
        .value_kind:     hidden_group_size_z
      - .offset:         50
        .size:           2
        .value_kind:     hidden_remainder_x
      - .offset:         52
        .size:           2
        .value_kind:     hidden_remainder_y
      - .offset:         54
        .size:           2
        .value_kind:     hidden_remainder_z
      - .offset:         72
        .size:           8
        .value_kind:     hidden_global_offset_x
      - .offset:         80
        .size:           8
        .value_kind:     hidden_global_offset_y
      - .offset:         88
        .size:           8
        .value_kind:     hidden_global_offset_z
      - .offset:         96
        .size:           2
        .value_kind:     hidden_grid_dims
    .group_segment_fixed_size: 128
    .kernarg_segment_align: 8
    .kernarg_segment_size: 288
    .language:       OpenCL C
    .language_version:
      - 2
      - 0
    .max_flat_workgroup_size: 128
    .name:           _ZL25flash_attn_mask_to_KV_maxILi4EEvPK7__half2Piiii
    .private_segment_fixed_size: 0
    .sgpr_count:     19
    .sgpr_spill_count: 0
    .symbol:         _ZL25flash_attn_mask_to_KV_maxILi4EEvPK7__half2Piiii.kd
    .uniform_work_group_size: 1
    .uses_dynamic_stack: false
    .vgpr_count:     9
    .vgpr_spill_count: 0
    .wavefront_size: 32
    .workgroup_processor_mode: 1
  - .args:
      - .address_space:  global
        .offset:         0
        .size:           8
        .value_kind:     global_buffer
      - .address_space:  global
        .offset:         8
        .size:           8
        .value_kind:     global_buffer
      - .offset:         16
        .size:           4
        .value_kind:     by_value
      - .offset:         20
        .size:           4
        .value_kind:     by_value
      - .offset:         24
        .size:           4
        .value_kind:     by_value
      - .offset:         28
        .size:           4
        .value_kind:     by_value
      - .offset:         32
        .size:           4
        .value_kind:     by_value
      - .offset:         36
        .size:           4
        .value_kind:     by_value
      - .offset:         40
        .size:           12
        .value_kind:     by_value
      - .offset:         52
        .size:           12
        .value_kind:     by_value
      - .offset:         64
        .size:           12
        .value_kind:     by_value
    .group_segment_fixed_size: 0
    .kernarg_segment_align: 8
    .kernarg_segment_size: 76
    .language:       OpenCL C
    .language_version:
      - 2
      - 0
    .max_flat_workgroup_size: 256
    .name:           _ZL33flash_attn_stream_k_fixup_uniformILi256ELi4ELi8EEvPfPK15HIP_vector_typeIfLj2EEiiiiiiS1_IjLj3EES5_S5_
    .private_segment_fixed_size: 0
    .sgpr_count:     18
    .sgpr_spill_count: 0
    .symbol:         _ZL33flash_attn_stream_k_fixup_uniformILi256ELi4ELi8EEvPfPK15HIP_vector_typeIfLj2EEiiiiiiS1_IjLj3EES5_S5_.kd
    .uniform_work_group_size: 1
    .uses_dynamic_stack: false
    .vgpr_count:     11
    .vgpr_spill_count: 0
    .wavefront_size: 32
    .workgroup_processor_mode: 1
  - .args:
      - .address_space:  global
        .offset:         0
        .size:           8
        .value_kind:     global_buffer
      - .address_space:  global
        .offset:         8
        .size:           8
        .value_kind:     global_buffer
      - .offset:         16
        .size:           4
        .value_kind:     by_value
      - .offset:         20
        .size:           4
        .value_kind:     by_value
      - .offset:         24
        .size:           4
        .value_kind:     by_value
      - .offset:         28
        .size:           4
        .value_kind:     by_value
      - .offset:         32
        .size:           12
        .value_kind:     by_value
      - .offset:         44
        .size:           12
        .value_kind:     by_value
      - .offset:         56
        .size:           12
        .value_kind:     by_value
      - .offset:         68
        .size:           12
        .value_kind:     by_value
      - .offset:         80
        .size:           4
        .value_kind:     hidden_block_count_x
      - .offset:         84
        .size:           4
        .value_kind:     hidden_block_count_y
      - .offset:         88
        .size:           4
        .value_kind:     hidden_block_count_z
      - .offset:         92
        .size:           2
        .value_kind:     hidden_group_size_x
      - .offset:         94
        .size:           2
        .value_kind:     hidden_group_size_y
      - .offset:         96
        .size:           2
        .value_kind:     hidden_group_size_z
      - .offset:         98
        .size:           2
        .value_kind:     hidden_remainder_x
      - .offset:         100
        .size:           2
        .value_kind:     hidden_remainder_y
      - .offset:         102
        .size:           2
        .value_kind:     hidden_remainder_z
      - .offset:         120
        .size:           8
        .value_kind:     hidden_global_offset_x
      - .offset:         128
        .size:           8
        .value_kind:     hidden_global_offset_y
      - .offset:         136
        .size:           8
        .value_kind:     hidden_global_offset_z
      - .offset:         144
        .size:           2
        .value_kind:     hidden_grid_dims
    .group_segment_fixed_size: 0
    .kernarg_segment_align: 8
    .kernarg_segment_size: 336
    .language:       OpenCL C
    .language_version:
      - 2
      - 0
    .max_flat_workgroup_size: 256
    .name:           _ZL33flash_attn_stream_k_fixup_generalILi256ELi4ELi8EEvPfPK15HIP_vector_typeIfLj2EEiiiiS1_IjLj3EES5_S5_S5_
    .private_segment_fixed_size: 0
    .sgpr_count:     46
    .sgpr_spill_count: 0
    .symbol:         _ZL33flash_attn_stream_k_fixup_generalILi256ELi4ELi8EEvPfPK15HIP_vector_typeIfLj2EEiiiiS1_IjLj3EES5_S5_S5_.kd
    .uniform_work_group_size: 1
    .uses_dynamic_stack: false
    .vgpr_count:     9
    .vgpr_spill_count: 0
    .wavefront_size: 32
    .workgroup_processor_mode: 1
  - .args:
      - .address_space:  global
        .offset:         0
        .size:           8
        .value_kind:     global_buffer
      - .address_space:  global
        .offset:         8
        .size:           8
        .value_kind:     global_buffer
      - .address_space:  global
        .offset:         16
        .size:           8
        .value_kind:     global_buffer
      - .offset:         24
        .size:           4
        .value_kind:     by_value
      - .offset:         32
        .size:           4
        .value_kind:     hidden_block_count_x
      - .offset:         36
        .size:           4
        .value_kind:     hidden_block_count_y
      - .offset:         40
        .size:           4
        .value_kind:     hidden_block_count_z
      - .offset:         44
        .size:           2
        .value_kind:     hidden_group_size_x
      - .offset:         46
        .size:           2
        .value_kind:     hidden_group_size_y
      - .offset:         48
        .size:           2
        .value_kind:     hidden_group_size_z
      - .offset:         50
        .size:           2
        .value_kind:     hidden_remainder_x
      - .offset:         52
        .size:           2
        .value_kind:     hidden_remainder_y
      - .offset:         54
        .size:           2
        .value_kind:     hidden_remainder_z
      - .offset:         72
        .size:           8
        .value_kind:     hidden_global_offset_x
      - .offset:         80
        .size:           8
        .value_kind:     hidden_global_offset_y
      - .offset:         88
        .size:           8
        .value_kind:     hidden_global_offset_z
      - .offset:         96
        .size:           2
        .value_kind:     hidden_grid_dims
      - .offset:         152
        .size:           4
        .value_kind:     hidden_dynamic_lds_size
    .group_segment_fixed_size: 0
    .kernarg_segment_align: 8
    .kernarg_segment_size: 288
    .language:       OpenCL C
    .language_version:
      - 2
      - 0
    .max_flat_workgroup_size: 256
    .name:           _ZL26flash_attn_combine_resultsILi256EEvPKfPK15HIP_vector_typeIfLj2EEPfi
    .private_segment_fixed_size: 0
    .sgpr_count:     18
    .sgpr_spill_count: 0
    .symbol:         _ZL26flash_attn_combine_resultsILi256EEvPKfPK15HIP_vector_typeIfLj2EEPfi.kd
    .uniform_work_group_size: 1
    .uses_dynamic_stack: false
    .vgpr_count:     55
    .vgpr_spill_count: 0
    .wavefront_size: 32
    .workgroup_processor_mode: 1
  - .args:
      - .address_space:  global
        .offset:         0
        .size:           8
        .value_kind:     global_buffer
      - .address_space:  global
        .offset:         8
        .size:           8
        .value_kind:     global_buffer
      - .address_space:  global
        .offset:         16
        .size:           8
        .value_kind:     global_buffer
      - .address_space:  global
        .offset:         24
        .size:           8
        .value_kind:     global_buffer
      - .address_space:  global
        .offset:         32
        .size:           8
        .value_kind:     global_buffer
      - .address_space:  global
        .offset:         40
        .size:           8
        .value_kind:     global_buffer
      - .address_space:  global
        .offset:         48
        .size:           8
        .value_kind:     global_buffer
      - .address_space:  global
        .offset:         56
        .size:           8
        .value_kind:     global_buffer
      - .offset:         64
        .size:           4
        .value_kind:     by_value
      - .offset:         68
        .size:           4
        .value_kind:     by_value
      - .offset:         72
        .size:           4
        .value_kind:     by_value
      - .offset:         76
        .size:           4
        .value_kind:     by_value
      - .offset:         80
        .size:           4
        .value_kind:     by_value
      - .offset:         84
        .size:           4
        .value_kind:     by_value
      - .offset:         88
        .size:           4
        .value_kind:     by_value
      - .offset:         92
        .size:           12
        .value_kind:     by_value
      - .offset:         104
        .size:           4
        .value_kind:     by_value
      - .offset:         108
        .size:           4
        .value_kind:     by_value
      - .offset:         112
        .size:           4
        .value_kind:     by_value
      - .offset:         116
        .size:           4
        .value_kind:     by_value
      - .offset:         120
        .size:           4
        .value_kind:     by_value
      - .offset:         124
        .size:           4
        .value_kind:     by_value
      - .offset:         128
        .size:           4
        .value_kind:     by_value
      - .offset:         132
        .size:           4
        .value_kind:     by_value
      - .offset:         136
        .size:           4
        .value_kind:     by_value
      - .offset:         140
        .size:           4
        .value_kind:     by_value
      - .offset:         144
        .size:           4
        .value_kind:     by_value
      - .offset:         152
        .size:           8
        .value_kind:     by_value
      - .offset:         160
        .size:           4
        .value_kind:     by_value
      - .offset:         164
        .size:           4
        .value_kind:     by_value
      - .offset:         168
        .size:           8
        .value_kind:     by_value
      - .offset:         176
        .size:           4
        .value_kind:     by_value
      - .offset:         180
        .size:           4
        .value_kind:     by_value
      - .offset:         184
        .size:           4
        .value_kind:     by_value
      - .offset:         188
        .size:           4
        .value_kind:     by_value
      - .offset:         192
        .size:           4
        .value_kind:     by_value
      - .offset:         200
        .size:           8
        .value_kind:     by_value
      - .offset:         208
        .size:           4
        .value_kind:     hidden_block_count_x
      - .offset:         212
        .size:           4
        .value_kind:     hidden_block_count_y
      - .offset:         216
        .size:           4
        .value_kind:     hidden_block_count_z
      - .offset:         220
        .size:           2
        .value_kind:     hidden_group_size_x
      - .offset:         222
        .size:           2
        .value_kind:     hidden_group_size_y
      - .offset:         224
        .size:           2
        .value_kind:     hidden_group_size_z
      - .offset:         226
        .size:           2
        .value_kind:     hidden_remainder_x
      - .offset:         228
        .size:           2
        .value_kind:     hidden_remainder_y
      - .offset:         230
        .size:           2
        .value_kind:     hidden_remainder_z
      - .offset:         248
        .size:           8
        .value_kind:     hidden_global_offset_x
      - .offset:         256
        .size:           8
        .value_kind:     hidden_global_offset_y
      - .offset:         264
        .size:           8
        .value_kind:     hidden_global_offset_z
      - .offset:         272
        .size:           2
        .value_kind:     hidden_grid_dims
    .group_segment_fixed_size: 26112
    .kernarg_segment_align: 8
    .kernarg_segment_size: 464
    .language:       OpenCL C
    .language_version:
      - 2
      - 0
    .max_flat_workgroup_size: 256
    .name:           _ZL15flash_attn_tileILi256ELi256ELi2ELi8ELb0EEvPKcS1_S1_S1_S1_PKiPfP15HIP_vector_typeIfLj2EEffffjfiS5_IjLj3EEiiiiiiiiiiiliiliiiiil
    .private_segment_fixed_size: 0
    .sgpr_count:     44
    .sgpr_spill_count: 0
    .symbol:         _ZL15flash_attn_tileILi256ELi256ELi2ELi8ELb0EEvPKcS1_S1_S1_S1_PKiPfP15HIP_vector_typeIfLj2EEffffjfiS5_IjLj3EEiiiiiiiiiiiliiliiiiil.kd
    .uniform_work_group_size: 1
    .uses_dynamic_stack: false
    .vgpr_count:     139
    .vgpr_spill_count: 0
    .wavefront_size: 32
    .workgroup_processor_mode: 1
  - .args:
      - .actual_access:  read_only
        .address_space:  global
        .offset:         0
        .size:           8
        .value_kind:     global_buffer
      - .actual_access:  write_only
        .address_space:  global
        .offset:         8
        .size:           8
        .value_kind:     global_buffer
      - .offset:         16
        .size:           4
        .value_kind:     by_value
      - .offset:         20
        .size:           4
        .value_kind:     by_value
      - .offset:         24
        .size:           4
        .value_kind:     by_value
      - .offset:         32
        .size:           4
        .value_kind:     hidden_block_count_x
      - .offset:         36
        .size:           4
        .value_kind:     hidden_block_count_y
      - .offset:         40
        .size:           4
        .value_kind:     hidden_block_count_z
      - .offset:         44
        .size:           2
        .value_kind:     hidden_group_size_x
      - .offset:         46
        .size:           2
        .value_kind:     hidden_group_size_y
      - .offset:         48
        .size:           2
        .value_kind:     hidden_group_size_z
      - .offset:         50
        .size:           2
        .value_kind:     hidden_remainder_x
      - .offset:         52
        .size:           2
        .value_kind:     hidden_remainder_y
      - .offset:         54
        .size:           2
        .value_kind:     hidden_remainder_z
      - .offset:         72
        .size:           8
        .value_kind:     hidden_global_offset_x
      - .offset:         80
        .size:           8
        .value_kind:     hidden_global_offset_y
      - .offset:         88
        .size:           8
        .value_kind:     hidden_global_offset_z
      - .offset:         96
        .size:           2
        .value_kind:     hidden_grid_dims
    .group_segment_fixed_size: 128
    .kernarg_segment_align: 8
    .kernarg_segment_size: 288
    .language:       OpenCL C
    .language_version:
      - 2
      - 0
    .max_flat_workgroup_size: 128
    .name:           _ZL25flash_attn_mask_to_KV_maxILi2EEvPK7__half2Piiii
    .private_segment_fixed_size: 0
    .sgpr_count:     15
    .sgpr_spill_count: 0
    .symbol:         _ZL25flash_attn_mask_to_KV_maxILi2EEvPK7__half2Piiii.kd
    .uniform_work_group_size: 1
    .uses_dynamic_stack: false
    .vgpr_count:     7
    .vgpr_spill_count: 0
    .wavefront_size: 32
    .workgroup_processor_mode: 1
  - .args:
      - .address_space:  global
        .offset:         0
        .size:           8
        .value_kind:     global_buffer
      - .address_space:  global
        .offset:         8
        .size:           8
        .value_kind:     global_buffer
      - .offset:         16
        .size:           4
        .value_kind:     by_value
      - .offset:         20
        .size:           4
        .value_kind:     by_value
      - .offset:         24
        .size:           4
        .value_kind:     by_value
      - .offset:         28
        .size:           4
        .value_kind:     by_value
      - .offset:         32
        .size:           4
        .value_kind:     by_value
      - .offset:         36
        .size:           4
        .value_kind:     by_value
      - .offset:         40
        .size:           12
        .value_kind:     by_value
      - .offset:         52
        .size:           12
        .value_kind:     by_value
      - .offset:         64
        .size:           12
        .value_kind:     by_value
    .group_segment_fixed_size: 0
    .kernarg_segment_align: 8
    .kernarg_segment_size: 76
    .language:       OpenCL C
    .language_version:
      - 2
      - 0
    .max_flat_workgroup_size: 256
    .name:           _ZL33flash_attn_stream_k_fixup_uniformILi256ELi2ELi8EEvPfPK15HIP_vector_typeIfLj2EEiiiiiiS1_IjLj3EES5_S5_
    .private_segment_fixed_size: 0
    .sgpr_count:     18
    .sgpr_spill_count: 0
    .symbol:         _ZL33flash_attn_stream_k_fixup_uniformILi256ELi2ELi8EEvPfPK15HIP_vector_typeIfLj2EEiiiiiiS1_IjLj3EES5_S5_.kd
    .uniform_work_group_size: 1
    .uses_dynamic_stack: false
    .vgpr_count:     11
    .vgpr_spill_count: 0
    .wavefront_size: 32
    .workgroup_processor_mode: 1
  - .args:
      - .address_space:  global
        .offset:         0
        .size:           8
        .value_kind:     global_buffer
      - .address_space:  global
        .offset:         8
        .size:           8
        .value_kind:     global_buffer
      - .offset:         16
        .size:           4
        .value_kind:     by_value
      - .offset:         20
        .size:           4
        .value_kind:     by_value
      - .offset:         24
        .size:           4
        .value_kind:     by_value
      - .offset:         28
        .size:           4
        .value_kind:     by_value
      - .offset:         32
        .size:           12
        .value_kind:     by_value
      - .offset:         44
        .size:           12
        .value_kind:     by_value
      - .offset:         56
        .size:           12
        .value_kind:     by_value
      - .offset:         68
        .size:           12
        .value_kind:     by_value
      - .offset:         80
        .size:           4
        .value_kind:     hidden_block_count_x
      - .offset:         84
        .size:           4
        .value_kind:     hidden_block_count_y
      - .offset:         88
        .size:           4
        .value_kind:     hidden_block_count_z
      - .offset:         92
        .size:           2
        .value_kind:     hidden_group_size_x
      - .offset:         94
        .size:           2
        .value_kind:     hidden_group_size_y
      - .offset:         96
        .size:           2
        .value_kind:     hidden_group_size_z
      - .offset:         98
        .size:           2
        .value_kind:     hidden_remainder_x
      - .offset:         100
        .size:           2
        .value_kind:     hidden_remainder_y
      - .offset:         102
        .size:           2
        .value_kind:     hidden_remainder_z
      - .offset:         120
        .size:           8
        .value_kind:     hidden_global_offset_x
      - .offset:         128
        .size:           8
        .value_kind:     hidden_global_offset_y
      - .offset:         136
        .size:           8
        .value_kind:     hidden_global_offset_z
      - .offset:         144
        .size:           2
        .value_kind:     hidden_grid_dims
    .group_segment_fixed_size: 0
    .kernarg_segment_align: 8
    .kernarg_segment_size: 336
    .language:       OpenCL C
    .language_version:
      - 2
      - 0
    .max_flat_workgroup_size: 256
    .name:           _ZL33flash_attn_stream_k_fixup_generalILi256ELi2ELi8EEvPfPK15HIP_vector_typeIfLj2EEiiiiS1_IjLj3EES5_S5_S5_
    .private_segment_fixed_size: 0
    .sgpr_count:     46
    .sgpr_spill_count: 0
    .symbol:         _ZL33flash_attn_stream_k_fixup_generalILi256ELi2ELi8EEvPfPK15HIP_vector_typeIfLj2EEiiiiS1_IjLj3EES5_S5_S5_.kd
    .uniform_work_group_size: 1
    .uses_dynamic_stack: false
    .vgpr_count:     9
    .vgpr_spill_count: 0
    .wavefront_size: 32
    .workgroup_processor_mode: 1
  - .args:
      - .address_space:  global
        .offset:         0
        .size:           8
        .value_kind:     global_buffer
      - .address_space:  global
        .offset:         8
        .size:           8
        .value_kind:     global_buffer
      - .address_space:  global
        .offset:         16
        .size:           8
        .value_kind:     global_buffer
      - .address_space:  global
        .offset:         24
        .size:           8
        .value_kind:     global_buffer
      - .address_space:  global
        .offset:         32
        .size:           8
        .value_kind:     global_buffer
      - .address_space:  global
        .offset:         40
        .size:           8
        .value_kind:     global_buffer
      - .address_space:  global
        .offset:         48
        .size:           8
        .value_kind:     global_buffer
      - .address_space:  global
        .offset:         56
        .size:           8
        .value_kind:     global_buffer
      - .offset:         64
        .size:           4
        .value_kind:     by_value
      - .offset:         68
        .size:           4
        .value_kind:     by_value
      - .offset:         72
        .size:           4
        .value_kind:     by_value
      - .offset:         76
        .size:           4
        .value_kind:     by_value
      - .offset:         80
        .size:           4
        .value_kind:     by_value
      - .offset:         84
        .size:           4
        .value_kind:     by_value
      - .offset:         88
        .size:           4
        .value_kind:     by_value
      - .offset:         92
        .size:           12
        .value_kind:     by_value
      - .offset:         104
        .size:           4
        .value_kind:     by_value
      - .offset:         108
        .size:           4
        .value_kind:     by_value
      - .offset:         112
        .size:           4
        .value_kind:     by_value
      - .offset:         116
        .size:           4
        .value_kind:     by_value
      - .offset:         120
        .size:           4
        .value_kind:     by_value
      - .offset:         124
        .size:           4
        .value_kind:     by_value
      - .offset:         128
        .size:           4
        .value_kind:     by_value
      - .offset:         132
        .size:           4
        .value_kind:     by_value
      - .offset:         136
        .size:           4
        .value_kind:     by_value
      - .offset:         140
        .size:           4
        .value_kind:     by_value
      - .offset:         144
        .size:           4
        .value_kind:     by_value
      - .offset:         152
        .size:           8
        .value_kind:     by_value
      - .offset:         160
        .size:           4
        .value_kind:     by_value
      - .offset:         164
        .size:           4
        .value_kind:     by_value
      - .offset:         168
        .size:           8
        .value_kind:     by_value
      - .offset:         176
        .size:           4
        .value_kind:     by_value
      - .offset:         180
        .size:           4
        .value_kind:     by_value
      - .offset:         184
        .size:           4
        .value_kind:     by_value
      - .offset:         188
        .size:           4
        .value_kind:     by_value
      - .offset:         192
        .size:           4
        .value_kind:     by_value
      - .offset:         200
        .size:           8
        .value_kind:     by_value
      - .offset:         208
        .size:           4
        .value_kind:     hidden_block_count_x
      - .offset:         212
        .size:           4
        .value_kind:     hidden_block_count_y
      - .offset:         216
        .size:           4
        .value_kind:     hidden_block_count_z
      - .offset:         220
        .size:           2
        .value_kind:     hidden_group_size_x
      - .offset:         222
        .size:           2
        .value_kind:     hidden_group_size_y
      - .offset:         224
        .size:           2
        .value_kind:     hidden_group_size_z
      - .offset:         226
        .size:           2
        .value_kind:     hidden_remainder_x
      - .offset:         228
        .size:           2
        .value_kind:     hidden_remainder_y
      - .offset:         230
        .size:           2
        .value_kind:     hidden_remainder_z
      - .offset:         248
        .size:           8
        .value_kind:     hidden_global_offset_x
      - .offset:         256
        .size:           8
        .value_kind:     hidden_global_offset_y
      - .offset:         264
        .size:           8
        .value_kind:     hidden_global_offset_z
      - .offset:         272
        .size:           2
        .value_kind:     hidden_grid_dims
    .group_segment_fixed_size: 21504
    .kernarg_segment_align: 8
    .kernarg_segment_size: 464
    .language:       OpenCL C
    .language_version:
      - 2
      - 0
    .max_flat_workgroup_size: 128
    .name:           _ZL15flash_attn_tileILi256ELi256ELi1ELi8ELb0EEvPKcS1_S1_S1_S1_PKiPfP15HIP_vector_typeIfLj2EEffffjfiS5_IjLj3EEiiiiiiiiiiiliiliiiiil
    .private_segment_fixed_size: 0
    .sgpr_count:     44
    .sgpr_spill_count: 0
    .symbol:         _ZL15flash_attn_tileILi256ELi256ELi1ELi8ELb0EEvPKcS1_S1_S1_S1_PKiPfP15HIP_vector_typeIfLj2EEffffjfiS5_IjLj3EEiiiiiiiiiiiliiliiiiil.kd
    .uniform_work_group_size: 1
    .uses_dynamic_stack: false
    .vgpr_count:     100
    .vgpr_spill_count: 0
    .wavefront_size: 32
    .workgroup_processor_mode: 1
  - .args:
      - .actual_access:  read_only
        .address_space:  global
        .offset:         0
        .size:           8
        .value_kind:     global_buffer
      - .actual_access:  write_only
        .address_space:  global
        .offset:         8
        .size:           8
        .value_kind:     global_buffer
      - .offset:         16
        .size:           4
        .value_kind:     by_value
      - .offset:         20
        .size:           4
        .value_kind:     by_value
      - .offset:         24
        .size:           4
        .value_kind:     by_value
      - .offset:         32
        .size:           4
        .value_kind:     hidden_block_count_x
      - .offset:         36
        .size:           4
        .value_kind:     hidden_block_count_y
      - .offset:         40
        .size:           4
        .value_kind:     hidden_block_count_z
      - .offset:         44
        .size:           2
        .value_kind:     hidden_group_size_x
      - .offset:         46
        .size:           2
        .value_kind:     hidden_group_size_y
      - .offset:         48
        .size:           2
        .value_kind:     hidden_group_size_z
      - .offset:         50
        .size:           2
        .value_kind:     hidden_remainder_x
      - .offset:         52
        .size:           2
        .value_kind:     hidden_remainder_y
      - .offset:         54
        .size:           2
        .value_kind:     hidden_remainder_z
      - .offset:         72
        .size:           8
        .value_kind:     hidden_global_offset_x
      - .offset:         80
        .size:           8
        .value_kind:     hidden_global_offset_y
      - .offset:         88
        .size:           8
        .value_kind:     hidden_global_offset_z
      - .offset:         96
        .size:           2
        .value_kind:     hidden_grid_dims
    .group_segment_fixed_size: 128
    .kernarg_segment_align: 8
    .kernarg_segment_size: 288
    .language:       OpenCL C
    .language_version:
      - 2
      - 0
    .max_flat_workgroup_size: 128
    .name:           _ZL25flash_attn_mask_to_KV_maxILi1EEvPK7__half2Piiii
    .private_segment_fixed_size: 0
    .sgpr_count:     13
    .sgpr_spill_count: 0
    .symbol:         _ZL25flash_attn_mask_to_KV_maxILi1EEvPK7__half2Piiii.kd
    .uniform_work_group_size: 1
    .uses_dynamic_stack: false
    .vgpr_count:     7
    .vgpr_spill_count: 0
    .wavefront_size: 32
    .workgroup_processor_mode: 1
  - .args:
      - .address_space:  global
        .offset:         0
        .size:           8
        .value_kind:     global_buffer
      - .address_space:  global
        .offset:         8
        .size:           8
        .value_kind:     global_buffer
      - .offset:         16
        .size:           4
        .value_kind:     by_value
      - .offset:         20
        .size:           4
        .value_kind:     by_value
      - .offset:         24
        .size:           4
        .value_kind:     by_value
      - .offset:         28
        .size:           4
        .value_kind:     by_value
      - .offset:         32
        .size:           4
        .value_kind:     by_value
      - .offset:         36
        .size:           4
        .value_kind:     by_value
      - .offset:         40
        .size:           12
        .value_kind:     by_value
      - .offset:         52
        .size:           12
        .value_kind:     by_value
      - .offset:         64
        .size:           12
        .value_kind:     by_value
    .group_segment_fixed_size: 0
    .kernarg_segment_align: 8
    .kernarg_segment_size: 76
    .language:       OpenCL C
    .language_version:
      - 2
      - 0
    .max_flat_workgroup_size: 256
    .name:           _ZL33flash_attn_stream_k_fixup_uniformILi256ELi1ELi8EEvPfPK15HIP_vector_typeIfLj2EEiiiiiiS1_IjLj3EES5_S5_
    .private_segment_fixed_size: 0
    .sgpr_count:     22
    .sgpr_spill_count: 0
    .symbol:         _ZL33flash_attn_stream_k_fixup_uniformILi256ELi1ELi8EEvPfPK15HIP_vector_typeIfLj2EEiiiiiiS1_IjLj3EES5_S5_.kd
    .uniform_work_group_size: 1
    .uses_dynamic_stack: false
    .vgpr_count:     11
    .vgpr_spill_count: 0
    .wavefront_size: 32
    .workgroup_processor_mode: 1
  - .args:
      - .address_space:  global
        .offset:         0
        .size:           8
        .value_kind:     global_buffer
      - .address_space:  global
        .offset:         8
        .size:           8
        .value_kind:     global_buffer
      - .offset:         16
        .size:           4
        .value_kind:     by_value
      - .offset:         20
        .size:           4
        .value_kind:     by_value
      - .offset:         24
        .size:           4
        .value_kind:     by_value
      - .offset:         28
        .size:           4
        .value_kind:     by_value
      - .offset:         32
        .size:           12
        .value_kind:     by_value
      - .offset:         44
        .size:           12
        .value_kind:     by_value
      - .offset:         56
        .size:           12
        .value_kind:     by_value
      - .offset:         68
        .size:           12
        .value_kind:     by_value
      - .offset:         80
        .size:           4
        .value_kind:     hidden_block_count_x
      - .offset:         84
        .size:           4
        .value_kind:     hidden_block_count_y
      - .offset:         88
        .size:           4
        .value_kind:     hidden_block_count_z
      - .offset:         92
        .size:           2
        .value_kind:     hidden_group_size_x
      - .offset:         94
        .size:           2
        .value_kind:     hidden_group_size_y
      - .offset:         96
        .size:           2
        .value_kind:     hidden_group_size_z
      - .offset:         98
        .size:           2
        .value_kind:     hidden_remainder_x
      - .offset:         100
        .size:           2
        .value_kind:     hidden_remainder_y
      - .offset:         102
        .size:           2
        .value_kind:     hidden_remainder_z
      - .offset:         120
        .size:           8
        .value_kind:     hidden_global_offset_x
      - .offset:         128
        .size:           8
        .value_kind:     hidden_global_offset_y
      - .offset:         136
        .size:           8
        .value_kind:     hidden_global_offset_z
      - .offset:         144
        .size:           2
        .value_kind:     hidden_grid_dims
    .group_segment_fixed_size: 0
    .kernarg_segment_align: 8
    .kernarg_segment_size: 336
    .language:       OpenCL C
    .language_version:
      - 2
      - 0
    .max_flat_workgroup_size: 256
    .name:           _ZL33flash_attn_stream_k_fixup_generalILi256ELi1ELi8EEvPfPK15HIP_vector_typeIfLj2EEiiiiS1_IjLj3EES5_S5_S5_
    .private_segment_fixed_size: 0
    .sgpr_count:     46
    .sgpr_spill_count: 0
    .symbol:         _ZL33flash_attn_stream_k_fixup_generalILi256ELi1ELi8EEvPfPK15HIP_vector_typeIfLj2EEiiiiS1_IjLj3EES5_S5_S5_.kd
    .uniform_work_group_size: 1
    .uses_dynamic_stack: false
    .vgpr_count:     9
    .vgpr_spill_count: 0
    .wavefront_size: 32
    .workgroup_processor_mode: 1
  - .args:
      - .address_space:  global
        .offset:         0
        .size:           8
        .value_kind:     global_buffer
      - .address_space:  global
        .offset:         8
        .size:           8
        .value_kind:     global_buffer
      - .address_space:  global
        .offset:         16
        .size:           8
        .value_kind:     global_buffer
      - .address_space:  global
        .offset:         24
        .size:           8
        .value_kind:     global_buffer
      - .address_space:  global
        .offset:         32
        .size:           8
        .value_kind:     global_buffer
      - .address_space:  global
        .offset:         40
        .size:           8
        .value_kind:     global_buffer
      - .address_space:  global
        .offset:         48
        .size:           8
        .value_kind:     global_buffer
      - .address_space:  global
        .offset:         56
        .size:           8
        .value_kind:     global_buffer
      - .offset:         64
        .size:           4
        .value_kind:     by_value
      - .offset:         68
        .size:           4
        .value_kind:     by_value
      - .offset:         72
        .size:           4
        .value_kind:     by_value
      - .offset:         76
        .size:           4
        .value_kind:     by_value
      - .offset:         80
        .size:           4
        .value_kind:     by_value
      - .offset:         84
        .size:           4
        .value_kind:     by_value
      - .offset:         88
        .size:           4
        .value_kind:     by_value
      - .offset:         92
        .size:           12
        .value_kind:     by_value
      - .offset:         104
        .size:           4
        .value_kind:     by_value
      - .offset:         108
        .size:           4
        .value_kind:     by_value
      - .offset:         112
        .size:           4
        .value_kind:     by_value
      - .offset:         116
        .size:           4
        .value_kind:     by_value
      - .offset:         120
        .size:           4
        .value_kind:     by_value
      - .offset:         124
        .size:           4
        .value_kind:     by_value
      - .offset:         128
        .size:           4
        .value_kind:     by_value
      - .offset:         132
        .size:           4
        .value_kind:     by_value
      - .offset:         136
        .size:           4
        .value_kind:     by_value
      - .offset:         140
        .size:           4
        .value_kind:     by_value
      - .offset:         144
        .size:           4
        .value_kind:     by_value
      - .offset:         152
        .size:           8
        .value_kind:     by_value
      - .offset:         160
        .size:           4
        .value_kind:     by_value
      - .offset:         164
        .size:           4
        .value_kind:     by_value
      - .offset:         168
        .size:           8
        .value_kind:     by_value
      - .offset:         176
        .size:           4
        .value_kind:     by_value
      - .offset:         180
        .size:           4
        .value_kind:     by_value
      - .offset:         184
        .size:           4
        .value_kind:     by_value
      - .offset:         188
        .size:           4
        .value_kind:     by_value
      - .offset:         192
        .size:           4
        .value_kind:     by_value
      - .offset:         200
        .size:           8
        .value_kind:     by_value
      - .offset:         208
        .size:           4
        .value_kind:     hidden_block_count_x
      - .offset:         212
        .size:           4
        .value_kind:     hidden_block_count_y
      - .offset:         216
        .size:           4
        .value_kind:     hidden_block_count_z
      - .offset:         220
        .size:           2
        .value_kind:     hidden_group_size_x
      - .offset:         222
        .size:           2
        .value_kind:     hidden_group_size_y
      - .offset:         224
        .size:           2
        .value_kind:     hidden_group_size_z
      - .offset:         226
        .size:           2
        .value_kind:     hidden_remainder_x
      - .offset:         228
        .size:           2
        .value_kind:     hidden_remainder_y
      - .offset:         230
        .size:           2
        .value_kind:     hidden_remainder_z
      - .offset:         248
        .size:           8
        .value_kind:     hidden_global_offset_x
      - .offset:         256
        .size:           8
        .value_kind:     hidden_global_offset_y
      - .offset:         264
        .size:           8
        .value_kind:     hidden_global_offset_z
      - .offset:         272
        .size:           2
        .value_kind:     hidden_grid_dims
    .group_segment_fixed_size: 37888
    .kernarg_segment_align: 8
    .kernarg_segment_size: 464
    .language:       OpenCL C
    .language_version:
      - 2
      - 0
    .max_flat_workgroup_size: 256
    .name:           _ZL15flash_attn_tileILi256ELi256ELi8ELi4ELb0EEvPKcS1_S1_S1_S1_PKiPfP15HIP_vector_typeIfLj2EEffffjfiS5_IjLj3EEiiiiiiiiiiiliiliiiiil
    .private_segment_fixed_size: 80
    .sgpr_count:     48
    .sgpr_spill_count: 0
    .symbol:         _ZL15flash_attn_tileILi256ELi256ELi8ELi4ELb0EEvPKcS1_S1_S1_S1_PKiPfP15HIP_vector_typeIfLj2EEffffjfiS5_IjLj3EEiiiiiiiiiiiliiliiiiil.kd
    .uniform_work_group_size: 1
    .uses_dynamic_stack: false
    .vgpr_count:     256
    .vgpr_spill_count: 19
    .wavefront_size: 32
    .workgroup_processor_mode: 1
  - .args:
      - .actual_access:  read_only
        .address_space:  global
        .offset:         0
        .size:           8
        .value_kind:     global_buffer
      - .actual_access:  write_only
        .address_space:  global
        .offset:         8
        .size:           8
        .value_kind:     global_buffer
      - .offset:         16
        .size:           4
        .value_kind:     by_value
      - .offset:         20
        .size:           4
        .value_kind:     by_value
      - .offset:         24
        .size:           4
        .value_kind:     by_value
      - .offset:         32
        .size:           4
        .value_kind:     hidden_block_count_x
      - .offset:         36
        .size:           4
        .value_kind:     hidden_block_count_y
      - .offset:         40
        .size:           4
        .value_kind:     hidden_block_count_z
      - .offset:         44
        .size:           2
        .value_kind:     hidden_group_size_x
      - .offset:         46
        .size:           2
        .value_kind:     hidden_group_size_y
      - .offset:         48
        .size:           2
        .value_kind:     hidden_group_size_z
      - .offset:         50
        .size:           2
        .value_kind:     hidden_remainder_x
      - .offset:         52
        .size:           2
        .value_kind:     hidden_remainder_y
      - .offset:         54
        .size:           2
        .value_kind:     hidden_remainder_z
      - .offset:         72
        .size:           8
        .value_kind:     hidden_global_offset_x
      - .offset:         80
        .size:           8
        .value_kind:     hidden_global_offset_y
      - .offset:         88
        .size:           8
        .value_kind:     hidden_global_offset_z
      - .offset:         96
        .size:           2
        .value_kind:     hidden_grid_dims
    .group_segment_fixed_size: 128
    .kernarg_segment_align: 8
    .kernarg_segment_size: 288
    .language:       OpenCL C
    .language_version:
      - 2
      - 0
    .max_flat_workgroup_size: 128
    .name:           _ZL25flash_attn_mask_to_KV_maxILi8EEvPK7__half2Piiii
    .private_segment_fixed_size: 0
    .sgpr_count:     27
    .sgpr_spill_count: 0
    .symbol:         _ZL25flash_attn_mask_to_KV_maxILi8EEvPK7__half2Piiii.kd
    .uniform_work_group_size: 1
    .uses_dynamic_stack: false
    .vgpr_count:     9
    .vgpr_spill_count: 0
    .wavefront_size: 32
    .workgroup_processor_mode: 1
  - .args:
      - .address_space:  global
        .offset:         0
        .size:           8
        .value_kind:     global_buffer
      - .address_space:  global
        .offset:         8
        .size:           8
        .value_kind:     global_buffer
      - .offset:         16
        .size:           4
        .value_kind:     by_value
      - .offset:         20
        .size:           4
        .value_kind:     by_value
      - .offset:         24
        .size:           4
        .value_kind:     by_value
      - .offset:         28
        .size:           4
        .value_kind:     by_value
      - .offset:         32
        .size:           4
        .value_kind:     by_value
      - .offset:         36
        .size:           4
        .value_kind:     by_value
      - .offset:         40
        .size:           12
        .value_kind:     by_value
      - .offset:         52
        .size:           12
        .value_kind:     by_value
      - .offset:         64
        .size:           12
        .value_kind:     by_value
    .group_segment_fixed_size: 0
    .kernarg_segment_align: 8
    .kernarg_segment_size: 76
    .language:       OpenCL C
    .language_version:
      - 2
      - 0
    .max_flat_workgroup_size: 256
    .name:           _ZL33flash_attn_stream_k_fixup_uniformILi256ELi8ELi4EEvPfPK15HIP_vector_typeIfLj2EEiiiiiiS1_IjLj3EES5_S5_
    .private_segment_fixed_size: 0
    .sgpr_count:     18
    .sgpr_spill_count: 0
    .symbol:         _ZL33flash_attn_stream_k_fixup_uniformILi256ELi8ELi4EEvPfPK15HIP_vector_typeIfLj2EEiiiiiiS1_IjLj3EES5_S5_.kd
    .uniform_work_group_size: 1
    .uses_dynamic_stack: false
    .vgpr_count:     11
    .vgpr_spill_count: 0
    .wavefront_size: 32
    .workgroup_processor_mode: 1
  - .args:
      - .address_space:  global
        .offset:         0
        .size:           8
        .value_kind:     global_buffer
      - .address_space:  global
        .offset:         8
        .size:           8
        .value_kind:     global_buffer
      - .offset:         16
        .size:           4
        .value_kind:     by_value
      - .offset:         20
        .size:           4
        .value_kind:     by_value
      - .offset:         24
        .size:           4
        .value_kind:     by_value
      - .offset:         28
        .size:           4
        .value_kind:     by_value
      - .offset:         32
        .size:           12
        .value_kind:     by_value
      - .offset:         44
        .size:           12
        .value_kind:     by_value
      - .offset:         56
        .size:           12
        .value_kind:     by_value
      - .offset:         68
        .size:           12
        .value_kind:     by_value
      - .offset:         80
        .size:           4
        .value_kind:     hidden_block_count_x
      - .offset:         84
        .size:           4
        .value_kind:     hidden_block_count_y
      - .offset:         88
        .size:           4
        .value_kind:     hidden_block_count_z
      - .offset:         92
        .size:           2
        .value_kind:     hidden_group_size_x
      - .offset:         94
        .size:           2
        .value_kind:     hidden_group_size_y
      - .offset:         96
        .size:           2
        .value_kind:     hidden_group_size_z
      - .offset:         98
        .size:           2
        .value_kind:     hidden_remainder_x
      - .offset:         100
        .size:           2
        .value_kind:     hidden_remainder_y
      - .offset:         102
        .size:           2
        .value_kind:     hidden_remainder_z
      - .offset:         120
        .size:           8
        .value_kind:     hidden_global_offset_x
      - .offset:         128
        .size:           8
        .value_kind:     hidden_global_offset_y
      - .offset:         136
        .size:           8
        .value_kind:     hidden_global_offset_z
      - .offset:         144
        .size:           2
        .value_kind:     hidden_grid_dims
    .group_segment_fixed_size: 0
    .kernarg_segment_align: 8
    .kernarg_segment_size: 336
    .language:       OpenCL C
    .language_version:
      - 2
      - 0
    .max_flat_workgroup_size: 256
    .name:           _ZL33flash_attn_stream_k_fixup_generalILi256ELi8ELi4EEvPfPK15HIP_vector_typeIfLj2EEiiiiS1_IjLj3EES5_S5_S5_
    .private_segment_fixed_size: 0
    .sgpr_count:     46
    .sgpr_spill_count: 0
    .symbol:         _ZL33flash_attn_stream_k_fixup_generalILi256ELi8ELi4EEvPfPK15HIP_vector_typeIfLj2EEiiiiS1_IjLj3EES5_S5_S5_.kd
    .uniform_work_group_size: 1
    .uses_dynamic_stack: false
    .vgpr_count:     9
    .vgpr_spill_count: 0
    .wavefront_size: 32
    .workgroup_processor_mode: 1
  - .args:
      - .address_space:  global
        .offset:         0
        .size:           8
        .value_kind:     global_buffer
      - .address_space:  global
        .offset:         8
        .size:           8
        .value_kind:     global_buffer
      - .address_space:  global
        .offset:         16
        .size:           8
        .value_kind:     global_buffer
      - .address_space:  global
        .offset:         24
        .size:           8
        .value_kind:     global_buffer
      - .address_space:  global
        .offset:         32
        .size:           8
        .value_kind:     global_buffer
      - .address_space:  global
        .offset:         40
        .size:           8
        .value_kind:     global_buffer
      - .address_space:  global
        .offset:         48
        .size:           8
        .value_kind:     global_buffer
      - .address_space:  global
        .offset:         56
        .size:           8
        .value_kind:     global_buffer
      - .offset:         64
        .size:           4
        .value_kind:     by_value
      - .offset:         68
        .size:           4
        .value_kind:     by_value
      - .offset:         72
        .size:           4
        .value_kind:     by_value
      - .offset:         76
        .size:           4
        .value_kind:     by_value
      - .offset:         80
        .size:           4
        .value_kind:     by_value
      - .offset:         84
        .size:           4
        .value_kind:     by_value
      - .offset:         88
        .size:           4
        .value_kind:     by_value
      - .offset:         92
        .size:           12
        .value_kind:     by_value
      - .offset:         104
        .size:           4
        .value_kind:     by_value
      - .offset:         108
        .size:           4
        .value_kind:     by_value
      - .offset:         112
        .size:           4
        .value_kind:     by_value
      - .offset:         116
        .size:           4
        .value_kind:     by_value
      - .offset:         120
        .size:           4
        .value_kind:     by_value
      - .offset:         124
        .size:           4
        .value_kind:     by_value
      - .offset:         128
        .size:           4
        .value_kind:     by_value
      - .offset:         132
        .size:           4
        .value_kind:     by_value
      - .offset:         136
        .size:           4
        .value_kind:     by_value
      - .offset:         140
        .size:           4
        .value_kind:     by_value
      - .offset:         144
        .size:           4
        .value_kind:     by_value
      - .offset:         152
        .size:           8
        .value_kind:     by_value
      - .offset:         160
        .size:           4
        .value_kind:     by_value
      - .offset:         164
        .size:           4
        .value_kind:     by_value
      - .offset:         168
        .size:           8
        .value_kind:     by_value
      - .offset:         176
        .size:           4
        .value_kind:     by_value
      - .offset:         180
        .size:           4
        .value_kind:     by_value
      - .offset:         184
        .size:           4
        .value_kind:     by_value
      - .offset:         188
        .size:           4
        .value_kind:     by_value
      - .offset:         192
        .size:           4
        .value_kind:     by_value
      - .offset:         200
        .size:           8
        .value_kind:     by_value
      - .offset:         208
        .size:           4
        .value_kind:     hidden_block_count_x
      - .offset:         212
        .size:           4
        .value_kind:     hidden_block_count_y
      - .offset:         216
        .size:           4
        .value_kind:     hidden_block_count_z
      - .offset:         220
        .size:           2
        .value_kind:     hidden_group_size_x
      - .offset:         222
        .size:           2
        .value_kind:     hidden_group_size_y
      - .offset:         224
        .size:           2
        .value_kind:     hidden_group_size_z
      - .offset:         226
        .size:           2
        .value_kind:     hidden_remainder_x
      - .offset:         228
        .size:           2
        .value_kind:     hidden_remainder_y
      - .offset:         230
        .size:           2
        .value_kind:     hidden_remainder_z
      - .offset:         248
        .size:           8
        .value_kind:     hidden_global_offset_x
      - .offset:         256
        .size:           8
        .value_kind:     hidden_global_offset_y
      - .offset:         264
        .size:           8
        .value_kind:     hidden_global_offset_z
      - .offset:         272
        .size:           2
        .value_kind:     hidden_grid_dims
    .group_segment_fixed_size: 26112
    .kernarg_segment_align: 8
    .kernarg_segment_size: 464
    .language:       OpenCL C
    .language_version:
      - 2
      - 0
    .max_flat_workgroup_size: 256
    .name:           _ZL15flash_attn_tileILi256ELi256ELi4ELi4ELb0EEvPKcS1_S1_S1_S1_PKiPfP15HIP_vector_typeIfLj2EEffffjfiS5_IjLj3EEiiiiiiiiiiiliiliiiiil
    .private_segment_fixed_size: 0
    .sgpr_count:     44
    .sgpr_spill_count: 0
    .symbol:         _ZL15flash_attn_tileILi256ELi256ELi4ELi4ELb0EEvPKcS1_S1_S1_S1_PKiPfP15HIP_vector_typeIfLj2EEffffjfiS5_IjLj3EEiiiiiiiiiiiliiliiiiil.kd
    .uniform_work_group_size: 1
    .uses_dynamic_stack: false
    .vgpr_count:     139
    .vgpr_spill_count: 0
    .wavefront_size: 32
    .workgroup_processor_mode: 1
  - .args:
      - .address_space:  global
        .offset:         0
        .size:           8
        .value_kind:     global_buffer
      - .address_space:  global
        .offset:         8
        .size:           8
        .value_kind:     global_buffer
      - .offset:         16
        .size:           4
        .value_kind:     by_value
      - .offset:         20
        .size:           4
        .value_kind:     by_value
      - .offset:         24
        .size:           4
        .value_kind:     by_value
      - .offset:         28
        .size:           4
        .value_kind:     by_value
      - .offset:         32
        .size:           4
        .value_kind:     by_value
      - .offset:         36
        .size:           4
        .value_kind:     by_value
      - .offset:         40
        .size:           12
        .value_kind:     by_value
      - .offset:         52
        .size:           12
        .value_kind:     by_value
      - .offset:         64
        .size:           12
        .value_kind:     by_value
    .group_segment_fixed_size: 0
    .kernarg_segment_align: 8
    .kernarg_segment_size: 76
    .language:       OpenCL C
    .language_version:
      - 2
      - 0
    .max_flat_workgroup_size: 256
    .name:           _ZL33flash_attn_stream_k_fixup_uniformILi256ELi4ELi4EEvPfPK15HIP_vector_typeIfLj2EEiiiiiiS1_IjLj3EES5_S5_
    .private_segment_fixed_size: 0
    .sgpr_count:     18
    .sgpr_spill_count: 0
    .symbol:         _ZL33flash_attn_stream_k_fixup_uniformILi256ELi4ELi4EEvPfPK15HIP_vector_typeIfLj2EEiiiiiiS1_IjLj3EES5_S5_.kd
    .uniform_work_group_size: 1
    .uses_dynamic_stack: false
    .vgpr_count:     11
    .vgpr_spill_count: 0
    .wavefront_size: 32
    .workgroup_processor_mode: 1
  - .args:
      - .address_space:  global
        .offset:         0
        .size:           8
        .value_kind:     global_buffer
      - .address_space:  global
        .offset:         8
        .size:           8
        .value_kind:     global_buffer
      - .offset:         16
        .size:           4
        .value_kind:     by_value
      - .offset:         20
        .size:           4
        .value_kind:     by_value
      - .offset:         24
        .size:           4
        .value_kind:     by_value
      - .offset:         28
        .size:           4
        .value_kind:     by_value
      - .offset:         32
        .size:           12
        .value_kind:     by_value
      - .offset:         44
        .size:           12
        .value_kind:     by_value
      - .offset:         56
        .size:           12
        .value_kind:     by_value
      - .offset:         68
        .size:           12
        .value_kind:     by_value
      - .offset:         80
        .size:           4
        .value_kind:     hidden_block_count_x
      - .offset:         84
        .size:           4
        .value_kind:     hidden_block_count_y
      - .offset:         88
        .size:           4
        .value_kind:     hidden_block_count_z
      - .offset:         92
        .size:           2
        .value_kind:     hidden_group_size_x
      - .offset:         94
        .size:           2
        .value_kind:     hidden_group_size_y
      - .offset:         96
        .size:           2
        .value_kind:     hidden_group_size_z
      - .offset:         98
        .size:           2
        .value_kind:     hidden_remainder_x
      - .offset:         100
        .size:           2
        .value_kind:     hidden_remainder_y
      - .offset:         102
        .size:           2
        .value_kind:     hidden_remainder_z
      - .offset:         120
        .size:           8
        .value_kind:     hidden_global_offset_x
      - .offset:         128
        .size:           8
        .value_kind:     hidden_global_offset_y
      - .offset:         136
        .size:           8
        .value_kind:     hidden_global_offset_z
      - .offset:         144
        .size:           2
        .value_kind:     hidden_grid_dims
    .group_segment_fixed_size: 0
    .kernarg_segment_align: 8
    .kernarg_segment_size: 336
    .language:       OpenCL C
    .language_version:
      - 2
      - 0
    .max_flat_workgroup_size: 256
    .name:           _ZL33flash_attn_stream_k_fixup_generalILi256ELi4ELi4EEvPfPK15HIP_vector_typeIfLj2EEiiiiS1_IjLj3EES5_S5_S5_
    .private_segment_fixed_size: 0
    .sgpr_count:     46
    .sgpr_spill_count: 0
    .symbol:         _ZL33flash_attn_stream_k_fixup_generalILi256ELi4ELi4EEvPfPK15HIP_vector_typeIfLj2EEiiiiS1_IjLj3EES5_S5_S5_.kd
    .uniform_work_group_size: 1
    .uses_dynamic_stack: false
    .vgpr_count:     9
    .vgpr_spill_count: 0
    .wavefront_size: 32
    .workgroup_processor_mode: 1
  - .args:
      - .address_space:  global
        .offset:         0
        .size:           8
        .value_kind:     global_buffer
      - .address_space:  global
        .offset:         8
        .size:           8
        .value_kind:     global_buffer
      - .address_space:  global
        .offset:         16
        .size:           8
        .value_kind:     global_buffer
      - .address_space:  global
        .offset:         24
        .size:           8
        .value_kind:     global_buffer
      - .address_space:  global
        .offset:         32
        .size:           8
        .value_kind:     global_buffer
      - .address_space:  global
        .offset:         40
        .size:           8
        .value_kind:     global_buffer
      - .address_space:  global
        .offset:         48
        .size:           8
        .value_kind:     global_buffer
      - .address_space:  global
        .offset:         56
        .size:           8
        .value_kind:     global_buffer
      - .offset:         64
        .size:           4
        .value_kind:     by_value
      - .offset:         68
        .size:           4
        .value_kind:     by_value
      - .offset:         72
        .size:           4
        .value_kind:     by_value
      - .offset:         76
        .size:           4
        .value_kind:     by_value
      - .offset:         80
        .size:           4
        .value_kind:     by_value
      - .offset:         84
        .size:           4
        .value_kind:     by_value
      - .offset:         88
        .size:           4
        .value_kind:     by_value
      - .offset:         92
        .size:           12
        .value_kind:     by_value
      - .offset:         104
        .size:           4
        .value_kind:     by_value
      - .offset:         108
        .size:           4
        .value_kind:     by_value
      - .offset:         112
        .size:           4
        .value_kind:     by_value
      - .offset:         116
        .size:           4
        .value_kind:     by_value
      - .offset:         120
        .size:           4
        .value_kind:     by_value
      - .offset:         124
        .size:           4
        .value_kind:     by_value
      - .offset:         128
        .size:           4
        .value_kind:     by_value
      - .offset:         132
        .size:           4
        .value_kind:     by_value
      - .offset:         136
        .size:           4
        .value_kind:     by_value
      - .offset:         140
        .size:           4
        .value_kind:     by_value
      - .offset:         144
        .size:           4
        .value_kind:     by_value
      - .offset:         152
        .size:           8
        .value_kind:     by_value
      - .offset:         160
        .size:           4
        .value_kind:     by_value
      - .offset:         164
        .size:           4
        .value_kind:     by_value
      - .offset:         168
        .size:           8
        .value_kind:     by_value
      - .offset:         176
        .size:           4
        .value_kind:     by_value
      - .offset:         180
        .size:           4
        .value_kind:     by_value
      - .offset:         184
        .size:           4
        .value_kind:     by_value
      - .offset:         188
        .size:           4
        .value_kind:     by_value
      - .offset:         192
        .size:           4
        .value_kind:     by_value
      - .offset:         200
        .size:           8
        .value_kind:     by_value
      - .offset:         208
        .size:           4
        .value_kind:     hidden_block_count_x
      - .offset:         212
        .size:           4
        .value_kind:     hidden_block_count_y
      - .offset:         216
        .size:           4
        .value_kind:     hidden_block_count_z
      - .offset:         220
        .size:           2
        .value_kind:     hidden_group_size_x
      - .offset:         222
        .size:           2
        .value_kind:     hidden_group_size_y
      - .offset:         224
        .size:           2
        .value_kind:     hidden_group_size_z
      - .offset:         226
        .size:           2
        .value_kind:     hidden_remainder_x
      - .offset:         228
        .size:           2
        .value_kind:     hidden_remainder_y
      - .offset:         230
        .size:           2
        .value_kind:     hidden_remainder_z
      - .offset:         248
        .size:           8
        .value_kind:     hidden_global_offset_x
      - .offset:         256
        .size:           8
        .value_kind:     hidden_global_offset_y
      - .offset:         264
        .size:           8
        .value_kind:     hidden_global_offset_z
      - .offset:         272
        .size:           2
        .value_kind:     hidden_grid_dims
    .group_segment_fixed_size: 21504
    .kernarg_segment_align: 8
    .kernarg_segment_size: 464
    .language:       OpenCL C
    .language_version:
      - 2
      - 0
    .max_flat_workgroup_size: 128
    .name:           _ZL15flash_attn_tileILi256ELi256ELi2ELi4ELb0EEvPKcS1_S1_S1_S1_PKiPfP15HIP_vector_typeIfLj2EEffffjfiS5_IjLj3EEiiiiiiiiiiiliiliiiiil
    .private_segment_fixed_size: 0
    .sgpr_count:     44
    .sgpr_spill_count: 0
    .symbol:         _ZL15flash_attn_tileILi256ELi256ELi2ELi4ELb0EEvPKcS1_S1_S1_S1_PKiPfP15HIP_vector_typeIfLj2EEffffjfiS5_IjLj3EEiiiiiiiiiiiliiliiiiil.kd
    .uniform_work_group_size: 1
    .uses_dynamic_stack: false
    .vgpr_count:     100
    .vgpr_spill_count: 0
    .wavefront_size: 32
    .workgroup_processor_mode: 1
  - .args:
      - .address_space:  global
        .offset:         0
        .size:           8
        .value_kind:     global_buffer
      - .address_space:  global
        .offset:         8
        .size:           8
        .value_kind:     global_buffer
      - .offset:         16
        .size:           4
        .value_kind:     by_value
      - .offset:         20
        .size:           4
        .value_kind:     by_value
      - .offset:         24
        .size:           4
        .value_kind:     by_value
      - .offset:         28
        .size:           4
        .value_kind:     by_value
      - .offset:         32
        .size:           4
        .value_kind:     by_value
      - .offset:         36
        .size:           4
        .value_kind:     by_value
      - .offset:         40
        .size:           12
        .value_kind:     by_value
      - .offset:         52
        .size:           12
        .value_kind:     by_value
      - .offset:         64
        .size:           12
        .value_kind:     by_value
    .group_segment_fixed_size: 0
    .kernarg_segment_align: 8
    .kernarg_segment_size: 76
    .language:       OpenCL C
    .language_version:
      - 2
      - 0
    .max_flat_workgroup_size: 256
    .name:           _ZL33flash_attn_stream_k_fixup_uniformILi256ELi2ELi4EEvPfPK15HIP_vector_typeIfLj2EEiiiiiiS1_IjLj3EES5_S5_
    .private_segment_fixed_size: 0
    .sgpr_count:     18
    .sgpr_spill_count: 0
    .symbol:         _ZL33flash_attn_stream_k_fixup_uniformILi256ELi2ELi4EEvPfPK15HIP_vector_typeIfLj2EEiiiiiiS1_IjLj3EES5_S5_.kd
    .uniform_work_group_size: 1
    .uses_dynamic_stack: false
    .vgpr_count:     11
    .vgpr_spill_count: 0
    .wavefront_size: 32
    .workgroup_processor_mode: 1
  - .args:
      - .address_space:  global
        .offset:         0
        .size:           8
        .value_kind:     global_buffer
      - .address_space:  global
        .offset:         8
        .size:           8
        .value_kind:     global_buffer
      - .offset:         16
        .size:           4
        .value_kind:     by_value
      - .offset:         20
        .size:           4
        .value_kind:     by_value
      - .offset:         24
        .size:           4
        .value_kind:     by_value
      - .offset:         28
        .size:           4
        .value_kind:     by_value
      - .offset:         32
        .size:           12
        .value_kind:     by_value
      - .offset:         44
        .size:           12
        .value_kind:     by_value
      - .offset:         56
        .size:           12
        .value_kind:     by_value
      - .offset:         68
        .size:           12
        .value_kind:     by_value
      - .offset:         80
        .size:           4
        .value_kind:     hidden_block_count_x
      - .offset:         84
        .size:           4
        .value_kind:     hidden_block_count_y
      - .offset:         88
        .size:           4
        .value_kind:     hidden_block_count_z
      - .offset:         92
        .size:           2
        .value_kind:     hidden_group_size_x
      - .offset:         94
        .size:           2
        .value_kind:     hidden_group_size_y
      - .offset:         96
        .size:           2
        .value_kind:     hidden_group_size_z
      - .offset:         98
        .size:           2
        .value_kind:     hidden_remainder_x
      - .offset:         100
        .size:           2
        .value_kind:     hidden_remainder_y
      - .offset:         102
        .size:           2
        .value_kind:     hidden_remainder_z
      - .offset:         120
        .size:           8
        .value_kind:     hidden_global_offset_x
      - .offset:         128
        .size:           8
        .value_kind:     hidden_global_offset_y
      - .offset:         136
        .size:           8
        .value_kind:     hidden_global_offset_z
      - .offset:         144
        .size:           2
        .value_kind:     hidden_grid_dims
    .group_segment_fixed_size: 0
    .kernarg_segment_align: 8
    .kernarg_segment_size: 336
    .language:       OpenCL C
    .language_version:
      - 2
      - 0
    .max_flat_workgroup_size: 256
    .name:           _ZL33flash_attn_stream_k_fixup_generalILi256ELi2ELi4EEvPfPK15HIP_vector_typeIfLj2EEiiiiS1_IjLj3EES5_S5_S5_
    .private_segment_fixed_size: 0
    .sgpr_count:     46
    .sgpr_spill_count: 0
    .symbol:         _ZL33flash_attn_stream_k_fixup_generalILi256ELi2ELi4EEvPfPK15HIP_vector_typeIfLj2EEiiiiS1_IjLj3EES5_S5_S5_.kd
    .uniform_work_group_size: 1
    .uses_dynamic_stack: false
    .vgpr_count:     9
    .vgpr_spill_count: 0
    .wavefront_size: 32
    .workgroup_processor_mode: 1
  - .args:
      - .address_space:  global
        .offset:         0
        .size:           8
        .value_kind:     global_buffer
      - .address_space:  global
        .offset:         8
        .size:           8
        .value_kind:     global_buffer
      - .address_space:  global
        .offset:         16
        .size:           8
        .value_kind:     global_buffer
      - .address_space:  global
        .offset:         24
        .size:           8
        .value_kind:     global_buffer
      - .address_space:  global
        .offset:         32
        .size:           8
        .value_kind:     global_buffer
      - .address_space:  global
        .offset:         40
        .size:           8
        .value_kind:     global_buffer
      - .address_space:  global
        .offset:         48
        .size:           8
        .value_kind:     global_buffer
      - .address_space:  global
        .offset:         56
        .size:           8
        .value_kind:     global_buffer
      - .offset:         64
        .size:           4
        .value_kind:     by_value
      - .offset:         68
        .size:           4
        .value_kind:     by_value
      - .offset:         72
        .size:           4
        .value_kind:     by_value
      - .offset:         76
        .size:           4
        .value_kind:     by_value
      - .offset:         80
        .size:           4
        .value_kind:     by_value
      - .offset:         84
        .size:           4
        .value_kind:     by_value
      - .offset:         88
        .size:           4
        .value_kind:     by_value
      - .offset:         92
        .size:           12
        .value_kind:     by_value
      - .offset:         104
        .size:           4
        .value_kind:     by_value
      - .offset:         108
        .size:           4
        .value_kind:     by_value
      - .offset:         112
        .size:           4
        .value_kind:     by_value
      - .offset:         116
        .size:           4
        .value_kind:     by_value
      - .offset:         120
        .size:           4
        .value_kind:     by_value
      - .offset:         124
        .size:           4
        .value_kind:     by_value
      - .offset:         128
        .size:           4
        .value_kind:     by_value
      - .offset:         132
        .size:           4
        .value_kind:     by_value
      - .offset:         136
        .size:           4
        .value_kind:     by_value
      - .offset:         140
        .size:           4
        .value_kind:     by_value
      - .offset:         144
        .size:           4
        .value_kind:     by_value
      - .offset:         152
        .size:           8
        .value_kind:     by_value
      - .offset:         160
        .size:           4
        .value_kind:     by_value
      - .offset:         164
        .size:           4
        .value_kind:     by_value
      - .offset:         168
        .size:           8
        .value_kind:     by_value
      - .offset:         176
        .size:           4
        .value_kind:     by_value
      - .offset:         180
        .size:           4
        .value_kind:     by_value
      - .offset:         184
        .size:           4
        .value_kind:     by_value
      - .offset:         188
        .size:           4
        .value_kind:     by_value
      - .offset:         192
        .size:           4
        .value_kind:     by_value
      - .offset:         200
        .size:           8
        .value_kind:     by_value
      - .offset:         208
        .size:           4
        .value_kind:     hidden_block_count_x
      - .offset:         212
        .size:           4
        .value_kind:     hidden_block_count_y
      - .offset:         216
        .size:           4
        .value_kind:     hidden_block_count_z
      - .offset:         220
        .size:           2
        .value_kind:     hidden_group_size_x
      - .offset:         222
        .size:           2
        .value_kind:     hidden_group_size_y
      - .offset:         224
        .size:           2
        .value_kind:     hidden_group_size_z
      - .offset:         226
        .size:           2
        .value_kind:     hidden_remainder_x
      - .offset:         228
        .size:           2
        .value_kind:     hidden_remainder_y
      - .offset:         230
        .size:           2
        .value_kind:     hidden_remainder_z
      - .offset:         248
        .size:           8
        .value_kind:     hidden_global_offset_x
      - .offset:         256
        .size:           8
        .value_kind:     hidden_global_offset_y
      - .offset:         264
        .size:           8
        .value_kind:     hidden_global_offset_z
      - .offset:         272
        .size:           2
        .value_kind:     hidden_grid_dims
    .group_segment_fixed_size: 19200
    .kernarg_segment_align: 8
    .kernarg_segment_size: 464
    .language:       OpenCL C
    .language_version:
      - 2
      - 0
    .max_flat_workgroup_size: 128
    .name:           _ZL15flash_attn_tileILi256ELi256ELi1ELi4ELb0EEvPKcS1_S1_S1_S1_PKiPfP15HIP_vector_typeIfLj2EEffffjfiS5_IjLj3EEiiiiiiiiiiiliiliiiiil
    .private_segment_fixed_size: 0
    .sgpr_count:     44
    .sgpr_spill_count: 0
    .symbol:         _ZL15flash_attn_tileILi256ELi256ELi1ELi4ELb0EEvPKcS1_S1_S1_S1_PKiPfP15HIP_vector_typeIfLj2EEffffjfiS5_IjLj3EEiiiiiiiiiiiliiliiiiil.kd
    .uniform_work_group_size: 1
    .uses_dynamic_stack: false
    .vgpr_count:     239
    .vgpr_spill_count: 0
    .wavefront_size: 32
    .workgroup_processor_mode: 1
  - .args:
      - .address_space:  global
        .offset:         0
        .size:           8
        .value_kind:     global_buffer
      - .address_space:  global
        .offset:         8
        .size:           8
        .value_kind:     global_buffer
      - .offset:         16
        .size:           4
        .value_kind:     by_value
      - .offset:         20
        .size:           4
        .value_kind:     by_value
      - .offset:         24
        .size:           4
        .value_kind:     by_value
      - .offset:         28
        .size:           4
        .value_kind:     by_value
      - .offset:         32
        .size:           4
        .value_kind:     by_value
      - .offset:         36
        .size:           4
        .value_kind:     by_value
      - .offset:         40
        .size:           12
        .value_kind:     by_value
      - .offset:         52
        .size:           12
        .value_kind:     by_value
      - .offset:         64
        .size:           12
        .value_kind:     by_value
    .group_segment_fixed_size: 0
    .kernarg_segment_align: 8
    .kernarg_segment_size: 76
    .language:       OpenCL C
    .language_version:
      - 2
      - 0
    .max_flat_workgroup_size: 256
    .name:           _ZL33flash_attn_stream_k_fixup_uniformILi256ELi1ELi4EEvPfPK15HIP_vector_typeIfLj2EEiiiiiiS1_IjLj3EES5_S5_
    .private_segment_fixed_size: 0
    .sgpr_count:     22
    .sgpr_spill_count: 0
    .symbol:         _ZL33flash_attn_stream_k_fixup_uniformILi256ELi1ELi4EEvPfPK15HIP_vector_typeIfLj2EEiiiiiiS1_IjLj3EES5_S5_.kd
    .uniform_work_group_size: 1
    .uses_dynamic_stack: false
    .vgpr_count:     11
    .vgpr_spill_count: 0
    .wavefront_size: 32
    .workgroup_processor_mode: 1
  - .args:
      - .address_space:  global
        .offset:         0
        .size:           8
        .value_kind:     global_buffer
      - .address_space:  global
        .offset:         8
        .size:           8
        .value_kind:     global_buffer
      - .offset:         16
        .size:           4
        .value_kind:     by_value
      - .offset:         20
        .size:           4
        .value_kind:     by_value
      - .offset:         24
        .size:           4
        .value_kind:     by_value
      - .offset:         28
        .size:           4
        .value_kind:     by_value
      - .offset:         32
        .size:           12
        .value_kind:     by_value
      - .offset:         44
        .size:           12
        .value_kind:     by_value
      - .offset:         56
        .size:           12
        .value_kind:     by_value
      - .offset:         68
        .size:           12
        .value_kind:     by_value
      - .offset:         80
        .size:           4
        .value_kind:     hidden_block_count_x
      - .offset:         84
        .size:           4
        .value_kind:     hidden_block_count_y
      - .offset:         88
        .size:           4
        .value_kind:     hidden_block_count_z
      - .offset:         92
        .size:           2
        .value_kind:     hidden_group_size_x
      - .offset:         94
        .size:           2
        .value_kind:     hidden_group_size_y
      - .offset:         96
        .size:           2
        .value_kind:     hidden_group_size_z
      - .offset:         98
        .size:           2
        .value_kind:     hidden_remainder_x
      - .offset:         100
        .size:           2
        .value_kind:     hidden_remainder_y
      - .offset:         102
        .size:           2
        .value_kind:     hidden_remainder_z
      - .offset:         120
        .size:           8
        .value_kind:     hidden_global_offset_x
      - .offset:         128
        .size:           8
        .value_kind:     hidden_global_offset_y
      - .offset:         136
        .size:           8
        .value_kind:     hidden_global_offset_z
      - .offset:         144
        .size:           2
        .value_kind:     hidden_grid_dims
    .group_segment_fixed_size: 0
    .kernarg_segment_align: 8
    .kernarg_segment_size: 336
    .language:       OpenCL C
    .language_version:
      - 2
      - 0
    .max_flat_workgroup_size: 256
    .name:           _ZL33flash_attn_stream_k_fixup_generalILi256ELi1ELi4EEvPfPK15HIP_vector_typeIfLj2EEiiiiS1_IjLj3EES5_S5_S5_
    .private_segment_fixed_size: 0
    .sgpr_count:     46
    .sgpr_spill_count: 0
    .symbol:         _ZL33flash_attn_stream_k_fixup_generalILi256ELi1ELi4EEvPfPK15HIP_vector_typeIfLj2EEiiiiS1_IjLj3EES5_S5_S5_.kd
    .uniform_work_group_size: 1
    .uses_dynamic_stack: false
    .vgpr_count:     9
    .vgpr_spill_count: 0
    .wavefront_size: 32
    .workgroup_processor_mode: 1
  - .args:
      - .address_space:  global
        .offset:         0
        .size:           8
        .value_kind:     global_buffer
      - .address_space:  global
        .offset:         8
        .size:           8
        .value_kind:     global_buffer
      - .address_space:  global
        .offset:         16
        .size:           8
        .value_kind:     global_buffer
      - .address_space:  global
        .offset:         24
        .size:           8
        .value_kind:     global_buffer
      - .address_space:  global
        .offset:         32
        .size:           8
        .value_kind:     global_buffer
      - .address_space:  global
        .offset:         40
        .size:           8
        .value_kind:     global_buffer
      - .address_space:  global
        .offset:         48
        .size:           8
        .value_kind:     global_buffer
      - .address_space:  global
        .offset:         56
        .size:           8
        .value_kind:     global_buffer
      - .offset:         64
        .size:           4
        .value_kind:     by_value
      - .offset:         68
        .size:           4
        .value_kind:     by_value
      - .offset:         72
        .size:           4
        .value_kind:     by_value
      - .offset:         76
        .size:           4
        .value_kind:     by_value
      - .offset:         80
        .size:           4
        .value_kind:     by_value
      - .offset:         84
        .size:           4
        .value_kind:     by_value
      - .offset:         88
        .size:           4
        .value_kind:     by_value
      - .offset:         92
        .size:           12
        .value_kind:     by_value
      - .offset:         104
        .size:           4
        .value_kind:     by_value
      - .offset:         108
        .size:           4
        .value_kind:     by_value
      - .offset:         112
        .size:           4
        .value_kind:     by_value
      - .offset:         116
        .size:           4
        .value_kind:     by_value
      - .offset:         120
        .size:           4
        .value_kind:     by_value
      - .offset:         124
        .size:           4
        .value_kind:     by_value
      - .offset:         128
        .size:           4
        .value_kind:     by_value
      - .offset:         132
        .size:           4
        .value_kind:     by_value
      - .offset:         136
        .size:           4
        .value_kind:     by_value
      - .offset:         140
        .size:           4
        .value_kind:     by_value
      - .offset:         144
        .size:           4
        .value_kind:     by_value
      - .offset:         152
        .size:           8
        .value_kind:     by_value
      - .offset:         160
        .size:           4
        .value_kind:     by_value
      - .offset:         164
        .size:           4
        .value_kind:     by_value
      - .offset:         168
        .size:           8
        .value_kind:     by_value
      - .offset:         176
        .size:           4
        .value_kind:     by_value
      - .offset:         180
        .size:           4
        .value_kind:     by_value
      - .offset:         184
        .size:           4
        .value_kind:     by_value
      - .offset:         188
        .size:           4
        .value_kind:     by_value
      - .offset:         192
        .size:           4
        .value_kind:     by_value
      - .offset:         200
        .size:           8
        .value_kind:     by_value
      - .offset:         208
        .size:           4
        .value_kind:     hidden_block_count_x
      - .offset:         212
        .size:           4
        .value_kind:     hidden_block_count_y
      - .offset:         216
        .size:           4
        .value_kind:     hidden_block_count_z
      - .offset:         220
        .size:           2
        .value_kind:     hidden_group_size_x
      - .offset:         222
        .size:           2
        .value_kind:     hidden_group_size_y
      - .offset:         224
        .size:           2
        .value_kind:     hidden_group_size_z
      - .offset:         226
        .size:           2
        .value_kind:     hidden_remainder_x
      - .offset:         228
        .size:           2
        .value_kind:     hidden_remainder_y
      - .offset:         230
        .size:           2
        .value_kind:     hidden_remainder_z
      - .offset:         248
        .size:           8
        .value_kind:     hidden_global_offset_x
      - .offset:         256
        .size:           8
        .value_kind:     hidden_global_offset_y
      - .offset:         264
        .size:           8
        .value_kind:     hidden_global_offset_z
      - .offset:         272
        .size:           2
        .value_kind:     hidden_grid_dims
    .group_segment_fixed_size: 37888
    .kernarg_segment_align: 8
    .kernarg_segment_size: 464
    .language:       OpenCL C
    .language_version:
      - 2
      - 0
    .max_flat_workgroup_size: 256
    .name:           _ZL15flash_attn_tileILi256ELi256ELi16ELi2ELb0EEvPKcS1_S1_S1_S1_PKiPfP15HIP_vector_typeIfLj2EEffffjfiS5_IjLj3EEiiiiiiiiiiiliiliiiiil
    .private_segment_fixed_size: 0
    .sgpr_count:     60
    .sgpr_spill_count: 0
    .symbol:         _ZL15flash_attn_tileILi256ELi256ELi16ELi2ELb0EEvPKcS1_S1_S1_S1_PKiPfP15HIP_vector_typeIfLj2EEffffjfiS5_IjLj3EEiiiiiiiiiiiliiliiiiil.kd
    .uniform_work_group_size: 1
    .uses_dynamic_stack: false
    .vgpr_count:     245
    .vgpr_spill_count: 0
    .wavefront_size: 32
    .workgroup_processor_mode: 1
  - .args:
      - .actual_access:  read_only
        .address_space:  global
        .offset:         0
        .size:           8
        .value_kind:     global_buffer
      - .actual_access:  write_only
        .address_space:  global
        .offset:         8
        .size:           8
        .value_kind:     global_buffer
      - .offset:         16
        .size:           4
        .value_kind:     by_value
      - .offset:         20
        .size:           4
        .value_kind:     by_value
      - .offset:         24
        .size:           4
        .value_kind:     by_value
      - .offset:         32
        .size:           4
        .value_kind:     hidden_block_count_x
      - .offset:         36
        .size:           4
        .value_kind:     hidden_block_count_y
      - .offset:         40
        .size:           4
        .value_kind:     hidden_block_count_z
      - .offset:         44
        .size:           2
        .value_kind:     hidden_group_size_x
      - .offset:         46
        .size:           2
        .value_kind:     hidden_group_size_y
      - .offset:         48
        .size:           2
        .value_kind:     hidden_group_size_z
      - .offset:         50
        .size:           2
        .value_kind:     hidden_remainder_x
      - .offset:         52
        .size:           2
        .value_kind:     hidden_remainder_y
      - .offset:         54
        .size:           2
        .value_kind:     hidden_remainder_z
      - .offset:         72
        .size:           8
        .value_kind:     hidden_global_offset_x
      - .offset:         80
        .size:           8
        .value_kind:     hidden_global_offset_y
      - .offset:         88
        .size:           8
        .value_kind:     hidden_global_offset_z
      - .offset:         96
        .size:           2
        .value_kind:     hidden_grid_dims
    .group_segment_fixed_size: 128
    .kernarg_segment_align: 8
    .kernarg_segment_size: 288
    .language:       OpenCL C
    .language_version:
      - 2
      - 0
    .max_flat_workgroup_size: 128
    .name:           _ZL25flash_attn_mask_to_KV_maxILi16EEvPK7__half2Piiii
    .private_segment_fixed_size: 0
    .sgpr_count:     44
    .sgpr_spill_count: 0
    .symbol:         _ZL25flash_attn_mask_to_KV_maxILi16EEvPK7__half2Piiii.kd
    .uniform_work_group_size: 1
    .uses_dynamic_stack: false
    .vgpr_count:     9
    .vgpr_spill_count: 0
    .wavefront_size: 32
    .workgroup_processor_mode: 1
  - .args:
      - .address_space:  global
        .offset:         0
        .size:           8
        .value_kind:     global_buffer
      - .address_space:  global
        .offset:         8
        .size:           8
        .value_kind:     global_buffer
      - .offset:         16
        .size:           4
        .value_kind:     by_value
      - .offset:         20
        .size:           4
        .value_kind:     by_value
      - .offset:         24
        .size:           4
        .value_kind:     by_value
      - .offset:         28
        .size:           4
        .value_kind:     by_value
      - .offset:         32
        .size:           4
        .value_kind:     by_value
      - .offset:         36
        .size:           4
        .value_kind:     by_value
      - .offset:         40
        .size:           12
        .value_kind:     by_value
      - .offset:         52
        .size:           12
        .value_kind:     by_value
      - .offset:         64
        .size:           12
        .value_kind:     by_value
    .group_segment_fixed_size: 0
    .kernarg_segment_align: 8
    .kernarg_segment_size: 76
    .language:       OpenCL C
    .language_version:
      - 2
      - 0
    .max_flat_workgroup_size: 256
    .name:           _ZL33flash_attn_stream_k_fixup_uniformILi256ELi16ELi2EEvPfPK15HIP_vector_typeIfLj2EEiiiiiiS1_IjLj3EES5_S5_
    .private_segment_fixed_size: 0
    .sgpr_count:     18
    .sgpr_spill_count: 0
    .symbol:         _ZL33flash_attn_stream_k_fixup_uniformILi256ELi16ELi2EEvPfPK15HIP_vector_typeIfLj2EEiiiiiiS1_IjLj3EES5_S5_.kd
    .uniform_work_group_size: 1
    .uses_dynamic_stack: false
    .vgpr_count:     11
    .vgpr_spill_count: 0
    .wavefront_size: 32
    .workgroup_processor_mode: 1
  - .args:
      - .address_space:  global
        .offset:         0
        .size:           8
        .value_kind:     global_buffer
      - .address_space:  global
        .offset:         8
        .size:           8
        .value_kind:     global_buffer
      - .offset:         16
        .size:           4
        .value_kind:     by_value
      - .offset:         20
        .size:           4
        .value_kind:     by_value
      - .offset:         24
        .size:           4
        .value_kind:     by_value
      - .offset:         28
        .size:           4
        .value_kind:     by_value
      - .offset:         32
        .size:           12
        .value_kind:     by_value
      - .offset:         44
        .size:           12
        .value_kind:     by_value
      - .offset:         56
        .size:           12
        .value_kind:     by_value
      - .offset:         68
        .size:           12
        .value_kind:     by_value
      - .offset:         80
        .size:           4
        .value_kind:     hidden_block_count_x
      - .offset:         84
        .size:           4
        .value_kind:     hidden_block_count_y
      - .offset:         88
        .size:           4
        .value_kind:     hidden_block_count_z
      - .offset:         92
        .size:           2
        .value_kind:     hidden_group_size_x
      - .offset:         94
        .size:           2
        .value_kind:     hidden_group_size_y
      - .offset:         96
        .size:           2
        .value_kind:     hidden_group_size_z
      - .offset:         98
        .size:           2
        .value_kind:     hidden_remainder_x
      - .offset:         100
        .size:           2
        .value_kind:     hidden_remainder_y
      - .offset:         102
        .size:           2
        .value_kind:     hidden_remainder_z
      - .offset:         120
        .size:           8
        .value_kind:     hidden_global_offset_x
      - .offset:         128
        .size:           8
        .value_kind:     hidden_global_offset_y
      - .offset:         136
        .size:           8
        .value_kind:     hidden_global_offset_z
      - .offset:         144
        .size:           2
        .value_kind:     hidden_grid_dims
    .group_segment_fixed_size: 0
    .kernarg_segment_align: 8
    .kernarg_segment_size: 336
    .language:       OpenCL C
    .language_version:
      - 2
      - 0
    .max_flat_workgroup_size: 256
    .name:           _ZL33flash_attn_stream_k_fixup_generalILi256ELi16ELi2EEvPfPK15HIP_vector_typeIfLj2EEiiiiS1_IjLj3EES5_S5_S5_
    .private_segment_fixed_size: 0
    .sgpr_count:     46
    .sgpr_spill_count: 0
    .symbol:         _ZL33flash_attn_stream_k_fixup_generalILi256ELi16ELi2EEvPfPK15HIP_vector_typeIfLj2EEiiiiS1_IjLj3EES5_S5_S5_.kd
    .uniform_work_group_size: 1
    .uses_dynamic_stack: false
    .vgpr_count:     9
    .vgpr_spill_count: 0
    .wavefront_size: 32
    .workgroup_processor_mode: 1
  - .args:
      - .address_space:  global
        .offset:         0
        .size:           8
        .value_kind:     global_buffer
      - .address_space:  global
        .offset:         8
        .size:           8
        .value_kind:     global_buffer
      - .address_space:  global
        .offset:         16
        .size:           8
        .value_kind:     global_buffer
      - .address_space:  global
        .offset:         24
        .size:           8
        .value_kind:     global_buffer
      - .address_space:  global
        .offset:         32
        .size:           8
        .value_kind:     global_buffer
      - .address_space:  global
        .offset:         40
        .size:           8
        .value_kind:     global_buffer
      - .address_space:  global
        .offset:         48
        .size:           8
        .value_kind:     global_buffer
      - .address_space:  global
        .offset:         56
        .size:           8
        .value_kind:     global_buffer
      - .offset:         64
        .size:           4
        .value_kind:     by_value
      - .offset:         68
        .size:           4
        .value_kind:     by_value
      - .offset:         72
        .size:           4
        .value_kind:     by_value
      - .offset:         76
        .size:           4
        .value_kind:     by_value
      - .offset:         80
        .size:           4
        .value_kind:     by_value
      - .offset:         84
        .size:           4
        .value_kind:     by_value
      - .offset:         88
        .size:           4
        .value_kind:     by_value
      - .offset:         92
        .size:           12
        .value_kind:     by_value
      - .offset:         104
        .size:           4
        .value_kind:     by_value
      - .offset:         108
        .size:           4
        .value_kind:     by_value
      - .offset:         112
        .size:           4
        .value_kind:     by_value
      - .offset:         116
        .size:           4
        .value_kind:     by_value
      - .offset:         120
        .size:           4
        .value_kind:     by_value
      - .offset:         124
        .size:           4
        .value_kind:     by_value
      - .offset:         128
        .size:           4
        .value_kind:     by_value
      - .offset:         132
        .size:           4
        .value_kind:     by_value
      - .offset:         136
        .size:           4
        .value_kind:     by_value
      - .offset:         140
        .size:           4
        .value_kind:     by_value
      - .offset:         144
        .size:           4
        .value_kind:     by_value
      - .offset:         152
        .size:           8
        .value_kind:     by_value
      - .offset:         160
        .size:           4
        .value_kind:     by_value
      - .offset:         164
        .size:           4
        .value_kind:     by_value
      - .offset:         168
        .size:           8
        .value_kind:     by_value
      - .offset:         176
        .size:           4
        .value_kind:     by_value
      - .offset:         180
        .size:           4
        .value_kind:     by_value
      - .offset:         184
        .size:           4
        .value_kind:     by_value
      - .offset:         188
        .size:           4
        .value_kind:     by_value
      - .offset:         192
        .size:           4
        .value_kind:     by_value
      - .offset:         200
        .size:           8
        .value_kind:     by_value
      - .offset:         208
        .size:           4
        .value_kind:     hidden_block_count_x
      - .offset:         212
        .size:           4
        .value_kind:     hidden_block_count_y
      - .offset:         216
        .size:           4
        .value_kind:     hidden_block_count_z
      - .offset:         220
        .size:           2
        .value_kind:     hidden_group_size_x
      - .offset:         222
        .size:           2
        .value_kind:     hidden_group_size_y
      - .offset:         224
        .size:           2
        .value_kind:     hidden_group_size_z
      - .offset:         226
        .size:           2
        .value_kind:     hidden_remainder_x
      - .offset:         228
        .size:           2
        .value_kind:     hidden_remainder_y
      - .offset:         230
        .size:           2
        .value_kind:     hidden_remainder_z
      - .offset:         248
        .size:           8
        .value_kind:     hidden_global_offset_x
      - .offset:         256
        .size:           8
        .value_kind:     hidden_global_offset_y
      - .offset:         264
        .size:           8
        .value_kind:     hidden_global_offset_z
      - .offset:         272
        .size:           2
        .value_kind:     hidden_grid_dims
    .group_segment_fixed_size: 26112
    .kernarg_segment_align: 8
    .kernarg_segment_size: 464
    .language:       OpenCL C
    .language_version:
      - 2
      - 0
    .max_flat_workgroup_size: 256
    .name:           _ZL15flash_attn_tileILi256ELi256ELi8ELi2ELb0EEvPKcS1_S1_S1_S1_PKiPfP15HIP_vector_typeIfLj2EEffffjfiS5_IjLj3EEiiiiiiiiiiiliiliiiiil
    .private_segment_fixed_size: 0
    .sgpr_count:     44
    .sgpr_spill_count: 0
    .symbol:         _ZL15flash_attn_tileILi256ELi256ELi8ELi2ELb0EEvPKcS1_S1_S1_S1_PKiPfP15HIP_vector_typeIfLj2EEffffjfiS5_IjLj3EEiiiiiiiiiiiliiliiiiil.kd
    .uniform_work_group_size: 1
    .uses_dynamic_stack: false
    .vgpr_count:     149
    .vgpr_spill_count: 0
    .wavefront_size: 32
    .workgroup_processor_mode: 1
  - .args:
      - .address_space:  global
        .offset:         0
        .size:           8
        .value_kind:     global_buffer
      - .address_space:  global
        .offset:         8
        .size:           8
        .value_kind:     global_buffer
      - .offset:         16
        .size:           4
        .value_kind:     by_value
      - .offset:         20
        .size:           4
        .value_kind:     by_value
      - .offset:         24
        .size:           4
        .value_kind:     by_value
      - .offset:         28
        .size:           4
        .value_kind:     by_value
      - .offset:         32
        .size:           4
        .value_kind:     by_value
      - .offset:         36
        .size:           4
        .value_kind:     by_value
      - .offset:         40
        .size:           12
        .value_kind:     by_value
      - .offset:         52
        .size:           12
        .value_kind:     by_value
      - .offset:         64
        .size:           12
        .value_kind:     by_value
    .group_segment_fixed_size: 0
    .kernarg_segment_align: 8
    .kernarg_segment_size: 76
    .language:       OpenCL C
    .language_version:
      - 2
      - 0
    .max_flat_workgroup_size: 256
    .name:           _ZL33flash_attn_stream_k_fixup_uniformILi256ELi8ELi2EEvPfPK15HIP_vector_typeIfLj2EEiiiiiiS1_IjLj3EES5_S5_
    .private_segment_fixed_size: 0
    .sgpr_count:     18
    .sgpr_spill_count: 0
    .symbol:         _ZL33flash_attn_stream_k_fixup_uniformILi256ELi8ELi2EEvPfPK15HIP_vector_typeIfLj2EEiiiiiiS1_IjLj3EES5_S5_.kd
    .uniform_work_group_size: 1
    .uses_dynamic_stack: false
    .vgpr_count:     11
    .vgpr_spill_count: 0
    .wavefront_size: 32
    .workgroup_processor_mode: 1
  - .args:
      - .address_space:  global
        .offset:         0
        .size:           8
        .value_kind:     global_buffer
      - .address_space:  global
        .offset:         8
        .size:           8
        .value_kind:     global_buffer
      - .offset:         16
        .size:           4
        .value_kind:     by_value
      - .offset:         20
        .size:           4
        .value_kind:     by_value
      - .offset:         24
        .size:           4
        .value_kind:     by_value
      - .offset:         28
        .size:           4
        .value_kind:     by_value
      - .offset:         32
        .size:           12
        .value_kind:     by_value
      - .offset:         44
        .size:           12
        .value_kind:     by_value
      - .offset:         56
        .size:           12
        .value_kind:     by_value
      - .offset:         68
        .size:           12
        .value_kind:     by_value
      - .offset:         80
        .size:           4
        .value_kind:     hidden_block_count_x
      - .offset:         84
        .size:           4
        .value_kind:     hidden_block_count_y
      - .offset:         88
        .size:           4
        .value_kind:     hidden_block_count_z
      - .offset:         92
        .size:           2
        .value_kind:     hidden_group_size_x
      - .offset:         94
        .size:           2
        .value_kind:     hidden_group_size_y
      - .offset:         96
        .size:           2
        .value_kind:     hidden_group_size_z
      - .offset:         98
        .size:           2
        .value_kind:     hidden_remainder_x
      - .offset:         100
        .size:           2
        .value_kind:     hidden_remainder_y
      - .offset:         102
        .size:           2
        .value_kind:     hidden_remainder_z
      - .offset:         120
        .size:           8
        .value_kind:     hidden_global_offset_x
      - .offset:         128
        .size:           8
        .value_kind:     hidden_global_offset_y
      - .offset:         136
        .size:           8
        .value_kind:     hidden_global_offset_z
      - .offset:         144
        .size:           2
        .value_kind:     hidden_grid_dims
    .group_segment_fixed_size: 0
    .kernarg_segment_align: 8
    .kernarg_segment_size: 336
    .language:       OpenCL C
    .language_version:
      - 2
      - 0
    .max_flat_workgroup_size: 256
    .name:           _ZL33flash_attn_stream_k_fixup_generalILi256ELi8ELi2EEvPfPK15HIP_vector_typeIfLj2EEiiiiS1_IjLj3EES5_S5_S5_
    .private_segment_fixed_size: 0
    .sgpr_count:     46
    .sgpr_spill_count: 0
    .symbol:         _ZL33flash_attn_stream_k_fixup_generalILi256ELi8ELi2EEvPfPK15HIP_vector_typeIfLj2EEiiiiS1_IjLj3EES5_S5_S5_.kd
    .uniform_work_group_size: 1
    .uses_dynamic_stack: false
    .vgpr_count:     9
    .vgpr_spill_count: 0
    .wavefront_size: 32
    .workgroup_processor_mode: 1
  - .args:
      - .address_space:  global
        .offset:         0
        .size:           8
        .value_kind:     global_buffer
      - .address_space:  global
        .offset:         8
        .size:           8
        .value_kind:     global_buffer
      - .address_space:  global
        .offset:         16
        .size:           8
        .value_kind:     global_buffer
      - .address_space:  global
        .offset:         24
        .size:           8
        .value_kind:     global_buffer
      - .address_space:  global
        .offset:         32
        .size:           8
        .value_kind:     global_buffer
      - .address_space:  global
        .offset:         40
        .size:           8
        .value_kind:     global_buffer
      - .address_space:  global
        .offset:         48
        .size:           8
        .value_kind:     global_buffer
      - .address_space:  global
        .offset:         56
        .size:           8
        .value_kind:     global_buffer
      - .offset:         64
        .size:           4
        .value_kind:     by_value
      - .offset:         68
        .size:           4
        .value_kind:     by_value
      - .offset:         72
        .size:           4
        .value_kind:     by_value
      - .offset:         76
        .size:           4
        .value_kind:     by_value
      - .offset:         80
        .size:           4
        .value_kind:     by_value
      - .offset:         84
        .size:           4
        .value_kind:     by_value
      - .offset:         88
        .size:           4
        .value_kind:     by_value
      - .offset:         92
        .size:           12
        .value_kind:     by_value
      - .offset:         104
        .size:           4
        .value_kind:     by_value
      - .offset:         108
        .size:           4
        .value_kind:     by_value
      - .offset:         112
        .size:           4
        .value_kind:     by_value
      - .offset:         116
        .size:           4
        .value_kind:     by_value
      - .offset:         120
        .size:           4
        .value_kind:     by_value
      - .offset:         124
        .size:           4
        .value_kind:     by_value
      - .offset:         128
        .size:           4
        .value_kind:     by_value
      - .offset:         132
        .size:           4
        .value_kind:     by_value
      - .offset:         136
        .size:           4
        .value_kind:     by_value
      - .offset:         140
        .size:           4
        .value_kind:     by_value
      - .offset:         144
        .size:           4
        .value_kind:     by_value
      - .offset:         152
        .size:           8
        .value_kind:     by_value
      - .offset:         160
        .size:           4
        .value_kind:     by_value
      - .offset:         164
        .size:           4
        .value_kind:     by_value
      - .offset:         168
        .size:           8
        .value_kind:     by_value
      - .offset:         176
        .size:           4
        .value_kind:     by_value
      - .offset:         180
        .size:           4
        .value_kind:     by_value
      - .offset:         184
        .size:           4
        .value_kind:     by_value
      - .offset:         188
        .size:           4
        .value_kind:     by_value
      - .offset:         192
        .size:           4
        .value_kind:     by_value
      - .offset:         200
        .size:           8
        .value_kind:     by_value
      - .offset:         208
        .size:           4
        .value_kind:     hidden_block_count_x
      - .offset:         212
        .size:           4
        .value_kind:     hidden_block_count_y
      - .offset:         216
        .size:           4
        .value_kind:     hidden_block_count_z
      - .offset:         220
        .size:           2
        .value_kind:     hidden_group_size_x
      - .offset:         222
        .size:           2
        .value_kind:     hidden_group_size_y
      - .offset:         224
        .size:           2
        .value_kind:     hidden_group_size_z
      - .offset:         226
        .size:           2
        .value_kind:     hidden_remainder_x
      - .offset:         228
        .size:           2
        .value_kind:     hidden_remainder_y
      - .offset:         230
        .size:           2
        .value_kind:     hidden_remainder_z
      - .offset:         248
        .size:           8
        .value_kind:     hidden_global_offset_x
      - .offset:         256
        .size:           8
        .value_kind:     hidden_global_offset_y
      - .offset:         264
        .size:           8
        .value_kind:     hidden_global_offset_z
      - .offset:         272
        .size:           2
        .value_kind:     hidden_grid_dims
    .group_segment_fixed_size: 21504
    .kernarg_segment_align: 8
    .kernarg_segment_size: 464
    .language:       OpenCL C
    .language_version:
      - 2
      - 0
    .max_flat_workgroup_size: 128
    .name:           _ZL15flash_attn_tileILi256ELi256ELi4ELi2ELb0EEvPKcS1_S1_S1_S1_PKiPfP15HIP_vector_typeIfLj2EEffffjfiS5_IjLj3EEiiiiiiiiiiiliiliiiiil
    .private_segment_fixed_size: 12
    .sgpr_count:     44
    .sgpr_spill_count: 0
    .symbol:         _ZL15flash_attn_tileILi256ELi256ELi4ELi2ELb0EEvPKcS1_S1_S1_S1_PKiPfP15HIP_vector_typeIfLj2EEffffjfiS5_IjLj3EEiiiiiiiiiiiliiliiiiil.kd
    .uniform_work_group_size: 1
    .uses_dynamic_stack: false
    .vgpr_count:     240
    .vgpr_spill_count: 2
    .wavefront_size: 32
    .workgroup_processor_mode: 1
  - .args:
      - .address_space:  global
        .offset:         0
        .size:           8
        .value_kind:     global_buffer
      - .address_space:  global
        .offset:         8
        .size:           8
        .value_kind:     global_buffer
      - .offset:         16
        .size:           4
        .value_kind:     by_value
      - .offset:         20
        .size:           4
        .value_kind:     by_value
      - .offset:         24
        .size:           4
        .value_kind:     by_value
      - .offset:         28
        .size:           4
        .value_kind:     by_value
      - .offset:         32
        .size:           4
        .value_kind:     by_value
      - .offset:         36
        .size:           4
        .value_kind:     by_value
      - .offset:         40
        .size:           12
        .value_kind:     by_value
      - .offset:         52
        .size:           12
        .value_kind:     by_value
      - .offset:         64
        .size:           12
        .value_kind:     by_value
    .group_segment_fixed_size: 0
    .kernarg_segment_align: 8
    .kernarg_segment_size: 76
    .language:       OpenCL C
    .language_version:
      - 2
      - 0
    .max_flat_workgroup_size: 256
    .name:           _ZL33flash_attn_stream_k_fixup_uniformILi256ELi4ELi2EEvPfPK15HIP_vector_typeIfLj2EEiiiiiiS1_IjLj3EES5_S5_
    .private_segment_fixed_size: 0
    .sgpr_count:     18
    .sgpr_spill_count: 0
    .symbol:         _ZL33flash_attn_stream_k_fixup_uniformILi256ELi4ELi2EEvPfPK15HIP_vector_typeIfLj2EEiiiiiiS1_IjLj3EES5_S5_.kd
    .uniform_work_group_size: 1
    .uses_dynamic_stack: false
    .vgpr_count:     11
    .vgpr_spill_count: 0
    .wavefront_size: 32
    .workgroup_processor_mode: 1
  - .args:
      - .address_space:  global
        .offset:         0
        .size:           8
        .value_kind:     global_buffer
      - .address_space:  global
        .offset:         8
        .size:           8
        .value_kind:     global_buffer
      - .offset:         16
        .size:           4
        .value_kind:     by_value
      - .offset:         20
        .size:           4
        .value_kind:     by_value
      - .offset:         24
        .size:           4
        .value_kind:     by_value
      - .offset:         28
        .size:           4
        .value_kind:     by_value
      - .offset:         32
        .size:           12
        .value_kind:     by_value
      - .offset:         44
        .size:           12
        .value_kind:     by_value
      - .offset:         56
        .size:           12
        .value_kind:     by_value
      - .offset:         68
        .size:           12
        .value_kind:     by_value
      - .offset:         80
        .size:           4
        .value_kind:     hidden_block_count_x
      - .offset:         84
        .size:           4
        .value_kind:     hidden_block_count_y
      - .offset:         88
        .size:           4
        .value_kind:     hidden_block_count_z
      - .offset:         92
        .size:           2
        .value_kind:     hidden_group_size_x
      - .offset:         94
        .size:           2
        .value_kind:     hidden_group_size_y
      - .offset:         96
        .size:           2
        .value_kind:     hidden_group_size_z
      - .offset:         98
        .size:           2
        .value_kind:     hidden_remainder_x
      - .offset:         100
        .size:           2
        .value_kind:     hidden_remainder_y
      - .offset:         102
        .size:           2
        .value_kind:     hidden_remainder_z
      - .offset:         120
        .size:           8
        .value_kind:     hidden_global_offset_x
      - .offset:         128
        .size:           8
        .value_kind:     hidden_global_offset_y
      - .offset:         136
        .size:           8
        .value_kind:     hidden_global_offset_z
      - .offset:         144
        .size:           2
        .value_kind:     hidden_grid_dims
    .group_segment_fixed_size: 0
    .kernarg_segment_align: 8
    .kernarg_segment_size: 336
    .language:       OpenCL C
    .language_version:
      - 2
      - 0
    .max_flat_workgroup_size: 256
    .name:           _ZL33flash_attn_stream_k_fixup_generalILi256ELi4ELi2EEvPfPK15HIP_vector_typeIfLj2EEiiiiS1_IjLj3EES5_S5_S5_
    .private_segment_fixed_size: 0
    .sgpr_count:     46
    .sgpr_spill_count: 0
    .symbol:         _ZL33flash_attn_stream_k_fixup_generalILi256ELi4ELi2EEvPfPK15HIP_vector_typeIfLj2EEiiiiS1_IjLj3EES5_S5_S5_.kd
    .uniform_work_group_size: 1
    .uses_dynamic_stack: false
    .vgpr_count:     9
    .vgpr_spill_count: 0
    .wavefront_size: 32
    .workgroup_processor_mode: 1
  - .args:
      - .address_space:  global
        .offset:         0
        .size:           8
        .value_kind:     global_buffer
      - .address_space:  global
        .offset:         8
        .size:           8
        .value_kind:     global_buffer
      - .address_space:  global
        .offset:         16
        .size:           8
        .value_kind:     global_buffer
      - .address_space:  global
        .offset:         24
        .size:           8
        .value_kind:     global_buffer
      - .address_space:  global
        .offset:         32
        .size:           8
        .value_kind:     global_buffer
      - .address_space:  global
        .offset:         40
        .size:           8
        .value_kind:     global_buffer
      - .address_space:  global
        .offset:         48
        .size:           8
        .value_kind:     global_buffer
      - .address_space:  global
        .offset:         56
        .size:           8
        .value_kind:     global_buffer
      - .offset:         64
        .size:           4
        .value_kind:     by_value
      - .offset:         68
        .size:           4
        .value_kind:     by_value
      - .offset:         72
        .size:           4
        .value_kind:     by_value
      - .offset:         76
        .size:           4
        .value_kind:     by_value
      - .offset:         80
        .size:           4
        .value_kind:     by_value
      - .offset:         84
        .size:           4
        .value_kind:     by_value
      - .offset:         88
        .size:           4
        .value_kind:     by_value
      - .offset:         92
        .size:           12
        .value_kind:     by_value
      - .offset:         104
        .size:           4
        .value_kind:     by_value
      - .offset:         108
        .size:           4
        .value_kind:     by_value
      - .offset:         112
        .size:           4
        .value_kind:     by_value
      - .offset:         116
        .size:           4
        .value_kind:     by_value
      - .offset:         120
        .size:           4
        .value_kind:     by_value
      - .offset:         124
        .size:           4
        .value_kind:     by_value
      - .offset:         128
        .size:           4
        .value_kind:     by_value
      - .offset:         132
        .size:           4
        .value_kind:     by_value
      - .offset:         136
        .size:           4
        .value_kind:     by_value
      - .offset:         140
        .size:           4
        .value_kind:     by_value
      - .offset:         144
        .size:           4
        .value_kind:     by_value
      - .offset:         152
        .size:           8
        .value_kind:     by_value
      - .offset:         160
        .size:           4
        .value_kind:     by_value
      - .offset:         164
        .size:           4
        .value_kind:     by_value
      - .offset:         168
        .size:           8
        .value_kind:     by_value
      - .offset:         176
        .size:           4
        .value_kind:     by_value
      - .offset:         180
        .size:           4
        .value_kind:     by_value
      - .offset:         184
        .size:           4
        .value_kind:     by_value
      - .offset:         188
        .size:           4
        .value_kind:     by_value
      - .offset:         192
        .size:           4
        .value_kind:     by_value
      - .offset:         200
        .size:           8
        .value_kind:     by_value
      - .offset:         208
        .size:           4
        .value_kind:     hidden_block_count_x
      - .offset:         212
        .size:           4
        .value_kind:     hidden_block_count_y
      - .offset:         216
        .size:           4
        .value_kind:     hidden_block_count_z
      - .offset:         220
        .size:           2
        .value_kind:     hidden_group_size_x
      - .offset:         222
        .size:           2
        .value_kind:     hidden_group_size_y
      - .offset:         224
        .size:           2
        .value_kind:     hidden_group_size_z
      - .offset:         226
        .size:           2
        .value_kind:     hidden_remainder_x
      - .offset:         228
        .size:           2
        .value_kind:     hidden_remainder_y
      - .offset:         230
        .size:           2
        .value_kind:     hidden_remainder_z
      - .offset:         248
        .size:           8
        .value_kind:     hidden_global_offset_x
      - .offset:         256
        .size:           8
        .value_kind:     hidden_global_offset_y
      - .offset:         264
        .size:           8
        .value_kind:     hidden_global_offset_z
      - .offset:         272
        .size:           2
        .value_kind:     hidden_grid_dims
    .group_segment_fixed_size: 19200
    .kernarg_segment_align: 8
    .kernarg_segment_size: 464
    .language:       OpenCL C
    .language_version:
      - 2
      - 0
    .max_flat_workgroup_size: 128
    .name:           _ZL15flash_attn_tileILi256ELi256ELi2ELi2ELb0EEvPKcS1_S1_S1_S1_PKiPfP15HIP_vector_typeIfLj2EEffffjfiS5_IjLj3EEiiiiiiiiiiiliiliiiiil
    .private_segment_fixed_size: 0
    .sgpr_count:     44
    .sgpr_spill_count: 0
    .symbol:         _ZL15flash_attn_tileILi256ELi256ELi2ELi2ELb0EEvPKcS1_S1_S1_S1_PKiPfP15HIP_vector_typeIfLj2EEffffjfiS5_IjLj3EEiiiiiiiiiiiliiliiiiil.kd
    .uniform_work_group_size: 1
    .uses_dynamic_stack: false
    .vgpr_count:     239
    .vgpr_spill_count: 0
    .wavefront_size: 32
    .workgroup_processor_mode: 1
  - .args:
      - .address_space:  global
        .offset:         0
        .size:           8
        .value_kind:     global_buffer
      - .address_space:  global
        .offset:         8
        .size:           8
        .value_kind:     global_buffer
      - .offset:         16
        .size:           4
        .value_kind:     by_value
      - .offset:         20
        .size:           4
        .value_kind:     by_value
      - .offset:         24
        .size:           4
        .value_kind:     by_value
      - .offset:         28
        .size:           4
        .value_kind:     by_value
      - .offset:         32
        .size:           4
        .value_kind:     by_value
      - .offset:         36
        .size:           4
        .value_kind:     by_value
      - .offset:         40
        .size:           12
        .value_kind:     by_value
      - .offset:         52
        .size:           12
        .value_kind:     by_value
      - .offset:         64
        .size:           12
        .value_kind:     by_value
    .group_segment_fixed_size: 0
    .kernarg_segment_align: 8
    .kernarg_segment_size: 76
    .language:       OpenCL C
    .language_version:
      - 2
      - 0
    .max_flat_workgroup_size: 256
    .name:           _ZL33flash_attn_stream_k_fixup_uniformILi256ELi2ELi2EEvPfPK15HIP_vector_typeIfLj2EEiiiiiiS1_IjLj3EES5_S5_
    .private_segment_fixed_size: 0
    .sgpr_count:     18
    .sgpr_spill_count: 0
    .symbol:         _ZL33flash_attn_stream_k_fixup_uniformILi256ELi2ELi2EEvPfPK15HIP_vector_typeIfLj2EEiiiiiiS1_IjLj3EES5_S5_.kd
    .uniform_work_group_size: 1
    .uses_dynamic_stack: false
    .vgpr_count:     11
    .vgpr_spill_count: 0
    .wavefront_size: 32
    .workgroup_processor_mode: 1
  - .args:
      - .address_space:  global
        .offset:         0
        .size:           8
        .value_kind:     global_buffer
      - .address_space:  global
        .offset:         8
        .size:           8
        .value_kind:     global_buffer
      - .offset:         16
        .size:           4
        .value_kind:     by_value
      - .offset:         20
        .size:           4
        .value_kind:     by_value
      - .offset:         24
        .size:           4
        .value_kind:     by_value
      - .offset:         28
        .size:           4
        .value_kind:     by_value
      - .offset:         32
        .size:           12
        .value_kind:     by_value
      - .offset:         44
        .size:           12
        .value_kind:     by_value
      - .offset:         56
        .size:           12
        .value_kind:     by_value
      - .offset:         68
        .size:           12
        .value_kind:     by_value
      - .offset:         80
        .size:           4
        .value_kind:     hidden_block_count_x
      - .offset:         84
        .size:           4
        .value_kind:     hidden_block_count_y
      - .offset:         88
        .size:           4
        .value_kind:     hidden_block_count_z
      - .offset:         92
        .size:           2
        .value_kind:     hidden_group_size_x
      - .offset:         94
        .size:           2
        .value_kind:     hidden_group_size_y
      - .offset:         96
        .size:           2
        .value_kind:     hidden_group_size_z
      - .offset:         98
        .size:           2
        .value_kind:     hidden_remainder_x
      - .offset:         100
        .size:           2
        .value_kind:     hidden_remainder_y
      - .offset:         102
        .size:           2
        .value_kind:     hidden_remainder_z
      - .offset:         120
        .size:           8
        .value_kind:     hidden_global_offset_x
      - .offset:         128
        .size:           8
        .value_kind:     hidden_global_offset_y
      - .offset:         136
        .size:           8
        .value_kind:     hidden_global_offset_z
      - .offset:         144
        .size:           2
        .value_kind:     hidden_grid_dims
    .group_segment_fixed_size: 0
    .kernarg_segment_align: 8
    .kernarg_segment_size: 336
    .language:       OpenCL C
    .language_version:
      - 2
      - 0
    .max_flat_workgroup_size: 256
    .name:           _ZL33flash_attn_stream_k_fixup_generalILi256ELi2ELi2EEvPfPK15HIP_vector_typeIfLj2EEiiiiS1_IjLj3EES5_S5_S5_
    .private_segment_fixed_size: 0
    .sgpr_count:     46
    .sgpr_spill_count: 0
    .symbol:         _ZL33flash_attn_stream_k_fixup_generalILi256ELi2ELi2EEvPfPK15HIP_vector_typeIfLj2EEiiiiS1_IjLj3EES5_S5_S5_.kd
    .uniform_work_group_size: 1
    .uses_dynamic_stack: false
    .vgpr_count:     9
    .vgpr_spill_count: 0
    .wavefront_size: 32
    .workgroup_processor_mode: 1
  - .args:
      - .address_space:  global
        .offset:         0
        .size:           8
        .value_kind:     global_buffer
      - .address_space:  global
        .offset:         8
        .size:           8
        .value_kind:     global_buffer
      - .address_space:  global
        .offset:         16
        .size:           8
        .value_kind:     global_buffer
      - .address_space:  global
        .offset:         24
        .size:           8
        .value_kind:     global_buffer
      - .address_space:  global
        .offset:         32
        .size:           8
        .value_kind:     global_buffer
      - .address_space:  global
        .offset:         40
        .size:           8
        .value_kind:     global_buffer
      - .address_space:  global
        .offset:         48
        .size:           8
        .value_kind:     global_buffer
      - .address_space:  global
        .offset:         56
        .size:           8
        .value_kind:     global_buffer
      - .offset:         64
        .size:           4
        .value_kind:     by_value
      - .offset:         68
        .size:           4
        .value_kind:     by_value
      - .offset:         72
        .size:           4
        .value_kind:     by_value
      - .offset:         76
        .size:           4
        .value_kind:     by_value
      - .offset:         80
        .size:           4
        .value_kind:     by_value
      - .offset:         84
        .size:           4
        .value_kind:     by_value
      - .offset:         88
        .size:           4
        .value_kind:     by_value
      - .offset:         92
        .size:           12
        .value_kind:     by_value
      - .offset:         104
        .size:           4
        .value_kind:     by_value
      - .offset:         108
        .size:           4
        .value_kind:     by_value
      - .offset:         112
        .size:           4
        .value_kind:     by_value
      - .offset:         116
        .size:           4
        .value_kind:     by_value
      - .offset:         120
        .size:           4
        .value_kind:     by_value
      - .offset:         124
        .size:           4
        .value_kind:     by_value
      - .offset:         128
        .size:           4
        .value_kind:     by_value
      - .offset:         132
        .size:           4
        .value_kind:     by_value
      - .offset:         136
        .size:           4
        .value_kind:     by_value
      - .offset:         140
        .size:           4
        .value_kind:     by_value
      - .offset:         144
        .size:           4
        .value_kind:     by_value
      - .offset:         152
        .size:           8
        .value_kind:     by_value
      - .offset:         160
        .size:           4
        .value_kind:     by_value
      - .offset:         164
        .size:           4
        .value_kind:     by_value
      - .offset:         168
        .size:           8
        .value_kind:     by_value
      - .offset:         176
        .size:           4
        .value_kind:     by_value
      - .offset:         180
        .size:           4
        .value_kind:     by_value
      - .offset:         184
        .size:           4
        .value_kind:     by_value
      - .offset:         188
        .size:           4
        .value_kind:     by_value
      - .offset:         192
        .size:           4
        .value_kind:     by_value
      - .offset:         200
        .size:           8
        .value_kind:     by_value
      - .offset:         208
        .size:           4
        .value_kind:     hidden_block_count_x
      - .offset:         212
        .size:           4
        .value_kind:     hidden_block_count_y
      - .offset:         216
        .size:           4
        .value_kind:     hidden_block_count_z
      - .offset:         220
        .size:           2
        .value_kind:     hidden_group_size_x
      - .offset:         222
        .size:           2
        .value_kind:     hidden_group_size_y
      - .offset:         224
        .size:           2
        .value_kind:     hidden_group_size_z
      - .offset:         226
        .size:           2
        .value_kind:     hidden_remainder_x
      - .offset:         228
        .size:           2
        .value_kind:     hidden_remainder_y
      - .offset:         230
        .size:           2
        .value_kind:     hidden_remainder_z
      - .offset:         248
        .size:           8
        .value_kind:     hidden_global_offset_x
      - .offset:         256
        .size:           8
        .value_kind:     hidden_global_offset_y
      - .offset:         264
        .size:           8
        .value_kind:     hidden_global_offset_z
      - .offset:         272
        .size:           2
        .value_kind:     hidden_grid_dims
    .group_segment_fixed_size: 5760
    .kernarg_segment_align: 8
    .kernarg_segment_size: 464
    .language:       OpenCL C
    .language_version:
      - 2
      - 0
    .max_flat_workgroup_size: 64
    .name:           _ZL15flash_attn_tileILi256ELi256ELi1ELi2ELb0EEvPKcS1_S1_S1_S1_PKiPfP15HIP_vector_typeIfLj2EEffffjfiS5_IjLj3EEiiiiiiiiiiiliiliiiiil
    .private_segment_fixed_size: 0
    .sgpr_count:     44
    .sgpr_spill_count: 0
    .symbol:         _ZL15flash_attn_tileILi256ELi256ELi1ELi2ELb0EEvPKcS1_S1_S1_S1_PKiPfP15HIP_vector_typeIfLj2EEffffjfiS5_IjLj3EEiiiiiiiiiiiliiliiiiil.kd
    .uniform_work_group_size: 1
    .uses_dynamic_stack: false
    .vgpr_count:     115
    .vgpr_spill_count: 0
    .wavefront_size: 32
    .workgroup_processor_mode: 1
  - .args:
      - .address_space:  global
        .offset:         0
        .size:           8
        .value_kind:     global_buffer
      - .address_space:  global
        .offset:         8
        .size:           8
        .value_kind:     global_buffer
      - .offset:         16
        .size:           4
        .value_kind:     by_value
      - .offset:         20
        .size:           4
        .value_kind:     by_value
      - .offset:         24
        .size:           4
        .value_kind:     by_value
      - .offset:         28
        .size:           4
        .value_kind:     by_value
      - .offset:         32
        .size:           4
        .value_kind:     by_value
      - .offset:         36
        .size:           4
        .value_kind:     by_value
      - .offset:         40
        .size:           12
        .value_kind:     by_value
      - .offset:         52
        .size:           12
        .value_kind:     by_value
      - .offset:         64
        .size:           12
        .value_kind:     by_value
    .group_segment_fixed_size: 0
    .kernarg_segment_align: 8
    .kernarg_segment_size: 76
    .language:       OpenCL C
    .language_version:
      - 2
      - 0
    .max_flat_workgroup_size: 256
    .name:           _ZL33flash_attn_stream_k_fixup_uniformILi256ELi1ELi2EEvPfPK15HIP_vector_typeIfLj2EEiiiiiiS1_IjLj3EES5_S5_
    .private_segment_fixed_size: 0
    .sgpr_count:     22
    .sgpr_spill_count: 0
    .symbol:         _ZL33flash_attn_stream_k_fixup_uniformILi256ELi1ELi2EEvPfPK15HIP_vector_typeIfLj2EEiiiiiiS1_IjLj3EES5_S5_.kd
    .uniform_work_group_size: 1
    .uses_dynamic_stack: false
    .vgpr_count:     11
    .vgpr_spill_count: 0
    .wavefront_size: 32
    .workgroup_processor_mode: 1
  - .args:
      - .address_space:  global
        .offset:         0
        .size:           8
        .value_kind:     global_buffer
      - .address_space:  global
        .offset:         8
        .size:           8
        .value_kind:     global_buffer
      - .offset:         16
        .size:           4
        .value_kind:     by_value
      - .offset:         20
        .size:           4
        .value_kind:     by_value
      - .offset:         24
        .size:           4
        .value_kind:     by_value
      - .offset:         28
        .size:           4
        .value_kind:     by_value
      - .offset:         32
        .size:           12
        .value_kind:     by_value
      - .offset:         44
        .size:           12
        .value_kind:     by_value
      - .offset:         56
        .size:           12
        .value_kind:     by_value
      - .offset:         68
        .size:           12
        .value_kind:     by_value
      - .offset:         80
        .size:           4
        .value_kind:     hidden_block_count_x
      - .offset:         84
        .size:           4
        .value_kind:     hidden_block_count_y
      - .offset:         88
        .size:           4
        .value_kind:     hidden_block_count_z
      - .offset:         92
        .size:           2
        .value_kind:     hidden_group_size_x
      - .offset:         94
        .size:           2
        .value_kind:     hidden_group_size_y
      - .offset:         96
        .size:           2
        .value_kind:     hidden_group_size_z
      - .offset:         98
        .size:           2
        .value_kind:     hidden_remainder_x
      - .offset:         100
        .size:           2
        .value_kind:     hidden_remainder_y
      - .offset:         102
        .size:           2
        .value_kind:     hidden_remainder_z
      - .offset:         120
        .size:           8
        .value_kind:     hidden_global_offset_x
      - .offset:         128
        .size:           8
        .value_kind:     hidden_global_offset_y
      - .offset:         136
        .size:           8
        .value_kind:     hidden_global_offset_z
      - .offset:         144
        .size:           2
        .value_kind:     hidden_grid_dims
    .group_segment_fixed_size: 0
    .kernarg_segment_align: 8
    .kernarg_segment_size: 336
    .language:       OpenCL C
    .language_version:
      - 2
      - 0
    .max_flat_workgroup_size: 256
    .name:           _ZL33flash_attn_stream_k_fixup_generalILi256ELi1ELi2EEvPfPK15HIP_vector_typeIfLj2EEiiiiS1_IjLj3EES5_S5_S5_
    .private_segment_fixed_size: 0
    .sgpr_count:     46
    .sgpr_spill_count: 0
    .symbol:         _ZL33flash_attn_stream_k_fixup_generalILi256ELi1ELi2EEvPfPK15HIP_vector_typeIfLj2EEiiiiS1_IjLj3EES5_S5_S5_.kd
    .uniform_work_group_size: 1
    .uses_dynamic_stack: false
    .vgpr_count:     9
    .vgpr_spill_count: 0
    .wavefront_size: 32
    .workgroup_processor_mode: 1
  - .args:
      - .address_space:  global
        .offset:         0
        .size:           8
        .value_kind:     global_buffer
      - .address_space:  global
        .offset:         8
        .size:           8
        .value_kind:     global_buffer
      - .address_space:  global
        .offset:         16
        .size:           8
        .value_kind:     global_buffer
      - .address_space:  global
        .offset:         24
        .size:           8
        .value_kind:     global_buffer
      - .address_space:  global
        .offset:         32
        .size:           8
        .value_kind:     global_buffer
      - .address_space:  global
        .offset:         40
        .size:           8
        .value_kind:     global_buffer
      - .address_space:  global
        .offset:         48
        .size:           8
        .value_kind:     global_buffer
      - .address_space:  global
        .offset:         56
        .size:           8
        .value_kind:     global_buffer
      - .offset:         64
        .size:           4
        .value_kind:     by_value
      - .offset:         68
        .size:           4
        .value_kind:     by_value
      - .offset:         72
        .size:           4
        .value_kind:     by_value
      - .offset:         76
        .size:           4
        .value_kind:     by_value
      - .offset:         80
        .size:           4
        .value_kind:     by_value
      - .offset:         84
        .size:           4
        .value_kind:     by_value
      - .offset:         88
        .size:           4
        .value_kind:     by_value
      - .offset:         92
        .size:           12
        .value_kind:     by_value
      - .offset:         104
        .size:           4
        .value_kind:     by_value
      - .offset:         108
        .size:           4
        .value_kind:     by_value
      - .offset:         112
        .size:           4
        .value_kind:     by_value
      - .offset:         116
        .size:           4
        .value_kind:     by_value
      - .offset:         120
        .size:           4
        .value_kind:     by_value
      - .offset:         124
        .size:           4
        .value_kind:     by_value
      - .offset:         128
        .size:           4
        .value_kind:     by_value
      - .offset:         132
        .size:           4
        .value_kind:     by_value
      - .offset:         136
        .size:           4
        .value_kind:     by_value
      - .offset:         140
        .size:           4
        .value_kind:     by_value
      - .offset:         144
        .size:           4
        .value_kind:     by_value
      - .offset:         152
        .size:           8
        .value_kind:     by_value
      - .offset:         160
        .size:           4
        .value_kind:     by_value
      - .offset:         164
        .size:           4
        .value_kind:     by_value
      - .offset:         168
        .size:           8
        .value_kind:     by_value
      - .offset:         176
        .size:           4
        .value_kind:     by_value
      - .offset:         180
        .size:           4
        .value_kind:     by_value
      - .offset:         184
        .size:           4
        .value_kind:     by_value
      - .offset:         188
        .size:           4
        .value_kind:     by_value
      - .offset:         192
        .size:           4
        .value_kind:     by_value
      - .offset:         200
        .size:           8
        .value_kind:     by_value
      - .offset:         208
        .size:           4
        .value_kind:     hidden_block_count_x
      - .offset:         212
        .size:           4
        .value_kind:     hidden_block_count_y
      - .offset:         216
        .size:           4
        .value_kind:     hidden_block_count_z
      - .offset:         220
        .size:           2
        .value_kind:     hidden_group_size_x
      - .offset:         222
        .size:           2
        .value_kind:     hidden_group_size_y
      - .offset:         224
        .size:           2
        .value_kind:     hidden_group_size_z
      - .offset:         226
        .size:           2
        .value_kind:     hidden_remainder_x
      - .offset:         228
        .size:           2
        .value_kind:     hidden_remainder_y
      - .offset:         230
        .size:           2
        .value_kind:     hidden_remainder_z
      - .offset:         248
        .size:           8
        .value_kind:     hidden_global_offset_x
      - .offset:         256
        .size:           8
        .value_kind:     hidden_global_offset_y
      - .offset:         264
        .size:           8
        .value_kind:     hidden_global_offset_z
      - .offset:         272
        .size:           2
        .value_kind:     hidden_grid_dims
    .group_segment_fixed_size: 37888
    .kernarg_segment_align: 8
    .kernarg_segment_size: 464
    .language:       OpenCL C
    .language_version:
      - 2
      - 0
    .max_flat_workgroup_size: 256
    .name:           _ZL15flash_attn_tileILi256ELi256ELi32ELi1ELb0EEvPKcS1_S1_S1_S1_PKiPfP15HIP_vector_typeIfLj2EEffffjfiS5_IjLj3EEiiiiiiiiiiiliiliiiiil
    .private_segment_fixed_size: 32
    .sgpr_count:     50
    .sgpr_spill_count: 0
    .symbol:         _ZL15flash_attn_tileILi256ELi256ELi32ELi1ELb0EEvPKcS1_S1_S1_S1_PKiPfP15HIP_vector_typeIfLj2EEffffjfiS5_IjLj3EEiiiiiiiiiiiliiliiiiil.kd
    .uniform_work_group_size: 1
    .uses_dynamic_stack: false
    .vgpr_count:     197
    .vgpr_spill_count: 0
    .wavefront_size: 32
    .workgroup_processor_mode: 1
  - .args:
      - .actual_access:  read_only
        .address_space:  global
        .offset:         0
        .size:           8
        .value_kind:     global_buffer
      - .actual_access:  write_only
        .address_space:  global
        .offset:         8
        .size:           8
        .value_kind:     global_buffer
      - .offset:         16
        .size:           4
        .value_kind:     by_value
      - .offset:         20
        .size:           4
        .value_kind:     by_value
      - .offset:         24
        .size:           4
        .value_kind:     by_value
      - .offset:         32
        .size:           4
        .value_kind:     hidden_block_count_x
      - .offset:         36
        .size:           4
        .value_kind:     hidden_block_count_y
      - .offset:         40
        .size:           4
        .value_kind:     hidden_block_count_z
      - .offset:         44
        .size:           2
        .value_kind:     hidden_group_size_x
      - .offset:         46
        .size:           2
        .value_kind:     hidden_group_size_y
      - .offset:         48
        .size:           2
        .value_kind:     hidden_group_size_z
      - .offset:         50
        .size:           2
        .value_kind:     hidden_remainder_x
      - .offset:         52
        .size:           2
        .value_kind:     hidden_remainder_y
      - .offset:         54
        .size:           2
        .value_kind:     hidden_remainder_z
      - .offset:         72
        .size:           8
        .value_kind:     hidden_global_offset_x
      - .offset:         80
        .size:           8
        .value_kind:     hidden_global_offset_y
      - .offset:         88
        .size:           8
        .value_kind:     hidden_global_offset_z
      - .offset:         96
        .size:           2
        .value_kind:     hidden_grid_dims
    .group_segment_fixed_size: 128
    .kernarg_segment_align: 8
    .kernarg_segment_size: 288
    .language:       OpenCL C
    .language_version:
      - 2
      - 0
    .max_flat_workgroup_size: 128
    .name:           _ZL25flash_attn_mask_to_KV_maxILi32EEvPK7__half2Piiii
    .private_segment_fixed_size: 0
    .sgpr_count:     76
    .sgpr_spill_count: 0
    .symbol:         _ZL25flash_attn_mask_to_KV_maxILi32EEvPK7__half2Piiii.kd
    .uniform_work_group_size: 1
    .uses_dynamic_stack: false
    .vgpr_count:     9
    .vgpr_spill_count: 0
    .wavefront_size: 32
    .workgroup_processor_mode: 1
  - .args:
      - .address_space:  global
        .offset:         0
        .size:           8
        .value_kind:     global_buffer
      - .address_space:  global
        .offset:         8
        .size:           8
        .value_kind:     global_buffer
      - .offset:         16
        .size:           4
        .value_kind:     by_value
      - .offset:         20
        .size:           4
        .value_kind:     by_value
      - .offset:         24
        .size:           4
        .value_kind:     by_value
      - .offset:         28
        .size:           4
        .value_kind:     by_value
      - .offset:         32
        .size:           4
        .value_kind:     by_value
      - .offset:         36
        .size:           4
        .value_kind:     by_value
      - .offset:         40
        .size:           12
        .value_kind:     by_value
      - .offset:         52
        .size:           12
        .value_kind:     by_value
      - .offset:         64
        .size:           12
        .value_kind:     by_value
    .group_segment_fixed_size: 0
    .kernarg_segment_align: 8
    .kernarg_segment_size: 76
    .language:       OpenCL C
    .language_version:
      - 2
      - 0
    .max_flat_workgroup_size: 256
    .name:           _ZL33flash_attn_stream_k_fixup_uniformILi256ELi32ELi1EEvPfPK15HIP_vector_typeIfLj2EEiiiiiiS1_IjLj3EES5_S5_
    .private_segment_fixed_size: 0
    .sgpr_count:     18
    .sgpr_spill_count: 0
    .symbol:         _ZL33flash_attn_stream_k_fixup_uniformILi256ELi32ELi1EEvPfPK15HIP_vector_typeIfLj2EEiiiiiiS1_IjLj3EES5_S5_.kd
    .uniform_work_group_size: 1
    .uses_dynamic_stack: false
    .vgpr_count:     11
    .vgpr_spill_count: 0
    .wavefront_size: 32
    .workgroup_processor_mode: 1
  - .args:
      - .address_space:  global
        .offset:         0
        .size:           8
        .value_kind:     global_buffer
      - .address_space:  global
        .offset:         8
        .size:           8
        .value_kind:     global_buffer
      - .offset:         16
        .size:           4
        .value_kind:     by_value
      - .offset:         20
        .size:           4
        .value_kind:     by_value
      - .offset:         24
        .size:           4
        .value_kind:     by_value
      - .offset:         28
        .size:           4
        .value_kind:     by_value
      - .offset:         32
        .size:           12
        .value_kind:     by_value
      - .offset:         44
        .size:           12
        .value_kind:     by_value
      - .offset:         56
        .size:           12
        .value_kind:     by_value
      - .offset:         68
        .size:           12
        .value_kind:     by_value
      - .offset:         80
        .size:           4
        .value_kind:     hidden_block_count_x
      - .offset:         84
        .size:           4
        .value_kind:     hidden_block_count_y
      - .offset:         88
        .size:           4
        .value_kind:     hidden_block_count_z
      - .offset:         92
        .size:           2
        .value_kind:     hidden_group_size_x
      - .offset:         94
        .size:           2
        .value_kind:     hidden_group_size_y
      - .offset:         96
        .size:           2
        .value_kind:     hidden_group_size_z
      - .offset:         98
        .size:           2
        .value_kind:     hidden_remainder_x
      - .offset:         100
        .size:           2
        .value_kind:     hidden_remainder_y
      - .offset:         102
        .size:           2
        .value_kind:     hidden_remainder_z
      - .offset:         120
        .size:           8
        .value_kind:     hidden_global_offset_x
      - .offset:         128
        .size:           8
        .value_kind:     hidden_global_offset_y
      - .offset:         136
        .size:           8
        .value_kind:     hidden_global_offset_z
      - .offset:         144
        .size:           2
        .value_kind:     hidden_grid_dims
    .group_segment_fixed_size: 0
    .kernarg_segment_align: 8
    .kernarg_segment_size: 336
    .language:       OpenCL C
    .language_version:
      - 2
      - 0
    .max_flat_workgroup_size: 256
    .name:           _ZL33flash_attn_stream_k_fixup_generalILi256ELi32ELi1EEvPfPK15HIP_vector_typeIfLj2EEiiiiS1_IjLj3EES5_S5_S5_
    .private_segment_fixed_size: 0
    .sgpr_count:     46
    .sgpr_spill_count: 0
    .symbol:         _ZL33flash_attn_stream_k_fixup_generalILi256ELi32ELi1EEvPfPK15HIP_vector_typeIfLj2EEiiiiS1_IjLj3EES5_S5_S5_.kd
    .uniform_work_group_size: 1
    .uses_dynamic_stack: false
    .vgpr_count:     9
    .vgpr_spill_count: 0
    .wavefront_size: 32
    .workgroup_processor_mode: 1
  - .args:
      - .address_space:  global
        .offset:         0
        .size:           8
        .value_kind:     global_buffer
      - .address_space:  global
        .offset:         8
        .size:           8
        .value_kind:     global_buffer
      - .address_space:  global
        .offset:         16
        .size:           8
        .value_kind:     global_buffer
      - .address_space:  global
        .offset:         24
        .size:           8
        .value_kind:     global_buffer
      - .address_space:  global
        .offset:         32
        .size:           8
        .value_kind:     global_buffer
      - .address_space:  global
        .offset:         40
        .size:           8
        .value_kind:     global_buffer
      - .address_space:  global
        .offset:         48
        .size:           8
        .value_kind:     global_buffer
      - .address_space:  global
        .offset:         56
        .size:           8
        .value_kind:     global_buffer
      - .offset:         64
        .size:           4
        .value_kind:     by_value
      - .offset:         68
        .size:           4
        .value_kind:     by_value
      - .offset:         72
        .size:           4
        .value_kind:     by_value
      - .offset:         76
        .size:           4
        .value_kind:     by_value
      - .offset:         80
        .size:           4
        .value_kind:     by_value
      - .offset:         84
        .size:           4
        .value_kind:     by_value
      - .offset:         88
        .size:           4
        .value_kind:     by_value
      - .offset:         92
        .size:           12
        .value_kind:     by_value
      - .offset:         104
        .size:           4
        .value_kind:     by_value
      - .offset:         108
        .size:           4
        .value_kind:     by_value
      - .offset:         112
        .size:           4
        .value_kind:     by_value
      - .offset:         116
        .size:           4
        .value_kind:     by_value
      - .offset:         120
        .size:           4
        .value_kind:     by_value
      - .offset:         124
        .size:           4
        .value_kind:     by_value
      - .offset:         128
        .size:           4
        .value_kind:     by_value
      - .offset:         132
        .size:           4
        .value_kind:     by_value
      - .offset:         136
        .size:           4
        .value_kind:     by_value
      - .offset:         140
        .size:           4
        .value_kind:     by_value
      - .offset:         144
        .size:           4
        .value_kind:     by_value
      - .offset:         152
        .size:           8
        .value_kind:     by_value
      - .offset:         160
        .size:           4
        .value_kind:     by_value
      - .offset:         164
        .size:           4
        .value_kind:     by_value
      - .offset:         168
        .size:           8
        .value_kind:     by_value
      - .offset:         176
        .size:           4
        .value_kind:     by_value
      - .offset:         180
        .size:           4
        .value_kind:     by_value
      - .offset:         184
        .size:           4
        .value_kind:     by_value
      - .offset:         188
        .size:           4
        .value_kind:     by_value
      - .offset:         192
        .size:           4
        .value_kind:     by_value
      - .offset:         200
        .size:           8
        .value_kind:     by_value
      - .offset:         208
        .size:           4
        .value_kind:     hidden_block_count_x
      - .offset:         212
        .size:           4
        .value_kind:     hidden_block_count_y
      - .offset:         216
        .size:           4
        .value_kind:     hidden_block_count_z
      - .offset:         220
        .size:           2
        .value_kind:     hidden_group_size_x
      - .offset:         222
        .size:           2
        .value_kind:     hidden_group_size_y
      - .offset:         224
        .size:           2
        .value_kind:     hidden_group_size_z
      - .offset:         226
        .size:           2
        .value_kind:     hidden_remainder_x
      - .offset:         228
        .size:           2
        .value_kind:     hidden_remainder_y
      - .offset:         230
        .size:           2
        .value_kind:     hidden_remainder_z
      - .offset:         248
        .size:           8
        .value_kind:     hidden_global_offset_x
      - .offset:         256
        .size:           8
        .value_kind:     hidden_global_offset_y
      - .offset:         264
        .size:           8
        .value_kind:     hidden_global_offset_z
      - .offset:         272
        .size:           2
        .value_kind:     hidden_grid_dims
    .group_segment_fixed_size: 26112
    .kernarg_segment_align: 8
    .kernarg_segment_size: 464
    .language:       OpenCL C
    .language_version:
      - 2
      - 0
    .max_flat_workgroup_size: 256
    .name:           _ZL15flash_attn_tileILi256ELi256ELi16ELi1ELb0EEvPKcS1_S1_S1_S1_PKiPfP15HIP_vector_typeIfLj2EEffffjfiS5_IjLj3EEiiiiiiiiiiiliiliiiiil
    .private_segment_fixed_size: 32
    .sgpr_count:     49
    .sgpr_spill_count: 0
    .symbol:         _ZL15flash_attn_tileILi256ELi256ELi16ELi1ELb0EEvPKcS1_S1_S1_S1_PKiPfP15HIP_vector_typeIfLj2EEffffjfiS5_IjLj3EEiiiiiiiiiiiliiliiiiil.kd
    .uniform_work_group_size: 1
    .uses_dynamic_stack: false
    .vgpr_count:     229
    .vgpr_spill_count: 0
    .wavefront_size: 32
    .workgroup_processor_mode: 1
  - .args:
      - .address_space:  global
        .offset:         0
        .size:           8
        .value_kind:     global_buffer
      - .address_space:  global
        .offset:         8
        .size:           8
        .value_kind:     global_buffer
      - .offset:         16
        .size:           4
        .value_kind:     by_value
      - .offset:         20
        .size:           4
        .value_kind:     by_value
      - .offset:         24
        .size:           4
        .value_kind:     by_value
      - .offset:         28
        .size:           4
        .value_kind:     by_value
      - .offset:         32
        .size:           4
        .value_kind:     by_value
      - .offset:         36
        .size:           4
        .value_kind:     by_value
      - .offset:         40
        .size:           12
        .value_kind:     by_value
      - .offset:         52
        .size:           12
        .value_kind:     by_value
      - .offset:         64
        .size:           12
        .value_kind:     by_value
    .group_segment_fixed_size: 0
    .kernarg_segment_align: 8
    .kernarg_segment_size: 76
    .language:       OpenCL C
    .language_version:
      - 2
      - 0
    .max_flat_workgroup_size: 256
    .name:           _ZL33flash_attn_stream_k_fixup_uniformILi256ELi16ELi1EEvPfPK15HIP_vector_typeIfLj2EEiiiiiiS1_IjLj3EES5_S5_
    .private_segment_fixed_size: 0
    .sgpr_count:     18
    .sgpr_spill_count: 0
    .symbol:         _ZL33flash_attn_stream_k_fixup_uniformILi256ELi16ELi1EEvPfPK15HIP_vector_typeIfLj2EEiiiiiiS1_IjLj3EES5_S5_.kd
    .uniform_work_group_size: 1
    .uses_dynamic_stack: false
    .vgpr_count:     11
    .vgpr_spill_count: 0
    .wavefront_size: 32
    .workgroup_processor_mode: 1
  - .args:
      - .address_space:  global
        .offset:         0
        .size:           8
        .value_kind:     global_buffer
      - .address_space:  global
        .offset:         8
        .size:           8
        .value_kind:     global_buffer
      - .offset:         16
        .size:           4
        .value_kind:     by_value
      - .offset:         20
        .size:           4
        .value_kind:     by_value
      - .offset:         24
        .size:           4
        .value_kind:     by_value
      - .offset:         28
        .size:           4
        .value_kind:     by_value
      - .offset:         32
        .size:           12
        .value_kind:     by_value
      - .offset:         44
        .size:           12
        .value_kind:     by_value
      - .offset:         56
        .size:           12
        .value_kind:     by_value
      - .offset:         68
        .size:           12
        .value_kind:     by_value
      - .offset:         80
        .size:           4
        .value_kind:     hidden_block_count_x
      - .offset:         84
        .size:           4
        .value_kind:     hidden_block_count_y
      - .offset:         88
        .size:           4
        .value_kind:     hidden_block_count_z
      - .offset:         92
        .size:           2
        .value_kind:     hidden_group_size_x
      - .offset:         94
        .size:           2
        .value_kind:     hidden_group_size_y
      - .offset:         96
        .size:           2
        .value_kind:     hidden_group_size_z
      - .offset:         98
        .size:           2
        .value_kind:     hidden_remainder_x
      - .offset:         100
        .size:           2
        .value_kind:     hidden_remainder_y
      - .offset:         102
        .size:           2
        .value_kind:     hidden_remainder_z
      - .offset:         120
        .size:           8
        .value_kind:     hidden_global_offset_x
      - .offset:         128
        .size:           8
        .value_kind:     hidden_global_offset_y
      - .offset:         136
        .size:           8
        .value_kind:     hidden_global_offset_z
      - .offset:         144
        .size:           2
        .value_kind:     hidden_grid_dims
    .group_segment_fixed_size: 0
    .kernarg_segment_align: 8
    .kernarg_segment_size: 336
    .language:       OpenCL C
    .language_version:
      - 2
      - 0
    .max_flat_workgroup_size: 256
    .name:           _ZL33flash_attn_stream_k_fixup_generalILi256ELi16ELi1EEvPfPK15HIP_vector_typeIfLj2EEiiiiS1_IjLj3EES5_S5_S5_
    .private_segment_fixed_size: 0
    .sgpr_count:     46
    .sgpr_spill_count: 0
    .symbol:         _ZL33flash_attn_stream_k_fixup_generalILi256ELi16ELi1EEvPfPK15HIP_vector_typeIfLj2EEiiiiS1_IjLj3EES5_S5_S5_.kd
    .uniform_work_group_size: 1
    .uses_dynamic_stack: false
    .vgpr_count:     9
    .vgpr_spill_count: 0
    .wavefront_size: 32
    .workgroup_processor_mode: 1
  - .args:
      - .address_space:  global
        .offset:         0
        .size:           8
        .value_kind:     global_buffer
      - .address_space:  global
        .offset:         8
        .size:           8
        .value_kind:     global_buffer
      - .address_space:  global
        .offset:         16
        .size:           8
        .value_kind:     global_buffer
      - .address_space:  global
        .offset:         24
        .size:           8
        .value_kind:     global_buffer
      - .address_space:  global
        .offset:         32
        .size:           8
        .value_kind:     global_buffer
      - .address_space:  global
        .offset:         40
        .size:           8
        .value_kind:     global_buffer
      - .address_space:  global
        .offset:         48
        .size:           8
        .value_kind:     global_buffer
      - .address_space:  global
        .offset:         56
        .size:           8
        .value_kind:     global_buffer
      - .offset:         64
        .size:           4
        .value_kind:     by_value
      - .offset:         68
        .size:           4
        .value_kind:     by_value
      - .offset:         72
        .size:           4
        .value_kind:     by_value
      - .offset:         76
        .size:           4
        .value_kind:     by_value
      - .offset:         80
        .size:           4
        .value_kind:     by_value
      - .offset:         84
        .size:           4
        .value_kind:     by_value
      - .offset:         88
        .size:           4
        .value_kind:     by_value
      - .offset:         92
        .size:           12
        .value_kind:     by_value
      - .offset:         104
        .size:           4
        .value_kind:     by_value
      - .offset:         108
        .size:           4
        .value_kind:     by_value
      - .offset:         112
        .size:           4
        .value_kind:     by_value
      - .offset:         116
        .size:           4
        .value_kind:     by_value
      - .offset:         120
        .size:           4
        .value_kind:     by_value
      - .offset:         124
        .size:           4
        .value_kind:     by_value
      - .offset:         128
        .size:           4
        .value_kind:     by_value
      - .offset:         132
        .size:           4
        .value_kind:     by_value
      - .offset:         136
        .size:           4
        .value_kind:     by_value
      - .offset:         140
        .size:           4
        .value_kind:     by_value
      - .offset:         144
        .size:           4
        .value_kind:     by_value
      - .offset:         152
        .size:           8
        .value_kind:     by_value
      - .offset:         160
        .size:           4
        .value_kind:     by_value
      - .offset:         164
        .size:           4
        .value_kind:     by_value
      - .offset:         168
        .size:           8
        .value_kind:     by_value
      - .offset:         176
        .size:           4
        .value_kind:     by_value
      - .offset:         180
        .size:           4
        .value_kind:     by_value
      - .offset:         184
        .size:           4
        .value_kind:     by_value
      - .offset:         188
        .size:           4
        .value_kind:     by_value
      - .offset:         192
        .size:           4
        .value_kind:     by_value
      - .offset:         200
        .size:           8
        .value_kind:     by_value
      - .offset:         208
        .size:           4
        .value_kind:     hidden_block_count_x
      - .offset:         212
        .size:           4
        .value_kind:     hidden_block_count_y
      - .offset:         216
        .size:           4
        .value_kind:     hidden_block_count_z
      - .offset:         220
        .size:           2
        .value_kind:     hidden_group_size_x
      - .offset:         222
        .size:           2
        .value_kind:     hidden_group_size_y
      - .offset:         224
        .size:           2
        .value_kind:     hidden_group_size_z
      - .offset:         226
        .size:           2
        .value_kind:     hidden_remainder_x
      - .offset:         228
        .size:           2
        .value_kind:     hidden_remainder_y
      - .offset:         230
        .size:           2
        .value_kind:     hidden_remainder_z
      - .offset:         248
        .size:           8
        .value_kind:     hidden_global_offset_x
      - .offset:         256
        .size:           8
        .value_kind:     hidden_global_offset_y
      - .offset:         264
        .size:           8
        .value_kind:     hidden_global_offset_z
      - .offset:         272
        .size:           2
        .value_kind:     hidden_grid_dims
    .group_segment_fixed_size: 21504
    .kernarg_segment_align: 8
    .kernarg_segment_size: 464
    .language:       OpenCL C
    .language_version:
      - 2
      - 0
    .max_flat_workgroup_size: 128
    .name:           _ZL15flash_attn_tileILi256ELi256ELi8ELi1ELb0EEvPKcS1_S1_S1_S1_PKiPfP15HIP_vector_typeIfLj2EEffffjfiS5_IjLj3EEiiiiiiiiiiiliiliiiiil
    .private_segment_fixed_size: 32
    .sgpr_count:     49
    .sgpr_spill_count: 0
    .symbol:         _ZL15flash_attn_tileILi256ELi256ELi8ELi1ELb0EEvPKcS1_S1_S1_S1_PKiPfP15HIP_vector_typeIfLj2EEffffjfiS5_IjLj3EEiiiiiiiiiiiliiliiiiil.kd
    .uniform_work_group_size: 1
    .uses_dynamic_stack: false
    .vgpr_count:     225
    .vgpr_spill_count: 0
    .wavefront_size: 32
    .workgroup_processor_mode: 1
  - .args:
      - .address_space:  global
        .offset:         0
        .size:           8
        .value_kind:     global_buffer
      - .address_space:  global
        .offset:         8
        .size:           8
        .value_kind:     global_buffer
      - .offset:         16
        .size:           4
        .value_kind:     by_value
      - .offset:         20
        .size:           4
        .value_kind:     by_value
      - .offset:         24
        .size:           4
        .value_kind:     by_value
      - .offset:         28
        .size:           4
        .value_kind:     by_value
      - .offset:         32
        .size:           4
        .value_kind:     by_value
      - .offset:         36
        .size:           4
        .value_kind:     by_value
      - .offset:         40
        .size:           12
        .value_kind:     by_value
      - .offset:         52
        .size:           12
        .value_kind:     by_value
      - .offset:         64
        .size:           12
        .value_kind:     by_value
    .group_segment_fixed_size: 0
    .kernarg_segment_align: 8
    .kernarg_segment_size: 76
    .language:       OpenCL C
    .language_version:
      - 2
      - 0
    .max_flat_workgroup_size: 256
    .name:           _ZL33flash_attn_stream_k_fixup_uniformILi256ELi8ELi1EEvPfPK15HIP_vector_typeIfLj2EEiiiiiiS1_IjLj3EES5_S5_
    .private_segment_fixed_size: 0
    .sgpr_count:     18
    .sgpr_spill_count: 0
    .symbol:         _ZL33flash_attn_stream_k_fixup_uniformILi256ELi8ELi1EEvPfPK15HIP_vector_typeIfLj2EEiiiiiiS1_IjLj3EES5_S5_.kd
    .uniform_work_group_size: 1
    .uses_dynamic_stack: false
    .vgpr_count:     11
    .vgpr_spill_count: 0
    .wavefront_size: 32
    .workgroup_processor_mode: 1
  - .args:
      - .address_space:  global
        .offset:         0
        .size:           8
        .value_kind:     global_buffer
      - .address_space:  global
        .offset:         8
        .size:           8
        .value_kind:     global_buffer
      - .offset:         16
        .size:           4
        .value_kind:     by_value
      - .offset:         20
        .size:           4
        .value_kind:     by_value
      - .offset:         24
        .size:           4
        .value_kind:     by_value
      - .offset:         28
        .size:           4
        .value_kind:     by_value
      - .offset:         32
        .size:           12
        .value_kind:     by_value
      - .offset:         44
        .size:           12
        .value_kind:     by_value
      - .offset:         56
        .size:           12
        .value_kind:     by_value
      - .offset:         68
        .size:           12
        .value_kind:     by_value
      - .offset:         80
        .size:           4
        .value_kind:     hidden_block_count_x
      - .offset:         84
        .size:           4
        .value_kind:     hidden_block_count_y
      - .offset:         88
        .size:           4
        .value_kind:     hidden_block_count_z
      - .offset:         92
        .size:           2
        .value_kind:     hidden_group_size_x
      - .offset:         94
        .size:           2
        .value_kind:     hidden_group_size_y
      - .offset:         96
        .size:           2
        .value_kind:     hidden_group_size_z
      - .offset:         98
        .size:           2
        .value_kind:     hidden_remainder_x
      - .offset:         100
        .size:           2
        .value_kind:     hidden_remainder_y
      - .offset:         102
        .size:           2
        .value_kind:     hidden_remainder_z
      - .offset:         120
        .size:           8
        .value_kind:     hidden_global_offset_x
      - .offset:         128
        .size:           8
        .value_kind:     hidden_global_offset_y
      - .offset:         136
        .size:           8
        .value_kind:     hidden_global_offset_z
      - .offset:         144
        .size:           2
        .value_kind:     hidden_grid_dims
    .group_segment_fixed_size: 0
    .kernarg_segment_align: 8
    .kernarg_segment_size: 336
    .language:       OpenCL C
    .language_version:
      - 2
      - 0
    .max_flat_workgroup_size: 256
    .name:           _ZL33flash_attn_stream_k_fixup_generalILi256ELi8ELi1EEvPfPK15HIP_vector_typeIfLj2EEiiiiS1_IjLj3EES5_S5_S5_
    .private_segment_fixed_size: 0
    .sgpr_count:     46
    .sgpr_spill_count: 0
    .symbol:         _ZL33flash_attn_stream_k_fixup_generalILi256ELi8ELi1EEvPfPK15HIP_vector_typeIfLj2EEiiiiS1_IjLj3EES5_S5_S5_.kd
    .uniform_work_group_size: 1
    .uses_dynamic_stack: false
    .vgpr_count:     9
    .vgpr_spill_count: 0
    .wavefront_size: 32
    .workgroup_processor_mode: 1
  - .args:
      - .address_space:  global
        .offset:         0
        .size:           8
        .value_kind:     global_buffer
      - .address_space:  global
        .offset:         8
        .size:           8
        .value_kind:     global_buffer
      - .address_space:  global
        .offset:         16
        .size:           8
        .value_kind:     global_buffer
      - .address_space:  global
        .offset:         24
        .size:           8
        .value_kind:     global_buffer
      - .address_space:  global
        .offset:         32
        .size:           8
        .value_kind:     global_buffer
      - .address_space:  global
        .offset:         40
        .size:           8
        .value_kind:     global_buffer
      - .address_space:  global
        .offset:         48
        .size:           8
        .value_kind:     global_buffer
      - .address_space:  global
        .offset:         56
        .size:           8
        .value_kind:     global_buffer
      - .offset:         64
        .size:           4
        .value_kind:     by_value
      - .offset:         68
        .size:           4
        .value_kind:     by_value
      - .offset:         72
        .size:           4
        .value_kind:     by_value
      - .offset:         76
        .size:           4
        .value_kind:     by_value
      - .offset:         80
        .size:           4
        .value_kind:     by_value
      - .offset:         84
        .size:           4
        .value_kind:     by_value
      - .offset:         88
        .size:           4
        .value_kind:     by_value
      - .offset:         92
        .size:           12
        .value_kind:     by_value
      - .offset:         104
        .size:           4
        .value_kind:     by_value
      - .offset:         108
        .size:           4
        .value_kind:     by_value
      - .offset:         112
        .size:           4
        .value_kind:     by_value
      - .offset:         116
        .size:           4
        .value_kind:     by_value
      - .offset:         120
        .size:           4
        .value_kind:     by_value
      - .offset:         124
        .size:           4
        .value_kind:     by_value
      - .offset:         128
        .size:           4
        .value_kind:     by_value
      - .offset:         132
        .size:           4
        .value_kind:     by_value
      - .offset:         136
        .size:           4
        .value_kind:     by_value
      - .offset:         140
        .size:           4
        .value_kind:     by_value
      - .offset:         144
        .size:           4
        .value_kind:     by_value
      - .offset:         152
        .size:           8
        .value_kind:     by_value
      - .offset:         160
        .size:           4
        .value_kind:     by_value
      - .offset:         164
        .size:           4
        .value_kind:     by_value
      - .offset:         168
        .size:           8
        .value_kind:     by_value
      - .offset:         176
        .size:           4
        .value_kind:     by_value
      - .offset:         180
        .size:           4
        .value_kind:     by_value
      - .offset:         184
        .size:           4
        .value_kind:     by_value
      - .offset:         188
        .size:           4
        .value_kind:     by_value
      - .offset:         192
        .size:           4
        .value_kind:     by_value
      - .offset:         200
        .size:           8
        .value_kind:     by_value
      - .offset:         208
        .size:           4
        .value_kind:     hidden_block_count_x
      - .offset:         212
        .size:           4
        .value_kind:     hidden_block_count_y
      - .offset:         216
        .size:           4
        .value_kind:     hidden_block_count_z
      - .offset:         220
        .size:           2
        .value_kind:     hidden_group_size_x
      - .offset:         222
        .size:           2
        .value_kind:     hidden_group_size_y
      - .offset:         224
        .size:           2
        .value_kind:     hidden_group_size_z
      - .offset:         226
        .size:           2
        .value_kind:     hidden_remainder_x
      - .offset:         228
        .size:           2
        .value_kind:     hidden_remainder_y
      - .offset:         230
        .size:           2
        .value_kind:     hidden_remainder_z
      - .offset:         248
        .size:           8
        .value_kind:     hidden_global_offset_x
      - .offset:         256
        .size:           8
        .value_kind:     hidden_global_offset_y
      - .offset:         264
        .size:           8
        .value_kind:     hidden_global_offset_z
      - .offset:         272
        .size:           2
        .value_kind:     hidden_grid_dims
    .group_segment_fixed_size: 19200
    .kernarg_segment_align: 8
    .kernarg_segment_size: 464
    .language:       OpenCL C
    .language_version:
      - 2
      - 0
    .max_flat_workgroup_size: 128
    .name:           _ZL15flash_attn_tileILi256ELi256ELi4ELi1ELb0EEvPKcS1_S1_S1_S1_PKiPfP15HIP_vector_typeIfLj2EEffffjfiS5_IjLj3EEiiiiiiiiiiiliiliiiiil
    .private_segment_fixed_size: 32
    .sgpr_count:     49
    .sgpr_spill_count: 0
    .symbol:         _ZL15flash_attn_tileILi256ELi256ELi4ELi1ELb0EEvPKcS1_S1_S1_S1_PKiPfP15HIP_vector_typeIfLj2EEffffjfiS5_IjLj3EEiiiiiiiiiiiliiliiiiil.kd
    .uniform_work_group_size: 1
    .uses_dynamic_stack: false
    .vgpr_count:     235
    .vgpr_spill_count: 0
    .wavefront_size: 32
    .workgroup_processor_mode: 1
  - .args:
      - .address_space:  global
        .offset:         0
        .size:           8
        .value_kind:     global_buffer
      - .address_space:  global
        .offset:         8
        .size:           8
        .value_kind:     global_buffer
      - .offset:         16
        .size:           4
        .value_kind:     by_value
      - .offset:         20
        .size:           4
        .value_kind:     by_value
      - .offset:         24
        .size:           4
        .value_kind:     by_value
      - .offset:         28
        .size:           4
        .value_kind:     by_value
      - .offset:         32
        .size:           4
        .value_kind:     by_value
      - .offset:         36
        .size:           4
        .value_kind:     by_value
      - .offset:         40
        .size:           12
        .value_kind:     by_value
      - .offset:         52
        .size:           12
        .value_kind:     by_value
      - .offset:         64
        .size:           12
        .value_kind:     by_value
    .group_segment_fixed_size: 0
    .kernarg_segment_align: 8
    .kernarg_segment_size: 76
    .language:       OpenCL C
    .language_version:
      - 2
      - 0
    .max_flat_workgroup_size: 256
    .name:           _ZL33flash_attn_stream_k_fixup_uniformILi256ELi4ELi1EEvPfPK15HIP_vector_typeIfLj2EEiiiiiiS1_IjLj3EES5_S5_
    .private_segment_fixed_size: 0
    .sgpr_count:     18
    .sgpr_spill_count: 0
    .symbol:         _ZL33flash_attn_stream_k_fixup_uniformILi256ELi4ELi1EEvPfPK15HIP_vector_typeIfLj2EEiiiiiiS1_IjLj3EES5_S5_.kd
    .uniform_work_group_size: 1
    .uses_dynamic_stack: false
    .vgpr_count:     11
    .vgpr_spill_count: 0
    .wavefront_size: 32
    .workgroup_processor_mode: 1
  - .args:
      - .address_space:  global
        .offset:         0
        .size:           8
        .value_kind:     global_buffer
      - .address_space:  global
        .offset:         8
        .size:           8
        .value_kind:     global_buffer
      - .offset:         16
        .size:           4
        .value_kind:     by_value
      - .offset:         20
        .size:           4
        .value_kind:     by_value
      - .offset:         24
        .size:           4
        .value_kind:     by_value
      - .offset:         28
        .size:           4
        .value_kind:     by_value
      - .offset:         32
        .size:           12
        .value_kind:     by_value
      - .offset:         44
        .size:           12
        .value_kind:     by_value
      - .offset:         56
        .size:           12
        .value_kind:     by_value
      - .offset:         68
        .size:           12
        .value_kind:     by_value
      - .offset:         80
        .size:           4
        .value_kind:     hidden_block_count_x
      - .offset:         84
        .size:           4
        .value_kind:     hidden_block_count_y
      - .offset:         88
        .size:           4
        .value_kind:     hidden_block_count_z
      - .offset:         92
        .size:           2
        .value_kind:     hidden_group_size_x
      - .offset:         94
        .size:           2
        .value_kind:     hidden_group_size_y
      - .offset:         96
        .size:           2
        .value_kind:     hidden_group_size_z
      - .offset:         98
        .size:           2
        .value_kind:     hidden_remainder_x
      - .offset:         100
        .size:           2
        .value_kind:     hidden_remainder_y
      - .offset:         102
        .size:           2
        .value_kind:     hidden_remainder_z
      - .offset:         120
        .size:           8
        .value_kind:     hidden_global_offset_x
      - .offset:         128
        .size:           8
        .value_kind:     hidden_global_offset_y
      - .offset:         136
        .size:           8
        .value_kind:     hidden_global_offset_z
      - .offset:         144
        .size:           2
        .value_kind:     hidden_grid_dims
    .group_segment_fixed_size: 0
    .kernarg_segment_align: 8
    .kernarg_segment_size: 336
    .language:       OpenCL C
    .language_version:
      - 2
      - 0
    .max_flat_workgroup_size: 256
    .name:           _ZL33flash_attn_stream_k_fixup_generalILi256ELi4ELi1EEvPfPK15HIP_vector_typeIfLj2EEiiiiS1_IjLj3EES5_S5_S5_
    .private_segment_fixed_size: 0
    .sgpr_count:     46
    .sgpr_spill_count: 0
    .symbol:         _ZL33flash_attn_stream_k_fixup_generalILi256ELi4ELi1EEvPfPK15HIP_vector_typeIfLj2EEiiiiS1_IjLj3EES5_S5_S5_.kd
    .uniform_work_group_size: 1
    .uses_dynamic_stack: false
    .vgpr_count:     9
    .vgpr_spill_count: 0
    .wavefront_size: 32
    .workgroup_processor_mode: 1
  - .args:
      - .address_space:  global
        .offset:         0
        .size:           8
        .value_kind:     global_buffer
      - .address_space:  global
        .offset:         8
        .size:           8
        .value_kind:     global_buffer
      - .address_space:  global
        .offset:         16
        .size:           8
        .value_kind:     global_buffer
      - .address_space:  global
        .offset:         24
        .size:           8
        .value_kind:     global_buffer
      - .address_space:  global
        .offset:         32
        .size:           8
        .value_kind:     global_buffer
      - .address_space:  global
        .offset:         40
        .size:           8
        .value_kind:     global_buffer
      - .address_space:  global
        .offset:         48
        .size:           8
        .value_kind:     global_buffer
      - .address_space:  global
        .offset:         56
        .size:           8
        .value_kind:     global_buffer
      - .offset:         64
        .size:           4
        .value_kind:     by_value
      - .offset:         68
        .size:           4
        .value_kind:     by_value
      - .offset:         72
        .size:           4
        .value_kind:     by_value
      - .offset:         76
        .size:           4
        .value_kind:     by_value
      - .offset:         80
        .size:           4
        .value_kind:     by_value
      - .offset:         84
        .size:           4
        .value_kind:     by_value
      - .offset:         88
        .size:           4
        .value_kind:     by_value
      - .offset:         92
        .size:           12
        .value_kind:     by_value
      - .offset:         104
        .size:           4
        .value_kind:     by_value
      - .offset:         108
        .size:           4
        .value_kind:     by_value
      - .offset:         112
        .size:           4
        .value_kind:     by_value
      - .offset:         116
        .size:           4
        .value_kind:     by_value
      - .offset:         120
        .size:           4
        .value_kind:     by_value
      - .offset:         124
        .size:           4
        .value_kind:     by_value
      - .offset:         128
        .size:           4
        .value_kind:     by_value
      - .offset:         132
        .size:           4
        .value_kind:     by_value
      - .offset:         136
        .size:           4
        .value_kind:     by_value
      - .offset:         140
        .size:           4
        .value_kind:     by_value
      - .offset:         144
        .size:           4
        .value_kind:     by_value
      - .offset:         152
        .size:           8
        .value_kind:     by_value
      - .offset:         160
        .size:           4
        .value_kind:     by_value
      - .offset:         164
        .size:           4
        .value_kind:     by_value
      - .offset:         168
        .size:           8
        .value_kind:     by_value
      - .offset:         176
        .size:           4
        .value_kind:     by_value
      - .offset:         180
        .size:           4
        .value_kind:     by_value
      - .offset:         184
        .size:           4
        .value_kind:     by_value
      - .offset:         188
        .size:           4
        .value_kind:     by_value
      - .offset:         192
        .size:           4
        .value_kind:     by_value
      - .offset:         200
        .size:           8
        .value_kind:     by_value
      - .offset:         208
        .size:           4
        .value_kind:     hidden_block_count_x
      - .offset:         212
        .size:           4
        .value_kind:     hidden_block_count_y
      - .offset:         216
        .size:           4
        .value_kind:     hidden_block_count_z
      - .offset:         220
        .size:           2
        .value_kind:     hidden_group_size_x
      - .offset:         222
        .size:           2
        .value_kind:     hidden_group_size_y
      - .offset:         224
        .size:           2
        .value_kind:     hidden_group_size_z
      - .offset:         226
        .size:           2
        .value_kind:     hidden_remainder_x
      - .offset:         228
        .size:           2
        .value_kind:     hidden_remainder_y
      - .offset:         230
        .size:           2
        .value_kind:     hidden_remainder_z
      - .offset:         248
        .size:           8
        .value_kind:     hidden_global_offset_x
      - .offset:         256
        .size:           8
        .value_kind:     hidden_global_offset_y
      - .offset:         264
        .size:           8
        .value_kind:     hidden_global_offset_z
      - .offset:         272
        .size:           2
        .value_kind:     hidden_grid_dims
    .group_segment_fixed_size: 5760
    .kernarg_segment_align: 8
    .kernarg_segment_size: 464
    .language:       OpenCL C
    .language_version:
      - 2
      - 0
    .max_flat_workgroup_size: 64
    .name:           _ZL15flash_attn_tileILi256ELi256ELi2ELi1ELb0EEvPKcS1_S1_S1_S1_PKiPfP15HIP_vector_typeIfLj2EEffffjfiS5_IjLj3EEiiiiiiiiiiiliiliiiiil
    .private_segment_fixed_size: 32
    .sgpr_count:     49
    .sgpr_spill_count: 0
    .symbol:         _ZL15flash_attn_tileILi256ELi256ELi2ELi1ELb0EEvPKcS1_S1_S1_S1_PKiPfP15HIP_vector_typeIfLj2EEffffjfiS5_IjLj3EEiiiiiiiiiiiliiliiiiil.kd
    .uniform_work_group_size: 1
    .uses_dynamic_stack: false
    .vgpr_count:     182
    .vgpr_spill_count: 0
    .wavefront_size: 32
    .workgroup_processor_mode: 1
  - .args:
      - .address_space:  global
        .offset:         0
        .size:           8
        .value_kind:     global_buffer
      - .address_space:  global
        .offset:         8
        .size:           8
        .value_kind:     global_buffer
      - .offset:         16
        .size:           4
        .value_kind:     by_value
      - .offset:         20
        .size:           4
        .value_kind:     by_value
      - .offset:         24
        .size:           4
        .value_kind:     by_value
      - .offset:         28
        .size:           4
        .value_kind:     by_value
      - .offset:         32
        .size:           4
        .value_kind:     by_value
      - .offset:         36
        .size:           4
        .value_kind:     by_value
      - .offset:         40
        .size:           12
        .value_kind:     by_value
      - .offset:         52
        .size:           12
        .value_kind:     by_value
      - .offset:         64
        .size:           12
        .value_kind:     by_value
    .group_segment_fixed_size: 0
    .kernarg_segment_align: 8
    .kernarg_segment_size: 76
    .language:       OpenCL C
    .language_version:
      - 2
      - 0
    .max_flat_workgroup_size: 256
    .name:           _ZL33flash_attn_stream_k_fixup_uniformILi256ELi2ELi1EEvPfPK15HIP_vector_typeIfLj2EEiiiiiiS1_IjLj3EES5_S5_
    .private_segment_fixed_size: 0
    .sgpr_count:     18
    .sgpr_spill_count: 0
    .symbol:         _ZL33flash_attn_stream_k_fixup_uniformILi256ELi2ELi1EEvPfPK15HIP_vector_typeIfLj2EEiiiiiiS1_IjLj3EES5_S5_.kd
    .uniform_work_group_size: 1
    .uses_dynamic_stack: false
    .vgpr_count:     11
    .vgpr_spill_count: 0
    .wavefront_size: 32
    .workgroup_processor_mode: 1
  - .args:
      - .address_space:  global
        .offset:         0
        .size:           8
        .value_kind:     global_buffer
      - .address_space:  global
        .offset:         8
        .size:           8
        .value_kind:     global_buffer
      - .offset:         16
        .size:           4
        .value_kind:     by_value
      - .offset:         20
        .size:           4
        .value_kind:     by_value
      - .offset:         24
        .size:           4
        .value_kind:     by_value
      - .offset:         28
        .size:           4
        .value_kind:     by_value
      - .offset:         32
        .size:           12
        .value_kind:     by_value
      - .offset:         44
        .size:           12
        .value_kind:     by_value
      - .offset:         56
        .size:           12
        .value_kind:     by_value
      - .offset:         68
        .size:           12
        .value_kind:     by_value
      - .offset:         80
        .size:           4
        .value_kind:     hidden_block_count_x
      - .offset:         84
        .size:           4
        .value_kind:     hidden_block_count_y
      - .offset:         88
        .size:           4
        .value_kind:     hidden_block_count_z
      - .offset:         92
        .size:           2
        .value_kind:     hidden_group_size_x
      - .offset:         94
        .size:           2
        .value_kind:     hidden_group_size_y
      - .offset:         96
        .size:           2
        .value_kind:     hidden_group_size_z
      - .offset:         98
        .size:           2
        .value_kind:     hidden_remainder_x
      - .offset:         100
        .size:           2
        .value_kind:     hidden_remainder_y
      - .offset:         102
        .size:           2
        .value_kind:     hidden_remainder_z
      - .offset:         120
        .size:           8
        .value_kind:     hidden_global_offset_x
      - .offset:         128
        .size:           8
        .value_kind:     hidden_global_offset_y
      - .offset:         136
        .size:           8
        .value_kind:     hidden_global_offset_z
      - .offset:         144
        .size:           2
        .value_kind:     hidden_grid_dims
    .group_segment_fixed_size: 0
    .kernarg_segment_align: 8
    .kernarg_segment_size: 336
    .language:       OpenCL C
    .language_version:
      - 2
      - 0
    .max_flat_workgroup_size: 256
    .name:           _ZL33flash_attn_stream_k_fixup_generalILi256ELi2ELi1EEvPfPK15HIP_vector_typeIfLj2EEiiiiS1_IjLj3EES5_S5_S5_
    .private_segment_fixed_size: 0
    .sgpr_count:     46
    .sgpr_spill_count: 0
    .symbol:         _ZL33flash_attn_stream_k_fixup_generalILi256ELi2ELi1EEvPfPK15HIP_vector_typeIfLj2EEiiiiS1_IjLj3EES5_S5_S5_.kd
    .uniform_work_group_size: 1
    .uses_dynamic_stack: false
    .vgpr_count:     9
    .vgpr_spill_count: 0
    .wavefront_size: 32
    .workgroup_processor_mode: 1
  - .args:
      - .address_space:  global
        .offset:         0
        .size:           8
        .value_kind:     global_buffer
      - .address_space:  global
        .offset:         8
        .size:           8
        .value_kind:     global_buffer
      - .address_space:  global
        .offset:         16
        .size:           8
        .value_kind:     global_buffer
      - .address_space:  global
        .offset:         24
        .size:           8
        .value_kind:     global_buffer
      - .address_space:  global
        .offset:         32
        .size:           8
        .value_kind:     global_buffer
      - .address_space:  global
        .offset:         40
        .size:           8
        .value_kind:     global_buffer
      - .address_space:  global
        .offset:         48
        .size:           8
        .value_kind:     global_buffer
      - .address_space:  global
        .offset:         56
        .size:           8
        .value_kind:     global_buffer
      - .offset:         64
        .size:           4
        .value_kind:     by_value
      - .offset:         68
        .size:           4
        .value_kind:     by_value
      - .offset:         72
        .size:           4
        .value_kind:     by_value
      - .offset:         76
        .size:           4
        .value_kind:     by_value
      - .offset:         80
        .size:           4
        .value_kind:     by_value
      - .offset:         84
        .size:           4
        .value_kind:     by_value
      - .offset:         88
        .size:           4
        .value_kind:     by_value
      - .offset:         92
        .size:           12
        .value_kind:     by_value
      - .offset:         104
        .size:           4
        .value_kind:     by_value
      - .offset:         108
        .size:           4
        .value_kind:     by_value
      - .offset:         112
        .size:           4
        .value_kind:     by_value
      - .offset:         116
        .size:           4
        .value_kind:     by_value
      - .offset:         120
        .size:           4
        .value_kind:     by_value
      - .offset:         124
        .size:           4
        .value_kind:     by_value
      - .offset:         128
        .size:           4
        .value_kind:     by_value
      - .offset:         132
        .size:           4
        .value_kind:     by_value
      - .offset:         136
        .size:           4
        .value_kind:     by_value
      - .offset:         140
        .size:           4
        .value_kind:     by_value
      - .offset:         144
        .size:           4
        .value_kind:     by_value
      - .offset:         152
        .size:           8
        .value_kind:     by_value
      - .offset:         160
        .size:           4
        .value_kind:     by_value
      - .offset:         164
        .size:           4
        .value_kind:     by_value
      - .offset:         168
        .size:           8
        .value_kind:     by_value
      - .offset:         176
        .size:           4
        .value_kind:     by_value
      - .offset:         180
        .size:           4
        .value_kind:     by_value
      - .offset:         184
        .size:           4
        .value_kind:     by_value
      - .offset:         188
        .size:           4
        .value_kind:     by_value
      - .offset:         192
        .size:           4
        .value_kind:     by_value
      - .offset:         200
        .size:           8
        .value_kind:     by_value
      - .offset:         208
        .size:           4
        .value_kind:     hidden_block_count_x
      - .offset:         212
        .size:           4
        .value_kind:     hidden_block_count_y
      - .offset:         216
        .size:           4
        .value_kind:     hidden_block_count_z
      - .offset:         220
        .size:           2
        .value_kind:     hidden_group_size_x
      - .offset:         222
        .size:           2
        .value_kind:     hidden_group_size_y
      - .offset:         224
        .size:           2
        .value_kind:     hidden_group_size_z
      - .offset:         226
        .size:           2
        .value_kind:     hidden_remainder_x
      - .offset:         228
        .size:           2
        .value_kind:     hidden_remainder_y
      - .offset:         230
        .size:           2
        .value_kind:     hidden_remainder_z
      - .offset:         248
        .size:           8
        .value_kind:     hidden_global_offset_x
      - .offset:         256
        .size:           8
        .value_kind:     hidden_global_offset_y
      - .offset:         264
        .size:           8
        .value_kind:     hidden_global_offset_z
      - .offset:         272
        .size:           2
        .value_kind:     hidden_grid_dims
    .group_segment_fixed_size: 37888
    .kernarg_segment_align: 8
    .kernarg_segment_size: 464
    .language:       OpenCL C
    .language_version:
      - 2
      - 0
    .max_flat_workgroup_size: 256
    .name:           _ZL15flash_attn_tileILi256ELi256ELi4ELi8ELb1EEvPKcS1_S1_S1_S1_PKiPfP15HIP_vector_typeIfLj2EEffffjfiS5_IjLj3EEiiiiiiiiiiiliiliiiiil
    .private_segment_fixed_size: 0
    .sgpr_count:     46
    .sgpr_spill_count: 0
    .symbol:         _ZL15flash_attn_tileILi256ELi256ELi4ELi8ELb1EEvPKcS1_S1_S1_S1_PKiPfP15HIP_vector_typeIfLj2EEffffjfiS5_IjLj3EEiiiiiiiiiiiliiliiiiil.kd
    .uniform_work_group_size: 1
    .uses_dynamic_stack: false
    .vgpr_count:     183
    .vgpr_spill_count: 0
    .wavefront_size: 32
    .workgroup_processor_mode: 1
  - .args:
      - .address_space:  global
        .offset:         0
        .size:           8
        .value_kind:     global_buffer
      - .address_space:  global
        .offset:         8
        .size:           8
        .value_kind:     global_buffer
      - .address_space:  global
        .offset:         16
        .size:           8
        .value_kind:     global_buffer
      - .address_space:  global
        .offset:         24
        .size:           8
        .value_kind:     global_buffer
      - .address_space:  global
        .offset:         32
        .size:           8
        .value_kind:     global_buffer
      - .address_space:  global
        .offset:         40
        .size:           8
        .value_kind:     global_buffer
      - .address_space:  global
        .offset:         48
        .size:           8
        .value_kind:     global_buffer
      - .address_space:  global
        .offset:         56
        .size:           8
        .value_kind:     global_buffer
      - .offset:         64
        .size:           4
        .value_kind:     by_value
      - .offset:         68
        .size:           4
        .value_kind:     by_value
      - .offset:         72
        .size:           4
        .value_kind:     by_value
      - .offset:         76
        .size:           4
        .value_kind:     by_value
      - .offset:         80
        .size:           4
        .value_kind:     by_value
      - .offset:         84
        .size:           4
        .value_kind:     by_value
      - .offset:         88
        .size:           4
        .value_kind:     by_value
      - .offset:         92
        .size:           12
        .value_kind:     by_value
      - .offset:         104
        .size:           4
        .value_kind:     by_value
      - .offset:         108
        .size:           4
        .value_kind:     by_value
      - .offset:         112
        .size:           4
        .value_kind:     by_value
      - .offset:         116
        .size:           4
        .value_kind:     by_value
      - .offset:         120
        .size:           4
        .value_kind:     by_value
      - .offset:         124
        .size:           4
        .value_kind:     by_value
      - .offset:         128
        .size:           4
        .value_kind:     by_value
      - .offset:         132
        .size:           4
        .value_kind:     by_value
      - .offset:         136
        .size:           4
        .value_kind:     by_value
      - .offset:         140
        .size:           4
        .value_kind:     by_value
      - .offset:         144
        .size:           4
        .value_kind:     by_value
      - .offset:         152
        .size:           8
        .value_kind:     by_value
      - .offset:         160
        .size:           4
        .value_kind:     by_value
      - .offset:         164
        .size:           4
        .value_kind:     by_value
      - .offset:         168
        .size:           8
        .value_kind:     by_value
      - .offset:         176
        .size:           4
        .value_kind:     by_value
      - .offset:         180
        .size:           4
        .value_kind:     by_value
      - .offset:         184
        .size:           4
        .value_kind:     by_value
      - .offset:         188
        .size:           4
        .value_kind:     by_value
      - .offset:         192
        .size:           4
        .value_kind:     by_value
      - .offset:         200
        .size:           8
        .value_kind:     by_value
      - .offset:         208
        .size:           4
        .value_kind:     hidden_block_count_x
      - .offset:         212
        .size:           4
        .value_kind:     hidden_block_count_y
      - .offset:         216
        .size:           4
        .value_kind:     hidden_block_count_z
      - .offset:         220
        .size:           2
        .value_kind:     hidden_group_size_x
      - .offset:         222
        .size:           2
        .value_kind:     hidden_group_size_y
      - .offset:         224
        .size:           2
        .value_kind:     hidden_group_size_z
      - .offset:         226
        .size:           2
        .value_kind:     hidden_remainder_x
      - .offset:         228
        .size:           2
        .value_kind:     hidden_remainder_y
      - .offset:         230
        .size:           2
        .value_kind:     hidden_remainder_z
      - .offset:         248
        .size:           8
        .value_kind:     hidden_global_offset_x
      - .offset:         256
        .size:           8
        .value_kind:     hidden_global_offset_y
      - .offset:         264
        .size:           8
        .value_kind:     hidden_global_offset_z
      - .offset:         272
        .size:           2
        .value_kind:     hidden_grid_dims
    .group_segment_fixed_size: 26112
    .kernarg_segment_align: 8
    .kernarg_segment_size: 464
    .language:       OpenCL C
    .language_version:
      - 2
      - 0
    .max_flat_workgroup_size: 256
    .name:           _ZL15flash_attn_tileILi256ELi256ELi2ELi8ELb1EEvPKcS1_S1_S1_S1_PKiPfP15HIP_vector_typeIfLj2EEffffjfiS5_IjLj3EEiiiiiiiiiiiliiliiiiil
    .private_segment_fixed_size: 0
    .sgpr_count:     44
    .sgpr_spill_count: 0
    .symbol:         _ZL15flash_attn_tileILi256ELi256ELi2ELi8ELb1EEvPKcS1_S1_S1_S1_PKiPfP15HIP_vector_typeIfLj2EEffffjfiS5_IjLj3EEiiiiiiiiiiiliiliiiiil.kd
    .uniform_work_group_size: 1
    .uses_dynamic_stack: false
    .vgpr_count:     198
    .vgpr_spill_count: 0
    .wavefront_size: 32
    .workgroup_processor_mode: 1
  - .args:
      - .address_space:  global
        .offset:         0
        .size:           8
        .value_kind:     global_buffer
      - .address_space:  global
        .offset:         8
        .size:           8
        .value_kind:     global_buffer
      - .address_space:  global
        .offset:         16
        .size:           8
        .value_kind:     global_buffer
      - .address_space:  global
        .offset:         24
        .size:           8
        .value_kind:     global_buffer
      - .address_space:  global
        .offset:         32
        .size:           8
        .value_kind:     global_buffer
      - .address_space:  global
        .offset:         40
        .size:           8
        .value_kind:     global_buffer
      - .address_space:  global
        .offset:         48
        .size:           8
        .value_kind:     global_buffer
      - .address_space:  global
        .offset:         56
        .size:           8
        .value_kind:     global_buffer
      - .offset:         64
        .size:           4
        .value_kind:     by_value
      - .offset:         68
        .size:           4
        .value_kind:     by_value
      - .offset:         72
        .size:           4
        .value_kind:     by_value
      - .offset:         76
        .size:           4
        .value_kind:     by_value
      - .offset:         80
        .size:           4
        .value_kind:     by_value
      - .offset:         84
        .size:           4
        .value_kind:     by_value
      - .offset:         88
        .size:           4
        .value_kind:     by_value
      - .offset:         92
        .size:           12
        .value_kind:     by_value
      - .offset:         104
        .size:           4
        .value_kind:     by_value
      - .offset:         108
        .size:           4
        .value_kind:     by_value
      - .offset:         112
        .size:           4
        .value_kind:     by_value
      - .offset:         116
        .size:           4
        .value_kind:     by_value
      - .offset:         120
        .size:           4
        .value_kind:     by_value
      - .offset:         124
        .size:           4
        .value_kind:     by_value
      - .offset:         128
        .size:           4
        .value_kind:     by_value
      - .offset:         132
        .size:           4
        .value_kind:     by_value
      - .offset:         136
        .size:           4
        .value_kind:     by_value
      - .offset:         140
        .size:           4
        .value_kind:     by_value
      - .offset:         144
        .size:           4
        .value_kind:     by_value
      - .offset:         152
        .size:           8
        .value_kind:     by_value
      - .offset:         160
        .size:           4
        .value_kind:     by_value
      - .offset:         164
        .size:           4
        .value_kind:     by_value
      - .offset:         168
        .size:           8
        .value_kind:     by_value
      - .offset:         176
        .size:           4
        .value_kind:     by_value
      - .offset:         180
        .size:           4
        .value_kind:     by_value
      - .offset:         184
        .size:           4
        .value_kind:     by_value
      - .offset:         188
        .size:           4
        .value_kind:     by_value
      - .offset:         192
        .size:           4
        .value_kind:     by_value
      - .offset:         200
        .size:           8
        .value_kind:     by_value
      - .offset:         208
        .size:           4
        .value_kind:     hidden_block_count_x
      - .offset:         212
        .size:           4
        .value_kind:     hidden_block_count_y
      - .offset:         216
        .size:           4
        .value_kind:     hidden_block_count_z
      - .offset:         220
        .size:           2
        .value_kind:     hidden_group_size_x
      - .offset:         222
        .size:           2
        .value_kind:     hidden_group_size_y
      - .offset:         224
        .size:           2
        .value_kind:     hidden_group_size_z
      - .offset:         226
        .size:           2
        .value_kind:     hidden_remainder_x
      - .offset:         228
        .size:           2
        .value_kind:     hidden_remainder_y
      - .offset:         230
        .size:           2
        .value_kind:     hidden_remainder_z
      - .offset:         248
        .size:           8
        .value_kind:     hidden_global_offset_x
      - .offset:         256
        .size:           8
        .value_kind:     hidden_global_offset_y
      - .offset:         264
        .size:           8
        .value_kind:     hidden_global_offset_z
      - .offset:         272
        .size:           2
        .value_kind:     hidden_grid_dims
    .group_segment_fixed_size: 21504
    .kernarg_segment_align: 8
    .kernarg_segment_size: 464
    .language:       OpenCL C
    .language_version:
      - 2
      - 0
    .max_flat_workgroup_size: 128
    .name:           _ZL15flash_attn_tileILi256ELi256ELi1ELi8ELb1EEvPKcS1_S1_S1_S1_PKiPfP15HIP_vector_typeIfLj2EEffffjfiS5_IjLj3EEiiiiiiiiiiiliiliiiiil
    .private_segment_fixed_size: 0
    .sgpr_count:     46
    .sgpr_spill_count: 0
    .symbol:         _ZL15flash_attn_tileILi256ELi256ELi1ELi8ELb1EEvPKcS1_S1_S1_S1_PKiPfP15HIP_vector_typeIfLj2EEffffjfiS5_IjLj3EEiiiiiiiiiiiliiliiiiil.kd
    .uniform_work_group_size: 1
    .uses_dynamic_stack: false
    .vgpr_count:     215
    .vgpr_spill_count: 0
    .wavefront_size: 32
    .workgroup_processor_mode: 1
  - .args:
      - .address_space:  global
        .offset:         0
        .size:           8
        .value_kind:     global_buffer
      - .address_space:  global
        .offset:         8
        .size:           8
        .value_kind:     global_buffer
      - .address_space:  global
        .offset:         16
        .size:           8
        .value_kind:     global_buffer
      - .address_space:  global
        .offset:         24
        .size:           8
        .value_kind:     global_buffer
      - .address_space:  global
        .offset:         32
        .size:           8
        .value_kind:     global_buffer
      - .address_space:  global
        .offset:         40
        .size:           8
        .value_kind:     global_buffer
      - .address_space:  global
        .offset:         48
        .size:           8
        .value_kind:     global_buffer
      - .address_space:  global
        .offset:         56
        .size:           8
        .value_kind:     global_buffer
      - .offset:         64
        .size:           4
        .value_kind:     by_value
      - .offset:         68
        .size:           4
        .value_kind:     by_value
      - .offset:         72
        .size:           4
        .value_kind:     by_value
      - .offset:         76
        .size:           4
        .value_kind:     by_value
      - .offset:         80
        .size:           4
        .value_kind:     by_value
      - .offset:         84
        .size:           4
        .value_kind:     by_value
      - .offset:         88
        .size:           4
        .value_kind:     by_value
      - .offset:         92
        .size:           12
        .value_kind:     by_value
      - .offset:         104
        .size:           4
        .value_kind:     by_value
      - .offset:         108
        .size:           4
        .value_kind:     by_value
      - .offset:         112
        .size:           4
        .value_kind:     by_value
      - .offset:         116
        .size:           4
        .value_kind:     by_value
      - .offset:         120
        .size:           4
        .value_kind:     by_value
      - .offset:         124
        .size:           4
        .value_kind:     by_value
      - .offset:         128
        .size:           4
        .value_kind:     by_value
      - .offset:         132
        .size:           4
        .value_kind:     by_value
      - .offset:         136
        .size:           4
        .value_kind:     by_value
      - .offset:         140
        .size:           4
        .value_kind:     by_value
      - .offset:         144
        .size:           4
        .value_kind:     by_value
      - .offset:         152
        .size:           8
        .value_kind:     by_value
      - .offset:         160
        .size:           4
        .value_kind:     by_value
      - .offset:         164
        .size:           4
        .value_kind:     by_value
      - .offset:         168
        .size:           8
        .value_kind:     by_value
      - .offset:         176
        .size:           4
        .value_kind:     by_value
      - .offset:         180
        .size:           4
        .value_kind:     by_value
      - .offset:         184
        .size:           4
        .value_kind:     by_value
      - .offset:         188
        .size:           4
        .value_kind:     by_value
      - .offset:         192
        .size:           4
        .value_kind:     by_value
      - .offset:         200
        .size:           8
        .value_kind:     by_value
      - .offset:         208
        .size:           4
        .value_kind:     hidden_block_count_x
      - .offset:         212
        .size:           4
        .value_kind:     hidden_block_count_y
      - .offset:         216
        .size:           4
        .value_kind:     hidden_block_count_z
      - .offset:         220
        .size:           2
        .value_kind:     hidden_group_size_x
      - .offset:         222
        .size:           2
        .value_kind:     hidden_group_size_y
      - .offset:         224
        .size:           2
        .value_kind:     hidden_group_size_z
      - .offset:         226
        .size:           2
        .value_kind:     hidden_remainder_x
      - .offset:         228
        .size:           2
        .value_kind:     hidden_remainder_y
      - .offset:         230
        .size:           2
        .value_kind:     hidden_remainder_z
      - .offset:         248
        .size:           8
        .value_kind:     hidden_global_offset_x
      - .offset:         256
        .size:           8
        .value_kind:     hidden_global_offset_y
      - .offset:         264
        .size:           8
        .value_kind:     hidden_global_offset_z
      - .offset:         272
        .size:           2
        .value_kind:     hidden_grid_dims
    .group_segment_fixed_size: 37888
    .kernarg_segment_align: 8
    .kernarg_segment_size: 464
    .language:       OpenCL C
    .language_version:
      - 2
      - 0
    .max_flat_workgroup_size: 256
    .name:           _ZL15flash_attn_tileILi256ELi256ELi8ELi4ELb1EEvPKcS1_S1_S1_S1_PKiPfP15HIP_vector_typeIfLj2EEffffjfiS5_IjLj3EEiiiiiiiiiiiliiliiiiil
    .private_segment_fixed_size: 0
    .sgpr_count:     44
    .sgpr_spill_count: 0
    .symbol:         _ZL15flash_attn_tileILi256ELi256ELi8ELi4ELb1EEvPKcS1_S1_S1_S1_PKiPfP15HIP_vector_typeIfLj2EEffffjfiS5_IjLj3EEiiiiiiiiiiiliiliiiiil.kd
    .uniform_work_group_size: 1
    .uses_dynamic_stack: false
    .vgpr_count:     182
    .vgpr_spill_count: 0
    .wavefront_size: 32
    .workgroup_processor_mode: 1
  - .args:
      - .address_space:  global
        .offset:         0
        .size:           8
        .value_kind:     global_buffer
      - .address_space:  global
        .offset:         8
        .size:           8
        .value_kind:     global_buffer
      - .address_space:  global
        .offset:         16
        .size:           8
        .value_kind:     global_buffer
      - .address_space:  global
        .offset:         24
        .size:           8
        .value_kind:     global_buffer
      - .address_space:  global
        .offset:         32
        .size:           8
        .value_kind:     global_buffer
      - .address_space:  global
        .offset:         40
        .size:           8
        .value_kind:     global_buffer
      - .address_space:  global
        .offset:         48
        .size:           8
        .value_kind:     global_buffer
      - .address_space:  global
        .offset:         56
        .size:           8
        .value_kind:     global_buffer
      - .offset:         64
        .size:           4
        .value_kind:     by_value
      - .offset:         68
        .size:           4
        .value_kind:     by_value
      - .offset:         72
        .size:           4
        .value_kind:     by_value
      - .offset:         76
        .size:           4
        .value_kind:     by_value
      - .offset:         80
        .size:           4
        .value_kind:     by_value
      - .offset:         84
        .size:           4
        .value_kind:     by_value
      - .offset:         88
        .size:           4
        .value_kind:     by_value
      - .offset:         92
        .size:           12
        .value_kind:     by_value
      - .offset:         104
        .size:           4
        .value_kind:     by_value
      - .offset:         108
        .size:           4
        .value_kind:     by_value
      - .offset:         112
        .size:           4
        .value_kind:     by_value
      - .offset:         116
        .size:           4
        .value_kind:     by_value
      - .offset:         120
        .size:           4
        .value_kind:     by_value
      - .offset:         124
        .size:           4
        .value_kind:     by_value
      - .offset:         128
        .size:           4
        .value_kind:     by_value
      - .offset:         132
        .size:           4
        .value_kind:     by_value
      - .offset:         136
        .size:           4
        .value_kind:     by_value
      - .offset:         140
        .size:           4
        .value_kind:     by_value
      - .offset:         144
        .size:           4
        .value_kind:     by_value
      - .offset:         152
        .size:           8
        .value_kind:     by_value
      - .offset:         160
        .size:           4
        .value_kind:     by_value
      - .offset:         164
        .size:           4
        .value_kind:     by_value
      - .offset:         168
        .size:           8
        .value_kind:     by_value
      - .offset:         176
        .size:           4
        .value_kind:     by_value
      - .offset:         180
        .size:           4
        .value_kind:     by_value
      - .offset:         184
        .size:           4
        .value_kind:     by_value
      - .offset:         188
        .size:           4
        .value_kind:     by_value
      - .offset:         192
        .size:           4
        .value_kind:     by_value
      - .offset:         200
        .size:           8
        .value_kind:     by_value
      - .offset:         208
        .size:           4
        .value_kind:     hidden_block_count_x
      - .offset:         212
        .size:           4
        .value_kind:     hidden_block_count_y
      - .offset:         216
        .size:           4
        .value_kind:     hidden_block_count_z
      - .offset:         220
        .size:           2
        .value_kind:     hidden_group_size_x
      - .offset:         222
        .size:           2
        .value_kind:     hidden_group_size_y
      - .offset:         224
        .size:           2
        .value_kind:     hidden_group_size_z
      - .offset:         226
        .size:           2
        .value_kind:     hidden_remainder_x
      - .offset:         228
        .size:           2
        .value_kind:     hidden_remainder_y
      - .offset:         230
        .size:           2
        .value_kind:     hidden_remainder_z
      - .offset:         248
        .size:           8
        .value_kind:     hidden_global_offset_x
      - .offset:         256
        .size:           8
        .value_kind:     hidden_global_offset_y
      - .offset:         264
        .size:           8
        .value_kind:     hidden_global_offset_z
      - .offset:         272
        .size:           2
        .value_kind:     hidden_grid_dims
    .group_segment_fixed_size: 26112
    .kernarg_segment_align: 8
    .kernarg_segment_size: 464
    .language:       OpenCL C
    .language_version:
      - 2
      - 0
    .max_flat_workgroup_size: 256
    .name:           _ZL15flash_attn_tileILi256ELi256ELi4ELi4ELb1EEvPKcS1_S1_S1_S1_PKiPfP15HIP_vector_typeIfLj2EEffffjfiS5_IjLj3EEiiiiiiiiiiiliiliiiiil
    .private_segment_fixed_size: 0
    .sgpr_count:     44
    .sgpr_spill_count: 0
    .symbol:         _ZL15flash_attn_tileILi256ELi256ELi4ELi4ELb1EEvPKcS1_S1_S1_S1_PKiPfP15HIP_vector_typeIfLj2EEffffjfiS5_IjLj3EEiiiiiiiiiiiliiliiiiil.kd
    .uniform_work_group_size: 1
    .uses_dynamic_stack: false
    .vgpr_count:     198
    .vgpr_spill_count: 0
    .wavefront_size: 32
    .workgroup_processor_mode: 1
  - .args:
      - .address_space:  global
        .offset:         0
        .size:           8
        .value_kind:     global_buffer
      - .address_space:  global
        .offset:         8
        .size:           8
        .value_kind:     global_buffer
      - .address_space:  global
        .offset:         16
        .size:           8
        .value_kind:     global_buffer
      - .address_space:  global
        .offset:         24
        .size:           8
        .value_kind:     global_buffer
      - .address_space:  global
        .offset:         32
        .size:           8
        .value_kind:     global_buffer
      - .address_space:  global
        .offset:         40
        .size:           8
        .value_kind:     global_buffer
      - .address_space:  global
        .offset:         48
        .size:           8
        .value_kind:     global_buffer
      - .address_space:  global
        .offset:         56
        .size:           8
        .value_kind:     global_buffer
      - .offset:         64
        .size:           4
        .value_kind:     by_value
      - .offset:         68
        .size:           4
        .value_kind:     by_value
      - .offset:         72
        .size:           4
        .value_kind:     by_value
      - .offset:         76
        .size:           4
        .value_kind:     by_value
      - .offset:         80
        .size:           4
        .value_kind:     by_value
      - .offset:         84
        .size:           4
        .value_kind:     by_value
      - .offset:         88
        .size:           4
        .value_kind:     by_value
      - .offset:         92
        .size:           12
        .value_kind:     by_value
      - .offset:         104
        .size:           4
        .value_kind:     by_value
      - .offset:         108
        .size:           4
        .value_kind:     by_value
      - .offset:         112
        .size:           4
        .value_kind:     by_value
      - .offset:         116
        .size:           4
        .value_kind:     by_value
      - .offset:         120
        .size:           4
        .value_kind:     by_value
      - .offset:         124
        .size:           4
        .value_kind:     by_value
      - .offset:         128
        .size:           4
        .value_kind:     by_value
      - .offset:         132
        .size:           4
        .value_kind:     by_value
      - .offset:         136
        .size:           4
        .value_kind:     by_value
      - .offset:         140
        .size:           4
        .value_kind:     by_value
      - .offset:         144
        .size:           4
        .value_kind:     by_value
      - .offset:         152
        .size:           8
        .value_kind:     by_value
      - .offset:         160
        .size:           4
        .value_kind:     by_value
      - .offset:         164
        .size:           4
        .value_kind:     by_value
      - .offset:         168
        .size:           8
        .value_kind:     by_value
      - .offset:         176
        .size:           4
        .value_kind:     by_value
      - .offset:         180
        .size:           4
        .value_kind:     by_value
      - .offset:         184
        .size:           4
        .value_kind:     by_value
      - .offset:         188
        .size:           4
        .value_kind:     by_value
      - .offset:         192
        .size:           4
        .value_kind:     by_value
      - .offset:         200
        .size:           8
        .value_kind:     by_value
      - .offset:         208
        .size:           4
        .value_kind:     hidden_block_count_x
      - .offset:         212
        .size:           4
        .value_kind:     hidden_block_count_y
      - .offset:         216
        .size:           4
        .value_kind:     hidden_block_count_z
      - .offset:         220
        .size:           2
        .value_kind:     hidden_group_size_x
      - .offset:         222
        .size:           2
        .value_kind:     hidden_group_size_y
      - .offset:         224
        .size:           2
        .value_kind:     hidden_group_size_z
      - .offset:         226
        .size:           2
        .value_kind:     hidden_remainder_x
      - .offset:         228
        .size:           2
        .value_kind:     hidden_remainder_y
      - .offset:         230
        .size:           2
        .value_kind:     hidden_remainder_z
      - .offset:         248
        .size:           8
        .value_kind:     hidden_global_offset_x
      - .offset:         256
        .size:           8
        .value_kind:     hidden_global_offset_y
      - .offset:         264
        .size:           8
        .value_kind:     hidden_global_offset_z
      - .offset:         272
        .size:           2
        .value_kind:     hidden_grid_dims
    .group_segment_fixed_size: 21504
    .kernarg_segment_align: 8
    .kernarg_segment_size: 464
    .language:       OpenCL C
    .language_version:
      - 2
      - 0
    .max_flat_workgroup_size: 128
    .name:           _ZL15flash_attn_tileILi256ELi256ELi2ELi4ELb1EEvPKcS1_S1_S1_S1_PKiPfP15HIP_vector_typeIfLj2EEffffjfiS5_IjLj3EEiiiiiiiiiiiliiliiiiil
    .private_segment_fixed_size: 0
    .sgpr_count:     46
    .sgpr_spill_count: 0
    .symbol:         _ZL15flash_attn_tileILi256ELi256ELi2ELi4ELb1EEvPKcS1_S1_S1_S1_PKiPfP15HIP_vector_typeIfLj2EEffffjfiS5_IjLj3EEiiiiiiiiiiiliiliiiiil.kd
    .uniform_work_group_size: 1
    .uses_dynamic_stack: false
    .vgpr_count:     215
    .vgpr_spill_count: 0
    .wavefront_size: 32
    .workgroup_processor_mode: 1
  - .args:
      - .address_space:  global
        .offset:         0
        .size:           8
        .value_kind:     global_buffer
      - .address_space:  global
        .offset:         8
        .size:           8
        .value_kind:     global_buffer
      - .address_space:  global
        .offset:         16
        .size:           8
        .value_kind:     global_buffer
      - .address_space:  global
        .offset:         24
        .size:           8
        .value_kind:     global_buffer
      - .address_space:  global
        .offset:         32
        .size:           8
        .value_kind:     global_buffer
      - .address_space:  global
        .offset:         40
        .size:           8
        .value_kind:     global_buffer
      - .address_space:  global
        .offset:         48
        .size:           8
        .value_kind:     global_buffer
      - .address_space:  global
        .offset:         56
        .size:           8
        .value_kind:     global_buffer
      - .offset:         64
        .size:           4
        .value_kind:     by_value
      - .offset:         68
        .size:           4
        .value_kind:     by_value
      - .offset:         72
        .size:           4
        .value_kind:     by_value
      - .offset:         76
        .size:           4
        .value_kind:     by_value
      - .offset:         80
        .size:           4
        .value_kind:     by_value
      - .offset:         84
        .size:           4
        .value_kind:     by_value
      - .offset:         88
        .size:           4
        .value_kind:     by_value
      - .offset:         92
        .size:           12
        .value_kind:     by_value
      - .offset:         104
        .size:           4
        .value_kind:     by_value
      - .offset:         108
        .size:           4
        .value_kind:     by_value
      - .offset:         112
        .size:           4
        .value_kind:     by_value
      - .offset:         116
        .size:           4
        .value_kind:     by_value
      - .offset:         120
        .size:           4
        .value_kind:     by_value
      - .offset:         124
        .size:           4
        .value_kind:     by_value
      - .offset:         128
        .size:           4
        .value_kind:     by_value
      - .offset:         132
        .size:           4
        .value_kind:     by_value
      - .offset:         136
        .size:           4
        .value_kind:     by_value
      - .offset:         140
        .size:           4
        .value_kind:     by_value
      - .offset:         144
        .size:           4
        .value_kind:     by_value
      - .offset:         152
        .size:           8
        .value_kind:     by_value
      - .offset:         160
        .size:           4
        .value_kind:     by_value
      - .offset:         164
        .size:           4
        .value_kind:     by_value
      - .offset:         168
        .size:           8
        .value_kind:     by_value
      - .offset:         176
        .size:           4
        .value_kind:     by_value
      - .offset:         180
        .size:           4
        .value_kind:     by_value
      - .offset:         184
        .size:           4
        .value_kind:     by_value
      - .offset:         188
        .size:           4
        .value_kind:     by_value
      - .offset:         192
        .size:           4
        .value_kind:     by_value
      - .offset:         200
        .size:           8
        .value_kind:     by_value
      - .offset:         208
        .size:           4
        .value_kind:     hidden_block_count_x
      - .offset:         212
        .size:           4
        .value_kind:     hidden_block_count_y
      - .offset:         216
        .size:           4
        .value_kind:     hidden_block_count_z
      - .offset:         220
        .size:           2
        .value_kind:     hidden_group_size_x
      - .offset:         222
        .size:           2
        .value_kind:     hidden_group_size_y
      - .offset:         224
        .size:           2
        .value_kind:     hidden_group_size_z
      - .offset:         226
        .size:           2
        .value_kind:     hidden_remainder_x
      - .offset:         228
        .size:           2
        .value_kind:     hidden_remainder_y
      - .offset:         230
        .size:           2
        .value_kind:     hidden_remainder_z
      - .offset:         248
        .size:           8
        .value_kind:     hidden_global_offset_x
      - .offset:         256
        .size:           8
        .value_kind:     hidden_global_offset_y
      - .offset:         264
        .size:           8
        .value_kind:     hidden_global_offset_z
      - .offset:         272
        .size:           2
        .value_kind:     hidden_grid_dims
    .group_segment_fixed_size: 19200
    .kernarg_segment_align: 8
    .kernarg_segment_size: 464
    .language:       OpenCL C
    .language_version:
      - 2
      - 0
    .max_flat_workgroup_size: 128
    .name:           _ZL15flash_attn_tileILi256ELi256ELi1ELi4ELb1EEvPKcS1_S1_S1_S1_PKiPfP15HIP_vector_typeIfLj2EEffffjfiS5_IjLj3EEiiiiiiiiiiiliiliiiiil
    .private_segment_fixed_size: 0
    .sgpr_count:     45
    .sgpr_spill_count: 0
    .symbol:         _ZL15flash_attn_tileILi256ELi256ELi1ELi4ELb1EEvPKcS1_S1_S1_S1_PKiPfP15HIP_vector_typeIfLj2EEffffjfiS5_IjLj3EEiiiiiiiiiiiliiliiiiil.kd
    .uniform_work_group_size: 1
    .uses_dynamic_stack: false
    .vgpr_count:     233
    .vgpr_spill_count: 0
    .wavefront_size: 32
    .workgroup_processor_mode: 1
  - .args:
      - .address_space:  global
        .offset:         0
        .size:           8
        .value_kind:     global_buffer
      - .address_space:  global
        .offset:         8
        .size:           8
        .value_kind:     global_buffer
      - .address_space:  global
        .offset:         16
        .size:           8
        .value_kind:     global_buffer
      - .address_space:  global
        .offset:         24
        .size:           8
        .value_kind:     global_buffer
      - .address_space:  global
        .offset:         32
        .size:           8
        .value_kind:     global_buffer
      - .address_space:  global
        .offset:         40
        .size:           8
        .value_kind:     global_buffer
      - .address_space:  global
        .offset:         48
        .size:           8
        .value_kind:     global_buffer
      - .address_space:  global
        .offset:         56
        .size:           8
        .value_kind:     global_buffer
      - .offset:         64
        .size:           4
        .value_kind:     by_value
      - .offset:         68
        .size:           4
        .value_kind:     by_value
      - .offset:         72
        .size:           4
        .value_kind:     by_value
      - .offset:         76
        .size:           4
        .value_kind:     by_value
      - .offset:         80
        .size:           4
        .value_kind:     by_value
      - .offset:         84
        .size:           4
        .value_kind:     by_value
      - .offset:         88
        .size:           4
        .value_kind:     by_value
      - .offset:         92
        .size:           12
        .value_kind:     by_value
      - .offset:         104
        .size:           4
        .value_kind:     by_value
      - .offset:         108
        .size:           4
        .value_kind:     by_value
      - .offset:         112
        .size:           4
        .value_kind:     by_value
      - .offset:         116
        .size:           4
        .value_kind:     by_value
      - .offset:         120
        .size:           4
        .value_kind:     by_value
      - .offset:         124
        .size:           4
        .value_kind:     by_value
      - .offset:         128
        .size:           4
        .value_kind:     by_value
      - .offset:         132
        .size:           4
        .value_kind:     by_value
      - .offset:         136
        .size:           4
        .value_kind:     by_value
      - .offset:         140
        .size:           4
        .value_kind:     by_value
      - .offset:         144
        .size:           4
        .value_kind:     by_value
      - .offset:         152
        .size:           8
        .value_kind:     by_value
      - .offset:         160
        .size:           4
        .value_kind:     by_value
      - .offset:         164
        .size:           4
        .value_kind:     by_value
      - .offset:         168
        .size:           8
        .value_kind:     by_value
      - .offset:         176
        .size:           4
        .value_kind:     by_value
      - .offset:         180
        .size:           4
        .value_kind:     by_value
      - .offset:         184
        .size:           4
        .value_kind:     by_value
      - .offset:         188
        .size:           4
        .value_kind:     by_value
      - .offset:         192
        .size:           4
        .value_kind:     by_value
      - .offset:         200
        .size:           8
        .value_kind:     by_value
      - .offset:         208
        .size:           4
        .value_kind:     hidden_block_count_x
      - .offset:         212
        .size:           4
        .value_kind:     hidden_block_count_y
      - .offset:         216
        .size:           4
        .value_kind:     hidden_block_count_z
      - .offset:         220
        .size:           2
        .value_kind:     hidden_group_size_x
      - .offset:         222
        .size:           2
        .value_kind:     hidden_group_size_y
      - .offset:         224
        .size:           2
        .value_kind:     hidden_group_size_z
      - .offset:         226
        .size:           2
        .value_kind:     hidden_remainder_x
      - .offset:         228
        .size:           2
        .value_kind:     hidden_remainder_y
      - .offset:         230
        .size:           2
        .value_kind:     hidden_remainder_z
      - .offset:         248
        .size:           8
        .value_kind:     hidden_global_offset_x
      - .offset:         256
        .size:           8
        .value_kind:     hidden_global_offset_y
      - .offset:         264
        .size:           8
        .value_kind:     hidden_global_offset_z
      - .offset:         272
        .size:           2
        .value_kind:     hidden_grid_dims
    .group_segment_fixed_size: 37888
    .kernarg_segment_align: 8
    .kernarg_segment_size: 464
    .language:       OpenCL C
    .language_version:
      - 2
      - 0
    .max_flat_workgroup_size: 256
    .name:           _ZL15flash_attn_tileILi256ELi256ELi16ELi2ELb1EEvPKcS1_S1_S1_S1_PKiPfP15HIP_vector_typeIfLj2EEffffjfiS5_IjLj3EEiiiiiiiiiiiliiliiiiil
    .private_segment_fixed_size: 0
    .sgpr_count:     46
    .sgpr_spill_count: 0
    .symbol:         _ZL15flash_attn_tileILi256ELi256ELi16ELi2ELb1EEvPKcS1_S1_S1_S1_PKiPfP15HIP_vector_typeIfLj2EEffffjfiS5_IjLj3EEiiiiiiiiiiiliiliiiiil.kd
    .uniform_work_group_size: 1
    .uses_dynamic_stack: false
    .vgpr_count:     188
    .vgpr_spill_count: 0
    .wavefront_size: 32
    .workgroup_processor_mode: 1
  - .args:
      - .address_space:  global
        .offset:         0
        .size:           8
        .value_kind:     global_buffer
      - .address_space:  global
        .offset:         8
        .size:           8
        .value_kind:     global_buffer
      - .address_space:  global
        .offset:         16
        .size:           8
        .value_kind:     global_buffer
      - .address_space:  global
        .offset:         24
        .size:           8
        .value_kind:     global_buffer
      - .address_space:  global
        .offset:         32
        .size:           8
        .value_kind:     global_buffer
      - .address_space:  global
        .offset:         40
        .size:           8
        .value_kind:     global_buffer
      - .address_space:  global
        .offset:         48
        .size:           8
        .value_kind:     global_buffer
      - .address_space:  global
        .offset:         56
        .size:           8
        .value_kind:     global_buffer
      - .offset:         64
        .size:           4
        .value_kind:     by_value
      - .offset:         68
        .size:           4
        .value_kind:     by_value
      - .offset:         72
        .size:           4
        .value_kind:     by_value
      - .offset:         76
        .size:           4
        .value_kind:     by_value
      - .offset:         80
        .size:           4
        .value_kind:     by_value
      - .offset:         84
        .size:           4
        .value_kind:     by_value
      - .offset:         88
        .size:           4
        .value_kind:     by_value
      - .offset:         92
        .size:           12
        .value_kind:     by_value
      - .offset:         104
        .size:           4
        .value_kind:     by_value
      - .offset:         108
        .size:           4
        .value_kind:     by_value
      - .offset:         112
        .size:           4
        .value_kind:     by_value
      - .offset:         116
        .size:           4
        .value_kind:     by_value
      - .offset:         120
        .size:           4
        .value_kind:     by_value
      - .offset:         124
        .size:           4
        .value_kind:     by_value
      - .offset:         128
        .size:           4
        .value_kind:     by_value
      - .offset:         132
        .size:           4
        .value_kind:     by_value
      - .offset:         136
        .size:           4
        .value_kind:     by_value
      - .offset:         140
        .size:           4
        .value_kind:     by_value
      - .offset:         144
        .size:           4
        .value_kind:     by_value
      - .offset:         152
        .size:           8
        .value_kind:     by_value
      - .offset:         160
        .size:           4
        .value_kind:     by_value
      - .offset:         164
        .size:           4
        .value_kind:     by_value
      - .offset:         168
        .size:           8
        .value_kind:     by_value
      - .offset:         176
        .size:           4
        .value_kind:     by_value
      - .offset:         180
        .size:           4
        .value_kind:     by_value
      - .offset:         184
        .size:           4
        .value_kind:     by_value
      - .offset:         188
        .size:           4
        .value_kind:     by_value
      - .offset:         192
        .size:           4
        .value_kind:     by_value
      - .offset:         200
        .size:           8
        .value_kind:     by_value
      - .offset:         208
        .size:           4
        .value_kind:     hidden_block_count_x
      - .offset:         212
        .size:           4
        .value_kind:     hidden_block_count_y
      - .offset:         216
        .size:           4
        .value_kind:     hidden_block_count_z
      - .offset:         220
        .size:           2
        .value_kind:     hidden_group_size_x
      - .offset:         222
        .size:           2
        .value_kind:     hidden_group_size_y
      - .offset:         224
        .size:           2
        .value_kind:     hidden_group_size_z
      - .offset:         226
        .size:           2
        .value_kind:     hidden_remainder_x
      - .offset:         228
        .size:           2
        .value_kind:     hidden_remainder_y
      - .offset:         230
        .size:           2
        .value_kind:     hidden_remainder_z
      - .offset:         248
        .size:           8
        .value_kind:     hidden_global_offset_x
      - .offset:         256
        .size:           8
        .value_kind:     hidden_global_offset_y
      - .offset:         264
        .size:           8
        .value_kind:     hidden_global_offset_z
      - .offset:         272
        .size:           2
        .value_kind:     hidden_grid_dims
    .group_segment_fixed_size: 26112
    .kernarg_segment_align: 8
    .kernarg_segment_size: 464
    .language:       OpenCL C
    .language_version:
      - 2
      - 0
    .max_flat_workgroup_size: 256
    .name:           _ZL15flash_attn_tileILi256ELi256ELi8ELi2ELb1EEvPKcS1_S1_S1_S1_PKiPfP15HIP_vector_typeIfLj2EEffffjfiS5_IjLj3EEiiiiiiiiiiiliiliiiiil
    .private_segment_fixed_size: 0
    .sgpr_count:     44
    .sgpr_spill_count: 0
    .symbol:         _ZL15flash_attn_tileILi256ELi256ELi8ELi2ELb1EEvPKcS1_S1_S1_S1_PKiPfP15HIP_vector_typeIfLj2EEffffjfiS5_IjLj3EEiiiiiiiiiiiliiliiiiil.kd
    .uniform_work_group_size: 1
    .uses_dynamic_stack: false
    .vgpr_count:     197
    .vgpr_spill_count: 0
    .wavefront_size: 32
    .workgroup_processor_mode: 1
  - .args:
      - .address_space:  global
        .offset:         0
        .size:           8
        .value_kind:     global_buffer
      - .address_space:  global
        .offset:         8
        .size:           8
        .value_kind:     global_buffer
      - .address_space:  global
        .offset:         16
        .size:           8
        .value_kind:     global_buffer
      - .address_space:  global
        .offset:         24
        .size:           8
        .value_kind:     global_buffer
      - .address_space:  global
        .offset:         32
        .size:           8
        .value_kind:     global_buffer
      - .address_space:  global
        .offset:         40
        .size:           8
        .value_kind:     global_buffer
      - .address_space:  global
        .offset:         48
        .size:           8
        .value_kind:     global_buffer
      - .address_space:  global
        .offset:         56
        .size:           8
        .value_kind:     global_buffer
      - .offset:         64
        .size:           4
        .value_kind:     by_value
      - .offset:         68
        .size:           4
        .value_kind:     by_value
      - .offset:         72
        .size:           4
        .value_kind:     by_value
      - .offset:         76
        .size:           4
        .value_kind:     by_value
      - .offset:         80
        .size:           4
        .value_kind:     by_value
      - .offset:         84
        .size:           4
        .value_kind:     by_value
      - .offset:         88
        .size:           4
        .value_kind:     by_value
      - .offset:         92
        .size:           12
        .value_kind:     by_value
      - .offset:         104
        .size:           4
        .value_kind:     by_value
      - .offset:         108
        .size:           4
        .value_kind:     by_value
      - .offset:         112
        .size:           4
        .value_kind:     by_value
      - .offset:         116
        .size:           4
        .value_kind:     by_value
      - .offset:         120
        .size:           4
        .value_kind:     by_value
      - .offset:         124
        .size:           4
        .value_kind:     by_value
      - .offset:         128
        .size:           4
        .value_kind:     by_value
      - .offset:         132
        .size:           4
        .value_kind:     by_value
      - .offset:         136
        .size:           4
        .value_kind:     by_value
      - .offset:         140
        .size:           4
        .value_kind:     by_value
      - .offset:         144
        .size:           4
        .value_kind:     by_value
      - .offset:         152
        .size:           8
        .value_kind:     by_value
      - .offset:         160
        .size:           4
        .value_kind:     by_value
      - .offset:         164
        .size:           4
        .value_kind:     by_value
      - .offset:         168
        .size:           8
        .value_kind:     by_value
      - .offset:         176
        .size:           4
        .value_kind:     by_value
      - .offset:         180
        .size:           4
        .value_kind:     by_value
      - .offset:         184
        .size:           4
        .value_kind:     by_value
      - .offset:         188
        .size:           4
        .value_kind:     by_value
      - .offset:         192
        .size:           4
        .value_kind:     by_value
      - .offset:         200
        .size:           8
        .value_kind:     by_value
      - .offset:         208
        .size:           4
        .value_kind:     hidden_block_count_x
      - .offset:         212
        .size:           4
        .value_kind:     hidden_block_count_y
      - .offset:         216
        .size:           4
        .value_kind:     hidden_block_count_z
      - .offset:         220
        .size:           2
        .value_kind:     hidden_group_size_x
      - .offset:         222
        .size:           2
        .value_kind:     hidden_group_size_y
      - .offset:         224
        .size:           2
        .value_kind:     hidden_group_size_z
      - .offset:         226
        .size:           2
        .value_kind:     hidden_remainder_x
      - .offset:         228
        .size:           2
        .value_kind:     hidden_remainder_y
      - .offset:         230
        .size:           2
        .value_kind:     hidden_remainder_z
      - .offset:         248
        .size:           8
        .value_kind:     hidden_global_offset_x
      - .offset:         256
        .size:           8
        .value_kind:     hidden_global_offset_y
      - .offset:         264
        .size:           8
        .value_kind:     hidden_global_offset_z
      - .offset:         272
        .size:           2
        .value_kind:     hidden_grid_dims
    .group_segment_fixed_size: 21504
    .kernarg_segment_align: 8
    .kernarg_segment_size: 464
    .language:       OpenCL C
    .language_version:
      - 2
      - 0
    .max_flat_workgroup_size: 128
    .name:           _ZL15flash_attn_tileILi256ELi256ELi4ELi2ELb1EEvPKcS1_S1_S1_S1_PKiPfP15HIP_vector_typeIfLj2EEffffjfiS5_IjLj3EEiiiiiiiiiiiliiliiiiil
    .private_segment_fixed_size: 0
    .sgpr_count:     44
    .sgpr_spill_count: 0
    .symbol:         _ZL15flash_attn_tileILi256ELi256ELi4ELi2ELb1EEvPKcS1_S1_S1_S1_PKiPfP15HIP_vector_typeIfLj2EEffffjfiS5_IjLj3EEiiiiiiiiiiiliiliiiiil.kd
    .uniform_work_group_size: 1
    .uses_dynamic_stack: false
    .vgpr_count:     214
    .vgpr_spill_count: 0
    .wavefront_size: 32
    .workgroup_processor_mode: 1
  - .args:
      - .address_space:  global
        .offset:         0
        .size:           8
        .value_kind:     global_buffer
      - .address_space:  global
        .offset:         8
        .size:           8
        .value_kind:     global_buffer
      - .address_space:  global
        .offset:         16
        .size:           8
        .value_kind:     global_buffer
      - .address_space:  global
        .offset:         24
        .size:           8
        .value_kind:     global_buffer
      - .address_space:  global
        .offset:         32
        .size:           8
        .value_kind:     global_buffer
      - .address_space:  global
        .offset:         40
        .size:           8
        .value_kind:     global_buffer
      - .address_space:  global
        .offset:         48
        .size:           8
        .value_kind:     global_buffer
      - .address_space:  global
        .offset:         56
        .size:           8
        .value_kind:     global_buffer
      - .offset:         64
        .size:           4
        .value_kind:     by_value
      - .offset:         68
        .size:           4
        .value_kind:     by_value
      - .offset:         72
        .size:           4
        .value_kind:     by_value
      - .offset:         76
        .size:           4
        .value_kind:     by_value
      - .offset:         80
        .size:           4
        .value_kind:     by_value
      - .offset:         84
        .size:           4
        .value_kind:     by_value
      - .offset:         88
        .size:           4
        .value_kind:     by_value
      - .offset:         92
        .size:           12
        .value_kind:     by_value
      - .offset:         104
        .size:           4
        .value_kind:     by_value
      - .offset:         108
        .size:           4
        .value_kind:     by_value
      - .offset:         112
        .size:           4
        .value_kind:     by_value
      - .offset:         116
        .size:           4
        .value_kind:     by_value
      - .offset:         120
        .size:           4
        .value_kind:     by_value
      - .offset:         124
        .size:           4
        .value_kind:     by_value
      - .offset:         128
        .size:           4
        .value_kind:     by_value
      - .offset:         132
        .size:           4
        .value_kind:     by_value
      - .offset:         136
        .size:           4
        .value_kind:     by_value
      - .offset:         140
        .size:           4
        .value_kind:     by_value
      - .offset:         144
        .size:           4
        .value_kind:     by_value
      - .offset:         152
        .size:           8
        .value_kind:     by_value
      - .offset:         160
        .size:           4
        .value_kind:     by_value
      - .offset:         164
        .size:           4
        .value_kind:     by_value
      - .offset:         168
        .size:           8
        .value_kind:     by_value
      - .offset:         176
        .size:           4
        .value_kind:     by_value
      - .offset:         180
        .size:           4
        .value_kind:     by_value
      - .offset:         184
        .size:           4
        .value_kind:     by_value
      - .offset:         188
        .size:           4
        .value_kind:     by_value
      - .offset:         192
        .size:           4
        .value_kind:     by_value
      - .offset:         200
        .size:           8
        .value_kind:     by_value
      - .offset:         208
        .size:           4
        .value_kind:     hidden_block_count_x
      - .offset:         212
        .size:           4
        .value_kind:     hidden_block_count_y
      - .offset:         216
        .size:           4
        .value_kind:     hidden_block_count_z
      - .offset:         220
        .size:           2
        .value_kind:     hidden_group_size_x
      - .offset:         222
        .size:           2
        .value_kind:     hidden_group_size_y
      - .offset:         224
        .size:           2
        .value_kind:     hidden_group_size_z
      - .offset:         226
        .size:           2
        .value_kind:     hidden_remainder_x
      - .offset:         228
        .size:           2
        .value_kind:     hidden_remainder_y
      - .offset:         230
        .size:           2
        .value_kind:     hidden_remainder_z
      - .offset:         248
        .size:           8
        .value_kind:     hidden_global_offset_x
      - .offset:         256
        .size:           8
        .value_kind:     hidden_global_offset_y
      - .offset:         264
        .size:           8
        .value_kind:     hidden_global_offset_z
      - .offset:         272
        .size:           2
        .value_kind:     hidden_grid_dims
    .group_segment_fixed_size: 19200
    .kernarg_segment_align: 8
    .kernarg_segment_size: 464
    .language:       OpenCL C
    .language_version:
      - 2
      - 0
    .max_flat_workgroup_size: 128
    .name:           _ZL15flash_attn_tileILi256ELi256ELi2ELi2ELb1EEvPKcS1_S1_S1_S1_PKiPfP15HIP_vector_typeIfLj2EEffffjfiS5_IjLj3EEiiiiiiiiiiiliiliiiiil
    .private_segment_fixed_size: 0
    .sgpr_count:     45
    .sgpr_spill_count: 0
    .symbol:         _ZL15flash_attn_tileILi256ELi256ELi2ELi2ELb1EEvPKcS1_S1_S1_S1_PKiPfP15HIP_vector_typeIfLj2EEffffjfiS5_IjLj3EEiiiiiiiiiiiliiliiiiil.kd
    .uniform_work_group_size: 1
    .uses_dynamic_stack: false
    .vgpr_count:     233
    .vgpr_spill_count: 0
    .wavefront_size: 32
    .workgroup_processor_mode: 1
  - .args:
      - .address_space:  global
        .offset:         0
        .size:           8
        .value_kind:     global_buffer
      - .address_space:  global
        .offset:         8
        .size:           8
        .value_kind:     global_buffer
      - .address_space:  global
        .offset:         16
        .size:           8
        .value_kind:     global_buffer
      - .address_space:  global
        .offset:         24
        .size:           8
        .value_kind:     global_buffer
      - .address_space:  global
        .offset:         32
        .size:           8
        .value_kind:     global_buffer
      - .address_space:  global
        .offset:         40
        .size:           8
        .value_kind:     global_buffer
      - .address_space:  global
        .offset:         48
        .size:           8
        .value_kind:     global_buffer
      - .address_space:  global
        .offset:         56
        .size:           8
        .value_kind:     global_buffer
      - .offset:         64
        .size:           4
        .value_kind:     by_value
      - .offset:         68
        .size:           4
        .value_kind:     by_value
      - .offset:         72
        .size:           4
        .value_kind:     by_value
      - .offset:         76
        .size:           4
        .value_kind:     by_value
      - .offset:         80
        .size:           4
        .value_kind:     by_value
      - .offset:         84
        .size:           4
        .value_kind:     by_value
      - .offset:         88
        .size:           4
        .value_kind:     by_value
      - .offset:         92
        .size:           12
        .value_kind:     by_value
      - .offset:         104
        .size:           4
        .value_kind:     by_value
      - .offset:         108
        .size:           4
        .value_kind:     by_value
      - .offset:         112
        .size:           4
        .value_kind:     by_value
      - .offset:         116
        .size:           4
        .value_kind:     by_value
      - .offset:         120
        .size:           4
        .value_kind:     by_value
      - .offset:         124
        .size:           4
        .value_kind:     by_value
      - .offset:         128
        .size:           4
        .value_kind:     by_value
      - .offset:         132
        .size:           4
        .value_kind:     by_value
      - .offset:         136
        .size:           4
        .value_kind:     by_value
      - .offset:         140
        .size:           4
        .value_kind:     by_value
      - .offset:         144
        .size:           4
        .value_kind:     by_value
      - .offset:         152
        .size:           8
        .value_kind:     by_value
      - .offset:         160
        .size:           4
        .value_kind:     by_value
      - .offset:         164
        .size:           4
        .value_kind:     by_value
      - .offset:         168
        .size:           8
        .value_kind:     by_value
      - .offset:         176
        .size:           4
        .value_kind:     by_value
      - .offset:         180
        .size:           4
        .value_kind:     by_value
      - .offset:         184
        .size:           4
        .value_kind:     by_value
      - .offset:         188
        .size:           4
        .value_kind:     by_value
      - .offset:         192
        .size:           4
        .value_kind:     by_value
      - .offset:         200
        .size:           8
        .value_kind:     by_value
      - .offset:         208
        .size:           4
        .value_kind:     hidden_block_count_x
      - .offset:         212
        .size:           4
        .value_kind:     hidden_block_count_y
      - .offset:         216
        .size:           4
        .value_kind:     hidden_block_count_z
      - .offset:         220
        .size:           2
        .value_kind:     hidden_group_size_x
      - .offset:         222
        .size:           2
        .value_kind:     hidden_group_size_y
      - .offset:         224
        .size:           2
        .value_kind:     hidden_group_size_z
      - .offset:         226
        .size:           2
        .value_kind:     hidden_remainder_x
      - .offset:         228
        .size:           2
        .value_kind:     hidden_remainder_y
      - .offset:         230
        .size:           2
        .value_kind:     hidden_remainder_z
      - .offset:         248
        .size:           8
        .value_kind:     hidden_global_offset_x
      - .offset:         256
        .size:           8
        .value_kind:     hidden_global_offset_y
      - .offset:         264
        .size:           8
        .value_kind:     hidden_global_offset_z
      - .offset:         272
        .size:           2
        .value_kind:     hidden_grid_dims
    .group_segment_fixed_size: 5760
    .kernarg_segment_align: 8
    .kernarg_segment_size: 464
    .language:       OpenCL C
    .language_version:
      - 2
      - 0
    .max_flat_workgroup_size: 64
    .name:           _ZL15flash_attn_tileILi256ELi256ELi1ELi2ELb1EEvPKcS1_S1_S1_S1_PKiPfP15HIP_vector_typeIfLj2EEffffjfiS5_IjLj3EEiiiiiiiiiiiliiliiiiil
    .private_segment_fixed_size: 0
    .sgpr_count:     45
    .sgpr_spill_count: 0
    .symbol:         _ZL15flash_attn_tileILi256ELi256ELi1ELi2ELb1EEvPKcS1_S1_S1_S1_PKiPfP15HIP_vector_typeIfLj2EEffffjfiS5_IjLj3EEiiiiiiiiiiiliiliiiiil.kd
    .uniform_work_group_size: 1
    .uses_dynamic_stack: false
    .vgpr_count:     160
    .vgpr_spill_count: 0
    .wavefront_size: 32
    .workgroup_processor_mode: 1
  - .args:
      - .address_space:  global
        .offset:         0
        .size:           8
        .value_kind:     global_buffer
      - .address_space:  global
        .offset:         8
        .size:           8
        .value_kind:     global_buffer
      - .address_space:  global
        .offset:         16
        .size:           8
        .value_kind:     global_buffer
      - .address_space:  global
        .offset:         24
        .size:           8
        .value_kind:     global_buffer
      - .address_space:  global
        .offset:         32
        .size:           8
        .value_kind:     global_buffer
      - .address_space:  global
        .offset:         40
        .size:           8
        .value_kind:     global_buffer
      - .address_space:  global
        .offset:         48
        .size:           8
        .value_kind:     global_buffer
      - .address_space:  global
        .offset:         56
        .size:           8
        .value_kind:     global_buffer
      - .offset:         64
        .size:           4
        .value_kind:     by_value
      - .offset:         68
        .size:           4
        .value_kind:     by_value
      - .offset:         72
        .size:           4
        .value_kind:     by_value
      - .offset:         76
        .size:           4
        .value_kind:     by_value
      - .offset:         80
        .size:           4
        .value_kind:     by_value
      - .offset:         84
        .size:           4
        .value_kind:     by_value
      - .offset:         88
        .size:           4
        .value_kind:     by_value
      - .offset:         92
        .size:           12
        .value_kind:     by_value
      - .offset:         104
        .size:           4
        .value_kind:     by_value
      - .offset:         108
        .size:           4
        .value_kind:     by_value
      - .offset:         112
        .size:           4
        .value_kind:     by_value
      - .offset:         116
        .size:           4
        .value_kind:     by_value
      - .offset:         120
        .size:           4
        .value_kind:     by_value
      - .offset:         124
        .size:           4
        .value_kind:     by_value
      - .offset:         128
        .size:           4
        .value_kind:     by_value
      - .offset:         132
        .size:           4
        .value_kind:     by_value
      - .offset:         136
        .size:           4
        .value_kind:     by_value
      - .offset:         140
        .size:           4
        .value_kind:     by_value
      - .offset:         144
        .size:           4
        .value_kind:     by_value
      - .offset:         152
        .size:           8
        .value_kind:     by_value
      - .offset:         160
        .size:           4
        .value_kind:     by_value
      - .offset:         164
        .size:           4
        .value_kind:     by_value
      - .offset:         168
        .size:           8
        .value_kind:     by_value
      - .offset:         176
        .size:           4
        .value_kind:     by_value
      - .offset:         180
        .size:           4
        .value_kind:     by_value
      - .offset:         184
        .size:           4
        .value_kind:     by_value
      - .offset:         188
        .size:           4
        .value_kind:     by_value
      - .offset:         192
        .size:           4
        .value_kind:     by_value
      - .offset:         200
        .size:           8
        .value_kind:     by_value
      - .offset:         208
        .size:           4
        .value_kind:     hidden_block_count_x
      - .offset:         212
        .size:           4
        .value_kind:     hidden_block_count_y
      - .offset:         216
        .size:           4
        .value_kind:     hidden_block_count_z
      - .offset:         220
        .size:           2
        .value_kind:     hidden_group_size_x
      - .offset:         222
        .size:           2
        .value_kind:     hidden_group_size_y
      - .offset:         224
        .size:           2
        .value_kind:     hidden_group_size_z
      - .offset:         226
        .size:           2
        .value_kind:     hidden_remainder_x
      - .offset:         228
        .size:           2
        .value_kind:     hidden_remainder_y
      - .offset:         230
        .size:           2
        .value_kind:     hidden_remainder_z
      - .offset:         248
        .size:           8
        .value_kind:     hidden_global_offset_x
      - .offset:         256
        .size:           8
        .value_kind:     hidden_global_offset_y
      - .offset:         264
        .size:           8
        .value_kind:     hidden_global_offset_z
      - .offset:         272
        .size:           2
        .value_kind:     hidden_grid_dims
    .group_segment_fixed_size: 37888
    .kernarg_segment_align: 8
    .kernarg_segment_size: 464
    .language:       OpenCL C
    .language_version:
      - 2
      - 0
    .max_flat_workgroup_size: 256
    .name:           _ZL15flash_attn_tileILi256ELi256ELi32ELi1ELb1EEvPKcS1_S1_S1_S1_PKiPfP15HIP_vector_typeIfLj2EEffffjfiS5_IjLj3EEiiiiiiiiiiiliiliiiiil
    .private_segment_fixed_size: 32
    .sgpr_count:     50
    .sgpr_spill_count: 0
    .symbol:         _ZL15flash_attn_tileILi256ELi256ELi32ELi1ELb1EEvPKcS1_S1_S1_S1_PKiPfP15HIP_vector_typeIfLj2EEffffjfiS5_IjLj3EEiiiiiiiiiiiliiliiiiil.kd
    .uniform_work_group_size: 1
    .uses_dynamic_stack: false
    .vgpr_count:     197
    .vgpr_spill_count: 0
    .wavefront_size: 32
    .workgroup_processor_mode: 1
  - .args:
      - .address_space:  global
        .offset:         0
        .size:           8
        .value_kind:     global_buffer
      - .address_space:  global
        .offset:         8
        .size:           8
        .value_kind:     global_buffer
      - .address_space:  global
        .offset:         16
        .size:           8
        .value_kind:     global_buffer
      - .address_space:  global
        .offset:         24
        .size:           8
        .value_kind:     global_buffer
      - .address_space:  global
        .offset:         32
        .size:           8
        .value_kind:     global_buffer
      - .address_space:  global
        .offset:         40
        .size:           8
        .value_kind:     global_buffer
      - .address_space:  global
        .offset:         48
        .size:           8
        .value_kind:     global_buffer
      - .address_space:  global
        .offset:         56
        .size:           8
        .value_kind:     global_buffer
      - .offset:         64
        .size:           4
        .value_kind:     by_value
      - .offset:         68
        .size:           4
        .value_kind:     by_value
      - .offset:         72
        .size:           4
        .value_kind:     by_value
      - .offset:         76
        .size:           4
        .value_kind:     by_value
      - .offset:         80
        .size:           4
        .value_kind:     by_value
      - .offset:         84
        .size:           4
        .value_kind:     by_value
      - .offset:         88
        .size:           4
        .value_kind:     by_value
      - .offset:         92
        .size:           12
        .value_kind:     by_value
      - .offset:         104
        .size:           4
        .value_kind:     by_value
      - .offset:         108
        .size:           4
        .value_kind:     by_value
      - .offset:         112
        .size:           4
        .value_kind:     by_value
      - .offset:         116
        .size:           4
        .value_kind:     by_value
      - .offset:         120
        .size:           4
        .value_kind:     by_value
      - .offset:         124
        .size:           4
        .value_kind:     by_value
      - .offset:         128
        .size:           4
        .value_kind:     by_value
      - .offset:         132
        .size:           4
        .value_kind:     by_value
      - .offset:         136
        .size:           4
        .value_kind:     by_value
      - .offset:         140
        .size:           4
        .value_kind:     by_value
      - .offset:         144
        .size:           4
        .value_kind:     by_value
      - .offset:         152
        .size:           8
        .value_kind:     by_value
      - .offset:         160
        .size:           4
        .value_kind:     by_value
      - .offset:         164
        .size:           4
        .value_kind:     by_value
      - .offset:         168
        .size:           8
        .value_kind:     by_value
      - .offset:         176
        .size:           4
        .value_kind:     by_value
      - .offset:         180
        .size:           4
        .value_kind:     by_value
      - .offset:         184
        .size:           4
        .value_kind:     by_value
      - .offset:         188
        .size:           4
        .value_kind:     by_value
      - .offset:         192
        .size:           4
        .value_kind:     by_value
      - .offset:         200
        .size:           8
        .value_kind:     by_value
      - .offset:         208
        .size:           4
        .value_kind:     hidden_block_count_x
      - .offset:         212
        .size:           4
        .value_kind:     hidden_block_count_y
      - .offset:         216
        .size:           4
        .value_kind:     hidden_block_count_z
      - .offset:         220
        .size:           2
        .value_kind:     hidden_group_size_x
      - .offset:         222
        .size:           2
        .value_kind:     hidden_group_size_y
      - .offset:         224
        .size:           2
        .value_kind:     hidden_group_size_z
      - .offset:         226
        .size:           2
        .value_kind:     hidden_remainder_x
      - .offset:         228
        .size:           2
        .value_kind:     hidden_remainder_y
      - .offset:         230
        .size:           2
        .value_kind:     hidden_remainder_z
      - .offset:         248
        .size:           8
        .value_kind:     hidden_global_offset_x
      - .offset:         256
        .size:           8
        .value_kind:     hidden_global_offset_y
      - .offset:         264
        .size:           8
        .value_kind:     hidden_global_offset_z
      - .offset:         272
        .size:           2
        .value_kind:     hidden_grid_dims
    .group_segment_fixed_size: 26112
    .kernarg_segment_align: 8
    .kernarg_segment_size: 464
    .language:       OpenCL C
    .language_version:
      - 2
      - 0
    .max_flat_workgroup_size: 256
    .name:           _ZL15flash_attn_tileILi256ELi256ELi16ELi1ELb1EEvPKcS1_S1_S1_S1_PKiPfP15HIP_vector_typeIfLj2EEffffjfiS5_IjLj3EEiiiiiiiiiiiliiliiiiil
    .private_segment_fixed_size: 32
    .sgpr_count:     50
    .sgpr_spill_count: 0
    .symbol:         _ZL15flash_attn_tileILi256ELi256ELi16ELi1ELb1EEvPKcS1_S1_S1_S1_PKiPfP15HIP_vector_typeIfLj2EEffffjfiS5_IjLj3EEiiiiiiiiiiiliiliiiiil.kd
    .uniform_work_group_size: 1
    .uses_dynamic_stack: false
    .vgpr_count:     229
    .vgpr_spill_count: 0
    .wavefront_size: 32
    .workgroup_processor_mode: 1
  - .args:
      - .address_space:  global
        .offset:         0
        .size:           8
        .value_kind:     global_buffer
      - .address_space:  global
        .offset:         8
        .size:           8
        .value_kind:     global_buffer
      - .address_space:  global
        .offset:         16
        .size:           8
        .value_kind:     global_buffer
      - .address_space:  global
        .offset:         24
        .size:           8
        .value_kind:     global_buffer
      - .address_space:  global
        .offset:         32
        .size:           8
        .value_kind:     global_buffer
      - .address_space:  global
        .offset:         40
        .size:           8
        .value_kind:     global_buffer
      - .address_space:  global
        .offset:         48
        .size:           8
        .value_kind:     global_buffer
      - .address_space:  global
        .offset:         56
        .size:           8
        .value_kind:     global_buffer
      - .offset:         64
        .size:           4
        .value_kind:     by_value
      - .offset:         68
        .size:           4
        .value_kind:     by_value
      - .offset:         72
        .size:           4
        .value_kind:     by_value
      - .offset:         76
        .size:           4
        .value_kind:     by_value
      - .offset:         80
        .size:           4
        .value_kind:     by_value
      - .offset:         84
        .size:           4
        .value_kind:     by_value
      - .offset:         88
        .size:           4
        .value_kind:     by_value
      - .offset:         92
        .size:           12
        .value_kind:     by_value
      - .offset:         104
        .size:           4
        .value_kind:     by_value
      - .offset:         108
        .size:           4
        .value_kind:     by_value
      - .offset:         112
        .size:           4
        .value_kind:     by_value
      - .offset:         116
        .size:           4
        .value_kind:     by_value
      - .offset:         120
        .size:           4
        .value_kind:     by_value
      - .offset:         124
        .size:           4
        .value_kind:     by_value
      - .offset:         128
        .size:           4
        .value_kind:     by_value
      - .offset:         132
        .size:           4
        .value_kind:     by_value
      - .offset:         136
        .size:           4
        .value_kind:     by_value
      - .offset:         140
        .size:           4
        .value_kind:     by_value
      - .offset:         144
        .size:           4
        .value_kind:     by_value
      - .offset:         152
        .size:           8
        .value_kind:     by_value
      - .offset:         160
        .size:           4
        .value_kind:     by_value
      - .offset:         164
        .size:           4
        .value_kind:     by_value
      - .offset:         168
        .size:           8
        .value_kind:     by_value
      - .offset:         176
        .size:           4
        .value_kind:     by_value
      - .offset:         180
        .size:           4
        .value_kind:     by_value
      - .offset:         184
        .size:           4
        .value_kind:     by_value
      - .offset:         188
        .size:           4
        .value_kind:     by_value
      - .offset:         192
        .size:           4
        .value_kind:     by_value
      - .offset:         200
        .size:           8
        .value_kind:     by_value
      - .offset:         208
        .size:           4
        .value_kind:     hidden_block_count_x
      - .offset:         212
        .size:           4
        .value_kind:     hidden_block_count_y
      - .offset:         216
        .size:           4
        .value_kind:     hidden_block_count_z
      - .offset:         220
        .size:           2
        .value_kind:     hidden_group_size_x
      - .offset:         222
        .size:           2
        .value_kind:     hidden_group_size_y
      - .offset:         224
        .size:           2
        .value_kind:     hidden_group_size_z
      - .offset:         226
        .size:           2
        .value_kind:     hidden_remainder_x
      - .offset:         228
        .size:           2
        .value_kind:     hidden_remainder_y
      - .offset:         230
        .size:           2
        .value_kind:     hidden_remainder_z
      - .offset:         248
        .size:           8
        .value_kind:     hidden_global_offset_x
      - .offset:         256
        .size:           8
        .value_kind:     hidden_global_offset_y
      - .offset:         264
        .size:           8
        .value_kind:     hidden_global_offset_z
      - .offset:         272
        .size:           2
        .value_kind:     hidden_grid_dims
    .group_segment_fixed_size: 21504
    .kernarg_segment_align: 8
    .kernarg_segment_size: 464
    .language:       OpenCL C
    .language_version:
      - 2
      - 0
    .max_flat_workgroup_size: 128
    .name:           _ZL15flash_attn_tileILi256ELi256ELi8ELi1ELb1EEvPKcS1_S1_S1_S1_PKiPfP15HIP_vector_typeIfLj2EEffffjfiS5_IjLj3EEiiiiiiiiiiiliiliiiiil
    .private_segment_fixed_size: 32
    .sgpr_count:     50
    .sgpr_spill_count: 0
    .symbol:         _ZL15flash_attn_tileILi256ELi256ELi8ELi1ELb1EEvPKcS1_S1_S1_S1_PKiPfP15HIP_vector_typeIfLj2EEffffjfiS5_IjLj3EEiiiiiiiiiiiliiliiiiil.kd
    .uniform_work_group_size: 1
    .uses_dynamic_stack: false
    .vgpr_count:     221
    .vgpr_spill_count: 0
    .wavefront_size: 32
    .workgroup_processor_mode: 1
  - .args:
      - .address_space:  global
        .offset:         0
        .size:           8
        .value_kind:     global_buffer
      - .address_space:  global
        .offset:         8
        .size:           8
        .value_kind:     global_buffer
      - .address_space:  global
        .offset:         16
        .size:           8
        .value_kind:     global_buffer
      - .address_space:  global
        .offset:         24
        .size:           8
        .value_kind:     global_buffer
      - .address_space:  global
        .offset:         32
        .size:           8
        .value_kind:     global_buffer
      - .address_space:  global
        .offset:         40
        .size:           8
        .value_kind:     global_buffer
      - .address_space:  global
        .offset:         48
        .size:           8
        .value_kind:     global_buffer
      - .address_space:  global
        .offset:         56
        .size:           8
        .value_kind:     global_buffer
      - .offset:         64
        .size:           4
        .value_kind:     by_value
      - .offset:         68
        .size:           4
        .value_kind:     by_value
      - .offset:         72
        .size:           4
        .value_kind:     by_value
      - .offset:         76
        .size:           4
        .value_kind:     by_value
      - .offset:         80
        .size:           4
        .value_kind:     by_value
      - .offset:         84
        .size:           4
        .value_kind:     by_value
      - .offset:         88
        .size:           4
        .value_kind:     by_value
      - .offset:         92
        .size:           12
        .value_kind:     by_value
      - .offset:         104
        .size:           4
        .value_kind:     by_value
      - .offset:         108
        .size:           4
        .value_kind:     by_value
      - .offset:         112
        .size:           4
        .value_kind:     by_value
      - .offset:         116
        .size:           4
        .value_kind:     by_value
      - .offset:         120
        .size:           4
        .value_kind:     by_value
      - .offset:         124
        .size:           4
        .value_kind:     by_value
      - .offset:         128
        .size:           4
        .value_kind:     by_value
      - .offset:         132
        .size:           4
        .value_kind:     by_value
      - .offset:         136
        .size:           4
        .value_kind:     by_value
      - .offset:         140
        .size:           4
        .value_kind:     by_value
      - .offset:         144
        .size:           4
        .value_kind:     by_value
      - .offset:         152
        .size:           8
        .value_kind:     by_value
      - .offset:         160
        .size:           4
        .value_kind:     by_value
      - .offset:         164
        .size:           4
        .value_kind:     by_value
      - .offset:         168
        .size:           8
        .value_kind:     by_value
      - .offset:         176
        .size:           4
        .value_kind:     by_value
      - .offset:         180
        .size:           4
        .value_kind:     by_value
      - .offset:         184
        .size:           4
        .value_kind:     by_value
      - .offset:         188
        .size:           4
        .value_kind:     by_value
      - .offset:         192
        .size:           4
        .value_kind:     by_value
      - .offset:         200
        .size:           8
        .value_kind:     by_value
      - .offset:         208
        .size:           4
        .value_kind:     hidden_block_count_x
      - .offset:         212
        .size:           4
        .value_kind:     hidden_block_count_y
      - .offset:         216
        .size:           4
        .value_kind:     hidden_block_count_z
      - .offset:         220
        .size:           2
        .value_kind:     hidden_group_size_x
      - .offset:         222
        .size:           2
        .value_kind:     hidden_group_size_y
      - .offset:         224
        .size:           2
        .value_kind:     hidden_group_size_z
      - .offset:         226
        .size:           2
        .value_kind:     hidden_remainder_x
      - .offset:         228
        .size:           2
        .value_kind:     hidden_remainder_y
      - .offset:         230
        .size:           2
        .value_kind:     hidden_remainder_z
      - .offset:         248
        .size:           8
        .value_kind:     hidden_global_offset_x
      - .offset:         256
        .size:           8
        .value_kind:     hidden_global_offset_y
      - .offset:         264
        .size:           8
        .value_kind:     hidden_global_offset_z
      - .offset:         272
        .size:           2
        .value_kind:     hidden_grid_dims
    .group_segment_fixed_size: 19200
    .kernarg_segment_align: 8
    .kernarg_segment_size: 464
    .language:       OpenCL C
    .language_version:
      - 2
      - 0
    .max_flat_workgroup_size: 128
    .name:           _ZL15flash_attn_tileILi256ELi256ELi4ELi1ELb1EEvPKcS1_S1_S1_S1_PKiPfP15HIP_vector_typeIfLj2EEffffjfiS5_IjLj3EEiiiiiiiiiiiliiliiiiil
    .private_segment_fixed_size: 32
    .sgpr_count:     50
    .sgpr_spill_count: 0
    .symbol:         _ZL15flash_attn_tileILi256ELi256ELi4ELi1ELb1EEvPKcS1_S1_S1_S1_PKiPfP15HIP_vector_typeIfLj2EEffffjfiS5_IjLj3EEiiiiiiiiiiiliiliiiiil.kd
    .uniform_work_group_size: 1
    .uses_dynamic_stack: false
    .vgpr_count:     235
    .vgpr_spill_count: 0
    .wavefront_size: 32
    .workgroup_processor_mode: 1
  - .args:
      - .address_space:  global
        .offset:         0
        .size:           8
        .value_kind:     global_buffer
      - .address_space:  global
        .offset:         8
        .size:           8
        .value_kind:     global_buffer
      - .address_space:  global
        .offset:         16
        .size:           8
        .value_kind:     global_buffer
      - .address_space:  global
        .offset:         24
        .size:           8
        .value_kind:     global_buffer
      - .address_space:  global
        .offset:         32
        .size:           8
        .value_kind:     global_buffer
      - .address_space:  global
        .offset:         40
        .size:           8
        .value_kind:     global_buffer
      - .address_space:  global
        .offset:         48
        .size:           8
        .value_kind:     global_buffer
      - .address_space:  global
        .offset:         56
        .size:           8
        .value_kind:     global_buffer
      - .offset:         64
        .size:           4
        .value_kind:     by_value
      - .offset:         68
        .size:           4
        .value_kind:     by_value
      - .offset:         72
        .size:           4
        .value_kind:     by_value
      - .offset:         76
        .size:           4
        .value_kind:     by_value
      - .offset:         80
        .size:           4
        .value_kind:     by_value
      - .offset:         84
        .size:           4
        .value_kind:     by_value
      - .offset:         88
        .size:           4
        .value_kind:     by_value
      - .offset:         92
        .size:           12
        .value_kind:     by_value
      - .offset:         104
        .size:           4
        .value_kind:     by_value
      - .offset:         108
        .size:           4
        .value_kind:     by_value
      - .offset:         112
        .size:           4
        .value_kind:     by_value
      - .offset:         116
        .size:           4
        .value_kind:     by_value
      - .offset:         120
        .size:           4
        .value_kind:     by_value
      - .offset:         124
        .size:           4
        .value_kind:     by_value
      - .offset:         128
        .size:           4
        .value_kind:     by_value
      - .offset:         132
        .size:           4
        .value_kind:     by_value
      - .offset:         136
        .size:           4
        .value_kind:     by_value
      - .offset:         140
        .size:           4
        .value_kind:     by_value
      - .offset:         144
        .size:           4
        .value_kind:     by_value
      - .offset:         152
        .size:           8
        .value_kind:     by_value
      - .offset:         160
        .size:           4
        .value_kind:     by_value
      - .offset:         164
        .size:           4
        .value_kind:     by_value
      - .offset:         168
        .size:           8
        .value_kind:     by_value
      - .offset:         176
        .size:           4
        .value_kind:     by_value
      - .offset:         180
        .size:           4
        .value_kind:     by_value
      - .offset:         184
        .size:           4
        .value_kind:     by_value
      - .offset:         188
        .size:           4
        .value_kind:     by_value
      - .offset:         192
        .size:           4
        .value_kind:     by_value
      - .offset:         200
        .size:           8
        .value_kind:     by_value
      - .offset:         208
        .size:           4
        .value_kind:     hidden_block_count_x
      - .offset:         212
        .size:           4
        .value_kind:     hidden_block_count_y
      - .offset:         216
        .size:           4
        .value_kind:     hidden_block_count_z
      - .offset:         220
        .size:           2
        .value_kind:     hidden_group_size_x
      - .offset:         222
        .size:           2
        .value_kind:     hidden_group_size_y
      - .offset:         224
        .size:           2
        .value_kind:     hidden_group_size_z
      - .offset:         226
        .size:           2
        .value_kind:     hidden_remainder_x
      - .offset:         228
        .size:           2
        .value_kind:     hidden_remainder_y
      - .offset:         230
        .size:           2
        .value_kind:     hidden_remainder_z
      - .offset:         248
        .size:           8
        .value_kind:     hidden_global_offset_x
      - .offset:         256
        .size:           8
        .value_kind:     hidden_global_offset_y
      - .offset:         264
        .size:           8
        .value_kind:     hidden_global_offset_z
      - .offset:         272
        .size:           2
        .value_kind:     hidden_grid_dims
    .group_segment_fixed_size: 5760
    .kernarg_segment_align: 8
    .kernarg_segment_size: 464
    .language:       OpenCL C
    .language_version:
      - 2
      - 0
    .max_flat_workgroup_size: 64
    .name:           _ZL15flash_attn_tileILi256ELi256ELi2ELi1ELb1EEvPKcS1_S1_S1_S1_PKiPfP15HIP_vector_typeIfLj2EEffffjfiS5_IjLj3EEiiiiiiiiiiiliiliiiiil
    .private_segment_fixed_size: 32
    .sgpr_count:     50
    .sgpr_spill_count: 0
    .symbol:         _ZL15flash_attn_tileILi256ELi256ELi2ELi1ELb1EEvPKcS1_S1_S1_S1_PKiPfP15HIP_vector_typeIfLj2EEffffjfiS5_IjLj3EEiiiiiiiiiiiliiliiiiil.kd
    .uniform_work_group_size: 1
    .uses_dynamic_stack: false
    .vgpr_count:     182
    .vgpr_spill_count: 0
    .wavefront_size: 32
    .workgroup_processor_mode: 1
amdhsa.target:   amdgcn-amd-amdhsa--gfx1201
amdhsa.version:
  - 1
  - 2
...

	.end_amdgpu_metadata
